;; amdgpu-corpus repo=ROCm/hipCUB kind=compiled arch=gfx906 opt=O3
	.amdgcn_target "amdgcn-amd-amdhsa--gfx906"
	.amdhsa_code_object_version 6
	.section	.text._ZN7rocprim6detail31init_lookback_scan_state_kernelINS0_19lookback_scan_stateIiLb1ELb1EEEEEvT_jjPNS4_10value_typeE,"axG",@progbits,_ZN7rocprim6detail31init_lookback_scan_state_kernelINS0_19lookback_scan_stateIiLb1ELb1EEEEEvT_jjPNS4_10value_typeE,comdat
	.protected	_ZN7rocprim6detail31init_lookback_scan_state_kernelINS0_19lookback_scan_stateIiLb1ELb1EEEEEvT_jjPNS4_10value_typeE ; -- Begin function _ZN7rocprim6detail31init_lookback_scan_state_kernelINS0_19lookback_scan_stateIiLb1ELb1EEEEEvT_jjPNS4_10value_typeE
	.globl	_ZN7rocprim6detail31init_lookback_scan_state_kernelINS0_19lookback_scan_stateIiLb1ELb1EEEEEvT_jjPNS4_10value_typeE
	.p2align	8
	.type	_ZN7rocprim6detail31init_lookback_scan_state_kernelINS0_19lookback_scan_stateIiLb1ELb1EEEEEvT_jjPNS4_10value_typeE,@function
_ZN7rocprim6detail31init_lookback_scan_state_kernelINS0_19lookback_scan_stateIiLb1ELb1EEEEEvT_jjPNS4_10value_typeE: ; @_ZN7rocprim6detail31init_lookback_scan_state_kernelINS0_19lookback_scan_stateIiLb1ELb1EEEEEvT_jjPNS4_10value_typeE
; %bb.0:
	s_load_dword s7, s[4:5], 0x24
	s_load_dwordx2 s[8:9], s[4:5], 0x10
	s_load_dwordx4 s[0:3], s[4:5], 0x0
	s_waitcnt lgkmcnt(0)
	s_and_b32 s4, s7, 0xffff
	s_mul_i32 s6, s6, s4
	s_cmp_eq_u64 s[8:9], 0
	v_add_u32_e32 v0, s6, v0
	s_cbranch_scc1 .LBB0_9
; %bb.1:
	s_cmp_lt_u32 s3, s2
	s_cselect_b32 s4, s3, 0
	s_mov_b32 s7, 0
	v_cmp_eq_u32_e32 vcc, s4, v0
	s_and_saveexec_b64 s[4:5], vcc
	s_cbranch_execz .LBB0_8
; %bb.2:
	s_add_i32 s6, s3, 64
	s_lshl_b64 s[6:7], s[6:7], 3
	s_add_u32 s6, s0, s6
	s_addc_u32 s7, s1, s7
	v_mov_b32_e32 v1, 0
	global_load_dwordx2 v[3:4], v1, s[6:7] glc
	s_waitcnt vmcnt(0)
	v_and_b32_e32 v2, 0xff, v4
	v_cmp_ne_u64_e32 vcc, 0, v[1:2]
	s_cbranch_vccnz .LBB0_7
; %bb.3:
	s_mov_b32 s3, 1
.LBB0_4:                                ; =>This Loop Header: Depth=1
                                        ;     Child Loop BB0_5 Depth 2
	s_mov_b32 s10, s3
.LBB0_5:                                ;   Parent Loop BB0_4 Depth=1
                                        ; =>  This Inner Loop Header: Depth=2
	s_add_i32 s10, s10, -1
	s_cmp_eq_u32 s10, 0
	s_sleep 1
	s_cbranch_scc0 .LBB0_5
; %bb.6:                                ;   in Loop: Header=BB0_4 Depth=1
	global_load_dwordx2 v[3:4], v1, s[6:7] glc
	s_cmp_lt_u32 s3, 32
	s_cselect_b64 s[10:11], -1, 0
	s_cmp_lg_u64 s[10:11], 0
	s_addc_u32 s3, s3, 0
	s_waitcnt vmcnt(0)
	v_and_b32_e32 v2, 0xff, v4
	v_cmp_ne_u64_e32 vcc, 0, v[1:2]
	s_cbranch_vccz .LBB0_4
.LBB0_7:
	v_mov_b32_e32 v1, 0
	global_store_dword v1, v3, s[8:9]
.LBB0_8:
	s_or_b64 exec, exec, s[4:5]
.LBB0_9:
	v_cmp_gt_u32_e32 vcc, s2, v0
	s_and_saveexec_b64 s[2:3], vcc
	s_cbranch_execnz .LBB0_12
; %bb.10:
	s_or_b64 exec, exec, s[2:3]
	v_cmp_gt_u32_e32 vcc, 64, v0
	s_and_saveexec_b64 s[2:3], vcc
	s_cbranch_execnz .LBB0_13
.LBB0_11:
	s_endpgm
.LBB0_12:
	v_add_u32_e32 v1, 64, v0
	v_mov_b32_e32 v2, 0
	v_lshlrev_b64 v[3:4], 3, v[1:2]
	v_mov_b32_e32 v1, s1
	v_add_co_u32_e32 v3, vcc, s0, v3
	v_addc_co_u32_e32 v4, vcc, v1, v4, vcc
	v_mov_b32_e32 v1, v2
	global_store_dwordx2 v[3:4], v[1:2], off
	s_or_b64 exec, exec, s[2:3]
	v_cmp_gt_u32_e32 vcc, 64, v0
	s_and_saveexec_b64 s[2:3], vcc
	s_cbranch_execz .LBB0_11
.LBB0_13:
	v_mov_b32_e32 v1, 0
	v_lshlrev_b64 v[2:3], 3, v[0:1]
	v_mov_b32_e32 v0, s1
	v_add_co_u32_e32 v2, vcc, s0, v2
	v_addc_co_u32_e32 v3, vcc, v0, v3, vcc
	v_mov_b32_e32 v5, 0xff
	v_mov_b32_e32 v4, v1
	global_store_dwordx2 v[2:3], v[4:5], off
	s_endpgm
	.section	.rodata,"a",@progbits
	.p2align	6, 0x0
	.amdhsa_kernel _ZN7rocprim6detail31init_lookback_scan_state_kernelINS0_19lookback_scan_stateIiLb1ELb1EEEEEvT_jjPNS4_10value_typeE
		.amdhsa_group_segment_fixed_size 0
		.amdhsa_private_segment_fixed_size 0
		.amdhsa_kernarg_size 280
		.amdhsa_user_sgpr_count 6
		.amdhsa_user_sgpr_private_segment_buffer 1
		.amdhsa_user_sgpr_dispatch_ptr 0
		.amdhsa_user_sgpr_queue_ptr 0
		.amdhsa_user_sgpr_kernarg_segment_ptr 1
		.amdhsa_user_sgpr_dispatch_id 0
		.amdhsa_user_sgpr_flat_scratch_init 0
		.amdhsa_user_sgpr_private_segment_size 0
		.amdhsa_uses_dynamic_stack 0
		.amdhsa_system_sgpr_private_segment_wavefront_offset 0
		.amdhsa_system_sgpr_workgroup_id_x 1
		.amdhsa_system_sgpr_workgroup_id_y 0
		.amdhsa_system_sgpr_workgroup_id_z 0
		.amdhsa_system_sgpr_workgroup_info 0
		.amdhsa_system_vgpr_workitem_id 0
		.amdhsa_next_free_vgpr 6
		.amdhsa_next_free_sgpr 12
		.amdhsa_reserve_vcc 1
		.amdhsa_reserve_flat_scratch 0
		.amdhsa_float_round_mode_32 0
		.amdhsa_float_round_mode_16_64 0
		.amdhsa_float_denorm_mode_32 3
		.amdhsa_float_denorm_mode_16_64 3
		.amdhsa_dx10_clamp 1
		.amdhsa_ieee_mode 1
		.amdhsa_fp16_overflow 0
		.amdhsa_exception_fp_ieee_invalid_op 0
		.amdhsa_exception_fp_denorm_src 0
		.amdhsa_exception_fp_ieee_div_zero 0
		.amdhsa_exception_fp_ieee_overflow 0
		.amdhsa_exception_fp_ieee_underflow 0
		.amdhsa_exception_fp_ieee_inexact 0
		.amdhsa_exception_int_div_zero 0
	.end_amdhsa_kernel
	.section	.text._ZN7rocprim6detail31init_lookback_scan_state_kernelINS0_19lookback_scan_stateIiLb1ELb1EEEEEvT_jjPNS4_10value_typeE,"axG",@progbits,_ZN7rocprim6detail31init_lookback_scan_state_kernelINS0_19lookback_scan_stateIiLb1ELb1EEEEEvT_jjPNS4_10value_typeE,comdat
.Lfunc_end0:
	.size	_ZN7rocprim6detail31init_lookback_scan_state_kernelINS0_19lookback_scan_stateIiLb1ELb1EEEEEvT_jjPNS4_10value_typeE, .Lfunc_end0-_ZN7rocprim6detail31init_lookback_scan_state_kernelINS0_19lookback_scan_stateIiLb1ELb1EEEEEvT_jjPNS4_10value_typeE
                                        ; -- End function
	.set _ZN7rocprim6detail31init_lookback_scan_state_kernelINS0_19lookback_scan_stateIiLb1ELb1EEEEEvT_jjPNS4_10value_typeE.num_vgpr, 6
	.set _ZN7rocprim6detail31init_lookback_scan_state_kernelINS0_19lookback_scan_stateIiLb1ELb1EEEEEvT_jjPNS4_10value_typeE.num_agpr, 0
	.set _ZN7rocprim6detail31init_lookback_scan_state_kernelINS0_19lookback_scan_stateIiLb1ELb1EEEEEvT_jjPNS4_10value_typeE.numbered_sgpr, 12
	.set _ZN7rocprim6detail31init_lookback_scan_state_kernelINS0_19lookback_scan_stateIiLb1ELb1EEEEEvT_jjPNS4_10value_typeE.num_named_barrier, 0
	.set _ZN7rocprim6detail31init_lookback_scan_state_kernelINS0_19lookback_scan_stateIiLb1ELb1EEEEEvT_jjPNS4_10value_typeE.private_seg_size, 0
	.set _ZN7rocprim6detail31init_lookback_scan_state_kernelINS0_19lookback_scan_stateIiLb1ELb1EEEEEvT_jjPNS4_10value_typeE.uses_vcc, 1
	.set _ZN7rocprim6detail31init_lookback_scan_state_kernelINS0_19lookback_scan_stateIiLb1ELb1EEEEEvT_jjPNS4_10value_typeE.uses_flat_scratch, 0
	.set _ZN7rocprim6detail31init_lookback_scan_state_kernelINS0_19lookback_scan_stateIiLb1ELb1EEEEEvT_jjPNS4_10value_typeE.has_dyn_sized_stack, 0
	.set _ZN7rocprim6detail31init_lookback_scan_state_kernelINS0_19lookback_scan_stateIiLb1ELb1EEEEEvT_jjPNS4_10value_typeE.has_recursion, 0
	.set _ZN7rocprim6detail31init_lookback_scan_state_kernelINS0_19lookback_scan_stateIiLb1ELb1EEEEEvT_jjPNS4_10value_typeE.has_indirect_call, 0
	.section	.AMDGPU.csdata,"",@progbits
; Kernel info:
; codeLenInByte = 344
; TotalNumSgprs: 16
; NumVgprs: 6
; ScratchSize: 0
; MemoryBound: 0
; FloatMode: 240
; IeeeMode: 1
; LDSByteSize: 0 bytes/workgroup (compile time only)
; SGPRBlocks: 1
; VGPRBlocks: 1
; NumSGPRsForWavesPerEU: 16
; NumVGPRsForWavesPerEU: 6
; Occupancy: 10
; WaveLimiterHint : 0
; COMPUTE_PGM_RSRC2:SCRATCH_EN: 0
; COMPUTE_PGM_RSRC2:USER_SGPR: 6
; COMPUTE_PGM_RSRC2:TRAP_HANDLER: 0
; COMPUTE_PGM_RSRC2:TGID_X_EN: 1
; COMPUTE_PGM_RSRC2:TGID_Y_EN: 0
; COMPUTE_PGM_RSRC2:TGID_Z_EN: 0
; COMPUTE_PGM_RSRC2:TIDIG_COMP_CNT: 0
	.section	.text._ZN7rocprim6detail31init_lookback_scan_state_kernelINS0_19lookback_scan_stateIiLb0ELb1EEEEEvT_jjPNS4_10value_typeE,"axG",@progbits,_ZN7rocprim6detail31init_lookback_scan_state_kernelINS0_19lookback_scan_stateIiLb0ELb1EEEEEvT_jjPNS4_10value_typeE,comdat
	.protected	_ZN7rocprim6detail31init_lookback_scan_state_kernelINS0_19lookback_scan_stateIiLb0ELb1EEEEEvT_jjPNS4_10value_typeE ; -- Begin function _ZN7rocprim6detail31init_lookback_scan_state_kernelINS0_19lookback_scan_stateIiLb0ELb1EEEEEvT_jjPNS4_10value_typeE
	.globl	_ZN7rocprim6detail31init_lookback_scan_state_kernelINS0_19lookback_scan_stateIiLb0ELb1EEEEEvT_jjPNS4_10value_typeE
	.p2align	8
	.type	_ZN7rocprim6detail31init_lookback_scan_state_kernelINS0_19lookback_scan_stateIiLb0ELb1EEEEEvT_jjPNS4_10value_typeE,@function
_ZN7rocprim6detail31init_lookback_scan_state_kernelINS0_19lookback_scan_stateIiLb0ELb1EEEEEvT_jjPNS4_10value_typeE: ; @_ZN7rocprim6detail31init_lookback_scan_state_kernelINS0_19lookback_scan_stateIiLb0ELb1EEEEEvT_jjPNS4_10value_typeE
; %bb.0:
	s_load_dword s7, s[4:5], 0x24
	s_load_dwordx2 s[8:9], s[4:5], 0x10
	s_load_dwordx4 s[0:3], s[4:5], 0x0
	s_waitcnt lgkmcnt(0)
	s_and_b32 s4, s7, 0xffff
	s_mul_i32 s6, s6, s4
	s_cmp_eq_u64 s[8:9], 0
	v_add_u32_e32 v0, s6, v0
	s_cbranch_scc1 .LBB1_6
; %bb.1:
	s_cmp_lt_u32 s3, s2
	s_cselect_b32 s4, s3, 0
	s_mov_b32 s7, 0
	v_cmp_eq_u32_e32 vcc, s4, v0
	s_and_saveexec_b64 s[4:5], vcc
	s_cbranch_execz .LBB1_5
; %bb.2:
	s_add_i32 s6, s3, 64
	s_lshl_b64 s[6:7], s[6:7], 3
	s_add_u32 s6, s0, s6
	s_addc_u32 s7, s1, s7
	v_mov_b32_e32 v3, 0
	global_load_dwordx2 v[1:2], v3, s[6:7] glc
	s_waitcnt vmcnt(0)
	v_and_b32_e32 v4, 0xff, v2
	v_cmp_ne_u64_e32 vcc, 0, v[3:4]
	s_cbranch_vccnz .LBB1_4
.LBB1_3:                                ; =>This Inner Loop Header: Depth=1
	global_load_dwordx2 v[1:2], v3, s[6:7] glc
	s_waitcnt vmcnt(0)
	v_and_b32_e32 v4, 0xff, v2
	v_cmp_eq_u64_e32 vcc, 0, v[3:4]
	s_cbranch_vccnz .LBB1_3
.LBB1_4:
	v_mov_b32_e32 v2, 0
	global_store_dword v2, v1, s[8:9]
.LBB1_5:
	s_or_b64 exec, exec, s[4:5]
.LBB1_6:
	v_cmp_gt_u32_e32 vcc, s2, v0
	s_and_saveexec_b64 s[2:3], vcc
	s_cbranch_execnz .LBB1_9
; %bb.7:
	s_or_b64 exec, exec, s[2:3]
	v_cmp_gt_u32_e32 vcc, 64, v0
	s_and_saveexec_b64 s[2:3], vcc
	s_cbranch_execnz .LBB1_10
.LBB1_8:
	s_endpgm
.LBB1_9:
	v_add_u32_e32 v1, 64, v0
	v_mov_b32_e32 v2, 0
	v_lshlrev_b64 v[3:4], 3, v[1:2]
	v_mov_b32_e32 v1, s1
	v_add_co_u32_e32 v3, vcc, s0, v3
	v_addc_co_u32_e32 v4, vcc, v1, v4, vcc
	v_mov_b32_e32 v1, v2
	global_store_dwordx2 v[3:4], v[1:2], off
	s_or_b64 exec, exec, s[2:3]
	v_cmp_gt_u32_e32 vcc, 64, v0
	s_and_saveexec_b64 s[2:3], vcc
	s_cbranch_execz .LBB1_8
.LBB1_10:
	v_mov_b32_e32 v1, 0
	v_lshlrev_b64 v[2:3], 3, v[0:1]
	v_mov_b32_e32 v0, s1
	v_add_co_u32_e32 v2, vcc, s0, v2
	v_addc_co_u32_e32 v3, vcc, v0, v3, vcc
	v_mov_b32_e32 v5, 0xff
	v_mov_b32_e32 v4, v1
	global_store_dwordx2 v[2:3], v[4:5], off
	s_endpgm
	.section	.rodata,"a",@progbits
	.p2align	6, 0x0
	.amdhsa_kernel _ZN7rocprim6detail31init_lookback_scan_state_kernelINS0_19lookback_scan_stateIiLb0ELb1EEEEEvT_jjPNS4_10value_typeE
		.amdhsa_group_segment_fixed_size 0
		.amdhsa_private_segment_fixed_size 0
		.amdhsa_kernarg_size 280
		.amdhsa_user_sgpr_count 6
		.amdhsa_user_sgpr_private_segment_buffer 1
		.amdhsa_user_sgpr_dispatch_ptr 0
		.amdhsa_user_sgpr_queue_ptr 0
		.amdhsa_user_sgpr_kernarg_segment_ptr 1
		.amdhsa_user_sgpr_dispatch_id 0
		.amdhsa_user_sgpr_flat_scratch_init 0
		.amdhsa_user_sgpr_private_segment_size 0
		.amdhsa_uses_dynamic_stack 0
		.amdhsa_system_sgpr_private_segment_wavefront_offset 0
		.amdhsa_system_sgpr_workgroup_id_x 1
		.amdhsa_system_sgpr_workgroup_id_y 0
		.amdhsa_system_sgpr_workgroup_id_z 0
		.amdhsa_system_sgpr_workgroup_info 0
		.amdhsa_system_vgpr_workitem_id 0
		.amdhsa_next_free_vgpr 6
		.amdhsa_next_free_sgpr 10
		.amdhsa_reserve_vcc 1
		.amdhsa_reserve_flat_scratch 0
		.amdhsa_float_round_mode_32 0
		.amdhsa_float_round_mode_16_64 0
		.amdhsa_float_denorm_mode_32 3
		.amdhsa_float_denorm_mode_16_64 3
		.amdhsa_dx10_clamp 1
		.amdhsa_ieee_mode 1
		.amdhsa_fp16_overflow 0
		.amdhsa_exception_fp_ieee_invalid_op 0
		.amdhsa_exception_fp_denorm_src 0
		.amdhsa_exception_fp_ieee_div_zero 0
		.amdhsa_exception_fp_ieee_overflow 0
		.amdhsa_exception_fp_ieee_underflow 0
		.amdhsa_exception_fp_ieee_inexact 0
		.amdhsa_exception_int_div_zero 0
	.end_amdhsa_kernel
	.section	.text._ZN7rocprim6detail31init_lookback_scan_state_kernelINS0_19lookback_scan_stateIiLb0ELb1EEEEEvT_jjPNS4_10value_typeE,"axG",@progbits,_ZN7rocprim6detail31init_lookback_scan_state_kernelINS0_19lookback_scan_stateIiLb0ELb1EEEEEvT_jjPNS4_10value_typeE,comdat
.Lfunc_end1:
	.size	_ZN7rocprim6detail31init_lookback_scan_state_kernelINS0_19lookback_scan_stateIiLb0ELb1EEEEEvT_jjPNS4_10value_typeE, .Lfunc_end1-_ZN7rocprim6detail31init_lookback_scan_state_kernelINS0_19lookback_scan_stateIiLb0ELb1EEEEEvT_jjPNS4_10value_typeE
                                        ; -- End function
	.set _ZN7rocprim6detail31init_lookback_scan_state_kernelINS0_19lookback_scan_stateIiLb0ELb1EEEEEvT_jjPNS4_10value_typeE.num_vgpr, 6
	.set _ZN7rocprim6detail31init_lookback_scan_state_kernelINS0_19lookback_scan_stateIiLb0ELb1EEEEEvT_jjPNS4_10value_typeE.num_agpr, 0
	.set _ZN7rocprim6detail31init_lookback_scan_state_kernelINS0_19lookback_scan_stateIiLb0ELb1EEEEEvT_jjPNS4_10value_typeE.numbered_sgpr, 10
	.set _ZN7rocprim6detail31init_lookback_scan_state_kernelINS0_19lookback_scan_stateIiLb0ELb1EEEEEvT_jjPNS4_10value_typeE.num_named_barrier, 0
	.set _ZN7rocprim6detail31init_lookback_scan_state_kernelINS0_19lookback_scan_stateIiLb0ELb1EEEEEvT_jjPNS4_10value_typeE.private_seg_size, 0
	.set _ZN7rocprim6detail31init_lookback_scan_state_kernelINS0_19lookback_scan_stateIiLb0ELb1EEEEEvT_jjPNS4_10value_typeE.uses_vcc, 1
	.set _ZN7rocprim6detail31init_lookback_scan_state_kernelINS0_19lookback_scan_stateIiLb0ELb1EEEEEvT_jjPNS4_10value_typeE.uses_flat_scratch, 0
	.set _ZN7rocprim6detail31init_lookback_scan_state_kernelINS0_19lookback_scan_stateIiLb0ELb1EEEEEvT_jjPNS4_10value_typeE.has_dyn_sized_stack, 0
	.set _ZN7rocprim6detail31init_lookback_scan_state_kernelINS0_19lookback_scan_stateIiLb0ELb1EEEEEvT_jjPNS4_10value_typeE.has_recursion, 0
	.set _ZN7rocprim6detail31init_lookback_scan_state_kernelINS0_19lookback_scan_stateIiLb0ELb1EEEEEvT_jjPNS4_10value_typeE.has_indirect_call, 0
	.section	.AMDGPU.csdata,"",@progbits
; Kernel info:
; codeLenInByte = 304
; TotalNumSgprs: 14
; NumVgprs: 6
; ScratchSize: 0
; MemoryBound: 0
; FloatMode: 240
; IeeeMode: 1
; LDSByteSize: 0 bytes/workgroup (compile time only)
; SGPRBlocks: 1
; VGPRBlocks: 1
; NumSGPRsForWavesPerEU: 14
; NumVGPRsForWavesPerEU: 6
; Occupancy: 10
; WaveLimiterHint : 0
; COMPUTE_PGM_RSRC2:SCRATCH_EN: 0
; COMPUTE_PGM_RSRC2:USER_SGPR: 6
; COMPUTE_PGM_RSRC2:TRAP_HANDLER: 0
; COMPUTE_PGM_RSRC2:TGID_X_EN: 1
; COMPUTE_PGM_RSRC2:TGID_Y_EN: 0
; COMPUTE_PGM_RSRC2:TGID_Z_EN: 0
; COMPUTE_PGM_RSRC2:TIDIG_COMP_CNT: 0
	.section	.text._ZN7rocprim6detail20lookback_scan_kernelILNS0_25lookback_scan_determinismE0ELb0ENS0_19wrapped_scan_configINS_14default_configEiEEN6hipcub22TransformInputIteratorIiNS6_6CastOpIiEEPilEEPlNS6_3SumEiiNS0_19lookback_scan_stateIiLb1ELb1EEEEEvT2_T3_mT5_T4_T7_jPT6_SM_bb,"axG",@progbits,_ZN7rocprim6detail20lookback_scan_kernelILNS0_25lookback_scan_determinismE0ELb0ENS0_19wrapped_scan_configINS_14default_configEiEEN6hipcub22TransformInputIteratorIiNS6_6CastOpIiEEPilEEPlNS6_3SumEiiNS0_19lookback_scan_stateIiLb1ELb1EEEEEvT2_T3_mT5_T4_T7_jPT6_SM_bb,comdat
	.protected	_ZN7rocprim6detail20lookback_scan_kernelILNS0_25lookback_scan_determinismE0ELb0ENS0_19wrapped_scan_configINS_14default_configEiEEN6hipcub22TransformInputIteratorIiNS6_6CastOpIiEEPilEEPlNS6_3SumEiiNS0_19lookback_scan_stateIiLb1ELb1EEEEEvT2_T3_mT5_T4_T7_jPT6_SM_bb ; -- Begin function _ZN7rocprim6detail20lookback_scan_kernelILNS0_25lookback_scan_determinismE0ELb0ENS0_19wrapped_scan_configINS_14default_configEiEEN6hipcub22TransformInputIteratorIiNS6_6CastOpIiEEPilEEPlNS6_3SumEiiNS0_19lookback_scan_stateIiLb1ELb1EEEEEvT2_T3_mT5_T4_T7_jPT6_SM_bb
	.globl	_ZN7rocprim6detail20lookback_scan_kernelILNS0_25lookback_scan_determinismE0ELb0ENS0_19wrapped_scan_configINS_14default_configEiEEN6hipcub22TransformInputIteratorIiNS6_6CastOpIiEEPilEEPlNS6_3SumEiiNS0_19lookback_scan_stateIiLb1ELb1EEEEEvT2_T3_mT5_T4_T7_jPT6_SM_bb
	.p2align	8
	.type	_ZN7rocprim6detail20lookback_scan_kernelILNS0_25lookback_scan_determinismE0ELb0ENS0_19wrapped_scan_configINS_14default_configEiEEN6hipcub22TransformInputIteratorIiNS6_6CastOpIiEEPilEEPlNS6_3SumEiiNS0_19lookback_scan_stateIiLb1ELb1EEEEEvT2_T3_mT5_T4_T7_jPT6_SM_bb,@function
_ZN7rocprim6detail20lookback_scan_kernelILNS0_25lookback_scan_determinismE0ELb0ENS0_19wrapped_scan_configINS_14default_configEiEEN6hipcub22TransformInputIteratorIiNS6_6CastOpIiEEPilEEPlNS6_3SumEiiNS0_19lookback_scan_stateIiLb1ELb1EEEEEvT2_T3_mT5_T4_T7_jPT6_SM_bb: ; @_ZN7rocprim6detail20lookback_scan_kernelILNS0_25lookback_scan_determinismE0ELb0ENS0_19wrapped_scan_configINS_14default_configEiEEN6hipcub22TransformInputIteratorIiNS6_6CastOpIiEEPilEEPlNS6_3SumEiiNS0_19lookback_scan_stateIiLb1ELb1EEEEEvT2_T3_mT5_T4_T7_jPT6_SM_bb
; %bb.0:
	s_endpgm
	.section	.rodata,"a",@progbits
	.p2align	6, 0x0
	.amdhsa_kernel _ZN7rocprim6detail20lookback_scan_kernelILNS0_25lookback_scan_determinismE0ELb0ENS0_19wrapped_scan_configINS_14default_configEiEEN6hipcub22TransformInputIteratorIiNS6_6CastOpIiEEPilEEPlNS6_3SumEiiNS0_19lookback_scan_stateIiLb1ELb1EEEEEvT2_T3_mT5_T4_T7_jPT6_SM_bb
		.amdhsa_group_segment_fixed_size 0
		.amdhsa_private_segment_fixed_size 0
		.amdhsa_kernarg_size 76
		.amdhsa_user_sgpr_count 6
		.amdhsa_user_sgpr_private_segment_buffer 1
		.amdhsa_user_sgpr_dispatch_ptr 0
		.amdhsa_user_sgpr_queue_ptr 0
		.amdhsa_user_sgpr_kernarg_segment_ptr 1
		.amdhsa_user_sgpr_dispatch_id 0
		.amdhsa_user_sgpr_flat_scratch_init 0
		.amdhsa_user_sgpr_private_segment_size 0
		.amdhsa_uses_dynamic_stack 0
		.amdhsa_system_sgpr_private_segment_wavefront_offset 0
		.amdhsa_system_sgpr_workgroup_id_x 1
		.amdhsa_system_sgpr_workgroup_id_y 0
		.amdhsa_system_sgpr_workgroup_id_z 0
		.amdhsa_system_sgpr_workgroup_info 0
		.amdhsa_system_vgpr_workitem_id 0
		.amdhsa_next_free_vgpr 1
		.amdhsa_next_free_sgpr 0
		.amdhsa_reserve_vcc 0
		.amdhsa_reserve_flat_scratch 0
		.amdhsa_float_round_mode_32 0
		.amdhsa_float_round_mode_16_64 0
		.amdhsa_float_denorm_mode_32 3
		.amdhsa_float_denorm_mode_16_64 3
		.amdhsa_dx10_clamp 1
		.amdhsa_ieee_mode 1
		.amdhsa_fp16_overflow 0
		.amdhsa_exception_fp_ieee_invalid_op 0
		.amdhsa_exception_fp_denorm_src 0
		.amdhsa_exception_fp_ieee_div_zero 0
		.amdhsa_exception_fp_ieee_overflow 0
		.amdhsa_exception_fp_ieee_underflow 0
		.amdhsa_exception_fp_ieee_inexact 0
		.amdhsa_exception_int_div_zero 0
	.end_amdhsa_kernel
	.section	.text._ZN7rocprim6detail20lookback_scan_kernelILNS0_25lookback_scan_determinismE0ELb0ENS0_19wrapped_scan_configINS_14default_configEiEEN6hipcub22TransformInputIteratorIiNS6_6CastOpIiEEPilEEPlNS6_3SumEiiNS0_19lookback_scan_stateIiLb1ELb1EEEEEvT2_T3_mT5_T4_T7_jPT6_SM_bb,"axG",@progbits,_ZN7rocprim6detail20lookback_scan_kernelILNS0_25lookback_scan_determinismE0ELb0ENS0_19wrapped_scan_configINS_14default_configEiEEN6hipcub22TransformInputIteratorIiNS6_6CastOpIiEEPilEEPlNS6_3SumEiiNS0_19lookback_scan_stateIiLb1ELb1EEEEEvT2_T3_mT5_T4_T7_jPT6_SM_bb,comdat
.Lfunc_end2:
	.size	_ZN7rocprim6detail20lookback_scan_kernelILNS0_25lookback_scan_determinismE0ELb0ENS0_19wrapped_scan_configINS_14default_configEiEEN6hipcub22TransformInputIteratorIiNS6_6CastOpIiEEPilEEPlNS6_3SumEiiNS0_19lookback_scan_stateIiLb1ELb1EEEEEvT2_T3_mT5_T4_T7_jPT6_SM_bb, .Lfunc_end2-_ZN7rocprim6detail20lookback_scan_kernelILNS0_25lookback_scan_determinismE0ELb0ENS0_19wrapped_scan_configINS_14default_configEiEEN6hipcub22TransformInputIteratorIiNS6_6CastOpIiEEPilEEPlNS6_3SumEiiNS0_19lookback_scan_stateIiLb1ELb1EEEEEvT2_T3_mT5_T4_T7_jPT6_SM_bb
                                        ; -- End function
	.set _ZN7rocprim6detail20lookback_scan_kernelILNS0_25lookback_scan_determinismE0ELb0ENS0_19wrapped_scan_configINS_14default_configEiEEN6hipcub22TransformInputIteratorIiNS6_6CastOpIiEEPilEEPlNS6_3SumEiiNS0_19lookback_scan_stateIiLb1ELb1EEEEEvT2_T3_mT5_T4_T7_jPT6_SM_bb.num_vgpr, 0
	.set _ZN7rocprim6detail20lookback_scan_kernelILNS0_25lookback_scan_determinismE0ELb0ENS0_19wrapped_scan_configINS_14default_configEiEEN6hipcub22TransformInputIteratorIiNS6_6CastOpIiEEPilEEPlNS6_3SumEiiNS0_19lookback_scan_stateIiLb1ELb1EEEEEvT2_T3_mT5_T4_T7_jPT6_SM_bb.num_agpr, 0
	.set _ZN7rocprim6detail20lookback_scan_kernelILNS0_25lookback_scan_determinismE0ELb0ENS0_19wrapped_scan_configINS_14default_configEiEEN6hipcub22TransformInputIteratorIiNS6_6CastOpIiEEPilEEPlNS6_3SumEiiNS0_19lookback_scan_stateIiLb1ELb1EEEEEvT2_T3_mT5_T4_T7_jPT6_SM_bb.numbered_sgpr, 0
	.set _ZN7rocprim6detail20lookback_scan_kernelILNS0_25lookback_scan_determinismE0ELb0ENS0_19wrapped_scan_configINS_14default_configEiEEN6hipcub22TransformInputIteratorIiNS6_6CastOpIiEEPilEEPlNS6_3SumEiiNS0_19lookback_scan_stateIiLb1ELb1EEEEEvT2_T3_mT5_T4_T7_jPT6_SM_bb.num_named_barrier, 0
	.set _ZN7rocprim6detail20lookback_scan_kernelILNS0_25lookback_scan_determinismE0ELb0ENS0_19wrapped_scan_configINS_14default_configEiEEN6hipcub22TransformInputIteratorIiNS6_6CastOpIiEEPilEEPlNS6_3SumEiiNS0_19lookback_scan_stateIiLb1ELb1EEEEEvT2_T3_mT5_T4_T7_jPT6_SM_bb.private_seg_size, 0
	.set _ZN7rocprim6detail20lookback_scan_kernelILNS0_25lookback_scan_determinismE0ELb0ENS0_19wrapped_scan_configINS_14default_configEiEEN6hipcub22TransformInputIteratorIiNS6_6CastOpIiEEPilEEPlNS6_3SumEiiNS0_19lookback_scan_stateIiLb1ELb1EEEEEvT2_T3_mT5_T4_T7_jPT6_SM_bb.uses_vcc, 0
	.set _ZN7rocprim6detail20lookback_scan_kernelILNS0_25lookback_scan_determinismE0ELb0ENS0_19wrapped_scan_configINS_14default_configEiEEN6hipcub22TransformInputIteratorIiNS6_6CastOpIiEEPilEEPlNS6_3SumEiiNS0_19lookback_scan_stateIiLb1ELb1EEEEEvT2_T3_mT5_T4_T7_jPT6_SM_bb.uses_flat_scratch, 0
	.set _ZN7rocprim6detail20lookback_scan_kernelILNS0_25lookback_scan_determinismE0ELb0ENS0_19wrapped_scan_configINS_14default_configEiEEN6hipcub22TransformInputIteratorIiNS6_6CastOpIiEEPilEEPlNS6_3SumEiiNS0_19lookback_scan_stateIiLb1ELb1EEEEEvT2_T3_mT5_T4_T7_jPT6_SM_bb.has_dyn_sized_stack, 0
	.set _ZN7rocprim6detail20lookback_scan_kernelILNS0_25lookback_scan_determinismE0ELb0ENS0_19wrapped_scan_configINS_14default_configEiEEN6hipcub22TransformInputIteratorIiNS6_6CastOpIiEEPilEEPlNS6_3SumEiiNS0_19lookback_scan_stateIiLb1ELb1EEEEEvT2_T3_mT5_T4_T7_jPT6_SM_bb.has_recursion, 0
	.set _ZN7rocprim6detail20lookback_scan_kernelILNS0_25lookback_scan_determinismE0ELb0ENS0_19wrapped_scan_configINS_14default_configEiEEN6hipcub22TransformInputIteratorIiNS6_6CastOpIiEEPilEEPlNS6_3SumEiiNS0_19lookback_scan_stateIiLb1ELb1EEEEEvT2_T3_mT5_T4_T7_jPT6_SM_bb.has_indirect_call, 0
	.section	.AMDGPU.csdata,"",@progbits
; Kernel info:
; codeLenInByte = 4
; TotalNumSgprs: 4
; NumVgprs: 0
; ScratchSize: 0
; MemoryBound: 0
; FloatMode: 240
; IeeeMode: 1
; LDSByteSize: 0 bytes/workgroup (compile time only)
; SGPRBlocks: 0
; VGPRBlocks: 0
; NumSGPRsForWavesPerEU: 4
; NumVGPRsForWavesPerEU: 1
; Occupancy: 10
; WaveLimiterHint : 0
; COMPUTE_PGM_RSRC2:SCRATCH_EN: 0
; COMPUTE_PGM_RSRC2:USER_SGPR: 6
; COMPUTE_PGM_RSRC2:TRAP_HANDLER: 0
; COMPUTE_PGM_RSRC2:TGID_X_EN: 1
; COMPUTE_PGM_RSRC2:TGID_Y_EN: 0
; COMPUTE_PGM_RSRC2:TGID_Z_EN: 0
; COMPUTE_PGM_RSRC2:TIDIG_COMP_CNT: 0
	.section	.text._ZN7rocprim6detail20lookback_scan_kernelILNS0_25lookback_scan_determinismE0ELb0ENS0_19wrapped_scan_configINS_14default_configEiEEN6hipcub22TransformInputIteratorIiNS6_6CastOpIiEEPilEEPlNS6_3SumEiiNS0_19lookback_scan_stateIiLb0ELb1EEEEEvT2_T3_mT5_T4_T7_jPT6_SM_bb,"axG",@progbits,_ZN7rocprim6detail20lookback_scan_kernelILNS0_25lookback_scan_determinismE0ELb0ENS0_19wrapped_scan_configINS_14default_configEiEEN6hipcub22TransformInputIteratorIiNS6_6CastOpIiEEPilEEPlNS6_3SumEiiNS0_19lookback_scan_stateIiLb0ELb1EEEEEvT2_T3_mT5_T4_T7_jPT6_SM_bb,comdat
	.protected	_ZN7rocprim6detail20lookback_scan_kernelILNS0_25lookback_scan_determinismE0ELb0ENS0_19wrapped_scan_configINS_14default_configEiEEN6hipcub22TransformInputIteratorIiNS6_6CastOpIiEEPilEEPlNS6_3SumEiiNS0_19lookback_scan_stateIiLb0ELb1EEEEEvT2_T3_mT5_T4_T7_jPT6_SM_bb ; -- Begin function _ZN7rocprim6detail20lookback_scan_kernelILNS0_25lookback_scan_determinismE0ELb0ENS0_19wrapped_scan_configINS_14default_configEiEEN6hipcub22TransformInputIteratorIiNS6_6CastOpIiEEPilEEPlNS6_3SumEiiNS0_19lookback_scan_stateIiLb0ELb1EEEEEvT2_T3_mT5_T4_T7_jPT6_SM_bb
	.globl	_ZN7rocprim6detail20lookback_scan_kernelILNS0_25lookback_scan_determinismE0ELb0ENS0_19wrapped_scan_configINS_14default_configEiEEN6hipcub22TransformInputIteratorIiNS6_6CastOpIiEEPilEEPlNS6_3SumEiiNS0_19lookback_scan_stateIiLb0ELb1EEEEEvT2_T3_mT5_T4_T7_jPT6_SM_bb
	.p2align	8
	.type	_ZN7rocprim6detail20lookback_scan_kernelILNS0_25lookback_scan_determinismE0ELb0ENS0_19wrapped_scan_configINS_14default_configEiEEN6hipcub22TransformInputIteratorIiNS6_6CastOpIiEEPilEEPlNS6_3SumEiiNS0_19lookback_scan_stateIiLb0ELb1EEEEEvT2_T3_mT5_T4_T7_jPT6_SM_bb,@function
_ZN7rocprim6detail20lookback_scan_kernelILNS0_25lookback_scan_determinismE0ELb0ENS0_19wrapped_scan_configINS_14default_configEiEEN6hipcub22TransformInputIteratorIiNS6_6CastOpIiEEPilEEPlNS6_3SumEiiNS0_19lookback_scan_stateIiLb0ELb1EEEEEvT2_T3_mT5_T4_T7_jPT6_SM_bb: ; @_ZN7rocprim6detail20lookback_scan_kernelILNS0_25lookback_scan_determinismE0ELb0ENS0_19wrapped_scan_configINS_14default_configEiEEN6hipcub22TransformInputIteratorIiNS6_6CastOpIiEEPilEEPlNS6_3SumEiiNS0_19lookback_scan_stateIiLb0ELb1EEEEEvT2_T3_mT5_T4_T7_jPT6_SM_bb
; %bb.0:
	s_load_dword s2, s[4:5], 0x30
	s_load_dwordx2 s[0:1], s[4:5], 0x0
	s_load_dwordx4 s[24:27], s[4:5], 0x10
	s_mul_i32 s28, s6, 0xf00
	s_mov_b32 s29, 0
	s_waitcnt lgkmcnt(0)
	s_add_i32 s2, s2, -1
	s_mul_i32 s3, s2, 0xf00
	s_sub_u32 s23, s26, s3
	s_subb_u32 s30, s27, 0
	s_cmp_lg_u32 s6, s2
	s_cselect_b64 s[26:27], -1, 0
	s_lshl_b64 s[2:3], s[28:29], 2
	s_add_u32 s2, s0, s2
	s_addc_u32 s3, s1, s3
	s_mov_b64 s[0:1], -1
	s_and_b64 vcc, exec, s[26:27]
	v_lshlrev_b32_e32 v31, 2, v0
	s_cbranch_vccz .LBB3_2
; %bb.1:
	v_mov_b32_e32 v1, s3
	v_add_co_u32_e32 v5, vcc, s2, v31
	v_addc_co_u32_e32 v6, vcc, 0, v1, vcc
	v_add_co_u32_e32 v1, vcc, 0x1000, v5
	v_addc_co_u32_e32 v2, vcc, 0, v6, vcc
	;; [unrolled: 2-line block ×3, first 2 shown]
	global_load_dword v7, v31, s[2:3]
	global_load_dword v8, v31, s[2:3] offset:1024
	global_load_dword v9, v31, s[2:3] offset:2048
	;; [unrolled: 1-line block ×3, first 2 shown]
	global_load_dword v11, v[1:2], off
	global_load_dword v12, v[1:2], off offset:1024
	global_load_dword v13, v[1:2], off offset:2048
	global_load_dword v14, v[1:2], off offset:3072
	global_load_dword v15, v[3:4], off
	global_load_dword v16, v[3:4], off offset:1024
	global_load_dword v17, v[3:4], off offset:2048
	;; [unrolled: 1-line block ×3, first 2 shown]
	v_add_co_u32_e32 v1, vcc, 0x3000, v5
	v_addc_co_u32_e32 v2, vcc, 0, v6, vcc
	global_load_dword v3, v[1:2], off
	global_load_dword v4, v[1:2], off offset:1024
	global_load_dword v5, v[1:2], off offset:2048
	s_mov_b64 s[0:1], 0
	s_waitcnt vmcnt(13)
	ds_write2st64_b32 v31, v7, v8 offset1:4
	s_waitcnt vmcnt(11)
	ds_write2st64_b32 v31, v9, v10 offset0:8 offset1:12
	s_waitcnt vmcnt(9)
	ds_write2st64_b32 v31, v11, v12 offset0:16 offset1:20
	;; [unrolled: 2-line block ×6, first 2 shown]
	s_waitcnt vmcnt(0)
	ds_write_b32 v31, v5 offset:14336
	s_waitcnt lgkmcnt(0)
	s_barrier
.LBB3_2:
	s_andn2_b64 vcc, exec, s[0:1]
	v_cmp_gt_u32_e64 s[0:1], s23, v0
	s_cbranch_vccnz .LBB3_34
; %bb.3:
	s_load_dword s8, s[2:3], 0x0
	v_mov_b32_e32 v1, s3
	v_add_co_u32_e32 v17, vcc, s2, v31
	v_addc_co_u32_e32 v18, vcc, 0, v1, vcc
	s_waitcnt lgkmcnt(0)
	s_mov_b32 s9, s8
	s_mov_b32 s10, s8
	;; [unrolled: 1-line block ×14, first 2 shown]
	v_mov_b32_e32 v1, s8
	v_mov_b32_e32 v2, s9
	;; [unrolled: 1-line block ×16, first 2 shown]
	s_and_saveexec_b64 s[2:3], s[0:1]
	s_cbranch_execz .LBB3_5
; %bb.4:
	global_load_dword v1, v[17:18], off
	v_mov_b32_e32 v2, s8
	v_mov_b32_e32 v3, s8
	;; [unrolled: 1-line block ×14, first 2 shown]
.LBB3_5:
	s_or_b64 exec, exec, s[2:3]
	v_or_b32_e32 v16, 0x100, v0
	v_cmp_gt_u32_e32 vcc, s23, v16
	s_and_saveexec_b64 s[0:1], vcc
	s_cbranch_execz .LBB3_7
; %bb.6:
	global_load_dword v2, v[17:18], off offset:1024
.LBB3_7:
	s_or_b64 exec, exec, s[0:1]
	v_or_b32_e32 v16, 0x200, v0
	v_cmp_gt_u32_e32 vcc, s23, v16
	s_and_saveexec_b64 s[0:1], vcc
	s_cbranch_execz .LBB3_9
; %bb.8:
	global_load_dword v3, v[17:18], off offset:2048
.LBB3_9:
	;; [unrolled: 8-line block ×3, first 2 shown]
	s_or_b64 exec, exec, s[0:1]
	v_or_b32_e32 v16, 0x400, v0
	v_cmp_gt_u32_e32 vcc, s23, v16
	s_and_saveexec_b64 s[0:1], vcc
	s_cbranch_execz .LBB3_13
; %bb.12:
	v_add_co_u32_e32 v19, vcc, 0x1000, v17
	v_addc_co_u32_e32 v20, vcc, 0, v18, vcc
	global_load_dword v5, v[19:20], off
.LBB3_13:
	s_or_b64 exec, exec, s[0:1]
	v_or_b32_e32 v16, 0x500, v0
	v_cmp_gt_u32_e32 vcc, s23, v16
	s_and_saveexec_b64 s[0:1], vcc
	s_cbranch_execz .LBB3_15
; %bb.14:
	v_add_co_u32_e32 v19, vcc, 0x1000, v17
	v_addc_co_u32_e32 v20, vcc, 0, v18, vcc
	global_load_dword v6, v[19:20], off offset:1024
.LBB3_15:
	s_or_b64 exec, exec, s[0:1]
	v_or_b32_e32 v16, 0x600, v0
	v_cmp_gt_u32_e32 vcc, s23, v16
	s_and_saveexec_b64 s[0:1], vcc
	s_cbranch_execz .LBB3_17
; %bb.16:
	v_add_co_u32_e32 v19, vcc, 0x1000, v17
	v_addc_co_u32_e32 v20, vcc, 0, v18, vcc
	global_load_dword v7, v[19:20], off offset:2048
.LBB3_17:
	;; [unrolled: 10-line block ×3, first 2 shown]
	s_or_b64 exec, exec, s[0:1]
	v_or_b32_e32 v16, 0x800, v0
	v_cmp_gt_u32_e32 vcc, s23, v16
	s_and_saveexec_b64 s[0:1], vcc
	s_cbranch_execz .LBB3_21
; %bb.20:
	v_add_co_u32_e32 v19, vcc, 0x2000, v17
	v_addc_co_u32_e32 v20, vcc, 0, v18, vcc
	global_load_dword v9, v[19:20], off
.LBB3_21:
	s_or_b64 exec, exec, s[0:1]
	v_or_b32_e32 v16, 0x900, v0
	v_cmp_gt_u32_e32 vcc, s23, v16
	s_and_saveexec_b64 s[0:1], vcc
	s_cbranch_execz .LBB3_23
; %bb.22:
	v_add_co_u32_e32 v19, vcc, 0x2000, v17
	v_addc_co_u32_e32 v20, vcc, 0, v18, vcc
	global_load_dword v10, v[19:20], off offset:1024
.LBB3_23:
	s_or_b64 exec, exec, s[0:1]
	v_or_b32_e32 v16, 0xa00, v0
	v_cmp_gt_u32_e32 vcc, s23, v16
	s_and_saveexec_b64 s[0:1], vcc
	s_cbranch_execz .LBB3_25
; %bb.24:
	v_add_co_u32_e32 v19, vcc, 0x2000, v17
	v_addc_co_u32_e32 v20, vcc, 0, v18, vcc
	global_load_dword v11, v[19:20], off offset:2048
.LBB3_25:
	;; [unrolled: 10-line block ×3, first 2 shown]
	s_or_b64 exec, exec, s[0:1]
	v_or_b32_e32 v16, 0xc00, v0
	v_cmp_gt_u32_e32 vcc, s23, v16
	s_and_saveexec_b64 s[0:1], vcc
	s_cbranch_execz .LBB3_29
; %bb.28:
	v_add_co_u32_e32 v19, vcc, 0x3000, v17
	v_addc_co_u32_e32 v20, vcc, 0, v18, vcc
	global_load_dword v13, v[19:20], off
.LBB3_29:
	s_or_b64 exec, exec, s[0:1]
	v_or_b32_e32 v16, 0xd00, v0
	v_cmp_gt_u32_e32 vcc, s23, v16
	s_and_saveexec_b64 s[0:1], vcc
	s_cbranch_execz .LBB3_31
; %bb.30:
	v_add_co_u32_e32 v19, vcc, 0x3000, v17
	v_addc_co_u32_e32 v20, vcc, 0, v18, vcc
	global_load_dword v14, v[19:20], off offset:1024
.LBB3_31:
	s_or_b64 exec, exec, s[0:1]
	v_or_b32_e32 v16, 0xe00, v0
	v_cmp_gt_u32_e32 vcc, s23, v16
	s_and_saveexec_b64 s[0:1], vcc
	s_cbranch_execz .LBB3_33
; %bb.32:
	v_add_co_u32_e32 v15, vcc, 0x3000, v17
	v_addc_co_u32_e32 v16, vcc, 0, v18, vcc
	global_load_dword v15, v[15:16], off offset:2048
.LBB3_33:
	s_or_b64 exec, exec, s[0:1]
	s_waitcnt vmcnt(0)
	ds_write2st64_b32 v31, v1, v2 offset1:4
	ds_write2st64_b32 v31, v3, v4 offset0:8 offset1:12
	ds_write2st64_b32 v31, v5, v6 offset0:16 offset1:20
	;; [unrolled: 1-line block ×6, first 2 shown]
	ds_write_b32 v31, v15 offset:14336
	s_waitcnt lgkmcnt(0)
	s_barrier
.LBB3_34:
	v_mul_u32_u24_e32 v32, 60, v0
	ds_read2_b32 v[1:2], v32 offset1:1
	ds_read2_b32 v[29:30], v32 offset0:2 offset1:3
	ds_read2_b32 v[27:28], v32 offset0:4 offset1:5
	;; [unrolled: 1-line block ×6, first 2 shown]
	ds_read_b32 v33, v32 offset:56
	s_load_dwordx2 s[12:13], s[4:5], 0x28
	s_cmp_lg_u32 s6, 0
	v_lshrrev_b32_e32 v34, 3, v0
	v_cmp_gt_u32_e32 vcc, 64, v0
	s_waitcnt lgkmcnt(0)
	s_barrier
	s_cbranch_scc0 .LBB3_54
; %bb.35:
	v_add3_u32 v3, v2, v1, v29
	v_add3_u32 v3, v3, v30, v27
	;; [unrolled: 1-line block ×6, first 2 shown]
	v_and_b32_e32 v4, 28, v34
	v_add3_u32 v3, v3, v20, v33
	v_lshl_add_u32 v4, v0, 2, v4
	ds_write_b32 v4, v3
	s_waitcnt lgkmcnt(0)
	s_barrier
	s_and_saveexec_b64 s[2:3], vcc
	s_cbranch_execz .LBB3_37
; %bb.36:
	v_lshrrev_b32_e32 v4, 1, v0
	v_and_b32_e32 v4, 0x7c, v4
	v_lshl_add_u32 v8, v0, 4, v4
	ds_read2_b32 v[4:5], v8 offset1:1
	ds_read2_b32 v[6:7], v8 offset0:2 offset1:3
	v_mbcnt_lo_u32_b32 v9, -1, 0
	v_mbcnt_hi_u32_b32 v9, -1, v9
	v_and_b32_e32 v10, 15, v9
	s_waitcnt lgkmcnt(1)
	v_add_u32_e32 v11, v5, v4
	s_waitcnt lgkmcnt(0)
	v_add3_u32 v11, v11, v6, v7
	v_cmp_ne_u32_e64 s[0:1], 0, v10
	s_nop 0
	v_mov_b32_dpp v12, v11 row_shr:1 row_mask:0xf bank_mask:0xf
	v_cndmask_b32_e64 v12, 0, v12, s[0:1]
	v_add_u32_e32 v11, v12, v11
	v_cmp_lt_u32_e64 s[0:1], 1, v10
	s_nop 0
	v_mov_b32_dpp v12, v11 row_shr:2 row_mask:0xf bank_mask:0xf
	v_cndmask_b32_e64 v12, 0, v12, s[0:1]
	v_add_u32_e32 v11, v11, v12
	v_cmp_lt_u32_e64 s[0:1], 3, v10
	;; [unrolled: 5-line block ×3, first 2 shown]
	s_nop 0
	v_mov_b32_dpp v12, v11 row_shr:8 row_mask:0xf bank_mask:0xf
	v_cndmask_b32_e64 v10, 0, v12, s[0:1]
	v_add_u32_e32 v10, v11, v10
	v_bfe_i32 v12, v9, 4, 1
	v_cmp_lt_u32_e64 s[0:1], 31, v9
	v_mov_b32_dpp v11, v10 row_bcast:15 row_mask:0xf bank_mask:0xf
	v_and_b32_e32 v11, v12, v11
	v_add_u32_e32 v10, v10, v11
	v_and_b32_e32 v12, 64, v9
	s_nop 0
	v_mov_b32_dpp v11, v10 row_bcast:31 row_mask:0xf bank_mask:0xf
	v_cndmask_b32_e64 v11, 0, v11, s[0:1]
	v_add_u32_e32 v10, v10, v11
	v_add_u32_e32 v11, -1, v9
	v_cmp_lt_i32_e64 s[0:1], v11, v12
	v_cndmask_b32_e64 v9, v11, v9, s[0:1]
	v_lshlrev_b32_e32 v9, 2, v9
	ds_bpermute_b32 v9, v9, v10
	v_cmp_eq_u32_e64 s[0:1], 0, v0
	s_waitcnt lgkmcnt(0)
	v_add_u32_e32 v4, v9, v4
	v_cndmask_b32_e64 v3, v4, v3, s[0:1]
	v_add_u32_e32 v4, v3, v5
	ds_write2_b32 v8, v3, v4 offset1:1
	v_add_u32_e32 v3, v4, v6
	v_add_u32_e32 v4, v3, v7
	ds_write2_b32 v8, v3, v4 offset0:2 offset1:3
.LBB3_37:
	s_or_b64 exec, exec, s[2:3]
	v_mov_b32_e32 v12, 0
	v_cmp_eq_u32_e64 s[0:1], 0, v0
	v_cmp_ne_u32_e64 s[2:3], 0, v0
	s_waitcnt lgkmcnt(0)
	s_barrier
	s_and_saveexec_b64 s[8:9], s[2:3]
; %bb.38:
	v_add_u32_e32 v3, -1, v0
	v_lshrrev_b32_e32 v4, 3, v3
	v_and_b32_e32 v4, 0x1ffffffc, v4
	v_lshl_add_u32 v3, v3, 2, v4
	ds_read_b32 v12, v3
; %bb.39:
	s_or_b64 exec, exec, s[8:9]
	s_and_saveexec_b64 s[8:9], vcc
	s_cbranch_execz .LBB3_59
; %bb.40:
	v_mov_b32_e32 v8, 0
	ds_read_b32 v3, v8 offset:1048
	v_mbcnt_lo_u32_b32 v4, -1, 0
	v_mbcnt_hi_u32_b32 v5, -1, v4
	s_mov_b32 s15, 0
	v_cmp_eq_u32_e64 s[2:3], 0, v5
	s_and_saveexec_b64 s[10:11], s[2:3]
	s_cbranch_execz .LBB3_42
; %bb.41:
	s_add_i32 s14, s6, 64
	s_lshl_b64 s[14:15], s[14:15], 3
	s_add_u32 s14, s12, s14
	v_mov_b32_e32 v4, 1
	s_addc_u32 s15, s13, s15
	s_waitcnt lgkmcnt(0)
	global_store_dwordx2 v8, v[3:4], s[14:15]
.LBB3_42:
	s_or_b64 exec, exec, s[10:11]
	v_xad_u32 v4, v5, -1, s6
	v_add_u32_e32 v7, 64, v4
	v_lshlrev_b64 v[6:7], 3, v[7:8]
	v_mov_b32_e32 v10, s13
	v_add_co_u32_e32 v9, vcc, s12, v6
	v_addc_co_u32_e32 v10, vcc, v10, v7, vcc
	global_load_dwordx2 v[6:7], v[9:10], off glc
	s_waitcnt vmcnt(0)
	v_cmp_eq_u16_sdwa s[14:15], v7, v8 src0_sel:BYTE_0 src1_sel:DWORD
	s_and_saveexec_b64 s[10:11], s[14:15]
	s_cbranch_execz .LBB3_46
; %bb.43:
	s_mov_b64 s[14:15], 0
	v_mov_b32_e32 v8, 0
.LBB3_44:                               ; =>This Inner Loop Header: Depth=1
	global_load_dwordx2 v[6:7], v[9:10], off glc
	s_waitcnt vmcnt(0)
	v_cmp_ne_u16_sdwa s[16:17], v7, v8 src0_sel:BYTE_0 src1_sel:DWORD
	s_or_b64 s[14:15], s[16:17], s[14:15]
	s_andn2_b64 exec, exec, s[14:15]
	s_cbranch_execnz .LBB3_44
; %bb.45:
	s_or_b64 exec, exec, s[14:15]
.LBB3_46:
	s_or_b64 exec, exec, s[10:11]
	v_and_b32_e32 v36, 63, v5
	v_mov_b32_e32 v13, 2
	v_lshlrev_b64 v[8:9], v5, -1
	v_cmp_ne_u32_e32 vcc, 63, v36
	v_cmp_eq_u16_sdwa s[10:11], v7, v13 src0_sel:BYTE_0 src1_sel:DWORD
	v_addc_co_u32_e32 v14, vcc, 0, v5, vcc
	v_and_b32_e32 v10, s11, v9
	v_lshlrev_b32_e32 v14, 2, v14
	v_or_b32_e32 v10, 0x80000000, v10
	ds_bpermute_b32 v16, v14, v6
	v_and_b32_e32 v11, s10, v8
	v_ffbl_b32_e32 v10, v10
	v_add_u32_e32 v10, 32, v10
	v_ffbl_b32_e32 v11, v11
	v_min_u32_e32 v10, v11, v10
	v_add_u32_e32 v15, 1, v5
	v_cmp_le_u32_e32 vcc, v15, v10
	s_waitcnt lgkmcnt(0)
	v_cndmask_b32_e32 v11, 0, v16, vcc
	v_cmp_gt_u32_e32 vcc, 62, v36
	v_add_u32_e32 v6, v11, v6
	v_cndmask_b32_e64 v11, 0, 2, vcc
	v_add_lshl_u32 v16, v11, v5, 2
	ds_bpermute_b32 v11, v16, v6
	v_add_u32_e32 v17, 2, v5
	v_cmp_le_u32_e32 vcc, v17, v10
	v_add_u32_e32 v35, 4, v5
	v_add_u32_e32 v38, 8, v5
	s_waitcnt lgkmcnt(0)
	v_cndmask_b32_e32 v11, 0, v11, vcc
	v_cmp_gt_u32_e32 vcc, 60, v36
	v_add_u32_e32 v6, v6, v11
	v_cndmask_b32_e64 v11, 0, 4, vcc
	v_add_lshl_u32 v18, v11, v5, 2
	ds_bpermute_b32 v11, v18, v6
	v_cmp_le_u32_e32 vcc, v35, v10
	v_add_u32_e32 v40, 16, v5
	v_add_u32_e32 v42, 32, v5
	s_waitcnt lgkmcnt(0)
	v_cndmask_b32_e32 v11, 0, v11, vcc
	v_cmp_gt_u32_e32 vcc, 56, v36
	v_add_u32_e32 v6, v6, v11
	v_cndmask_b32_e64 v11, 0, 8, vcc
	v_add_lshl_u32 v37, v11, v5, 2
	ds_bpermute_b32 v11, v37, v6
	v_cmp_le_u32_e32 vcc, v38, v10
	s_waitcnt lgkmcnt(0)
	v_cndmask_b32_e32 v11, 0, v11, vcc
	v_cmp_gt_u32_e32 vcc, 48, v36
	v_add_u32_e32 v6, v6, v11
	v_cndmask_b32_e64 v11, 0, 16, vcc
	v_add_lshl_u32 v39, v11, v5, 2
	ds_bpermute_b32 v11, v39, v6
	v_cmp_le_u32_e32 vcc, v40, v10
	s_waitcnt lgkmcnt(0)
	v_cndmask_b32_e32 v11, 0, v11, vcc
	v_add_u32_e32 v6, v6, v11
	v_mov_b32_e32 v11, 0x80
	v_lshl_or_b32 v41, v5, 2, v11
	ds_bpermute_b32 v11, v41, v6
	v_cmp_le_u32_e32 vcc, v42, v10
	s_waitcnt lgkmcnt(0)
	v_cndmask_b32_e32 v5, 0, v11, vcc
	v_add_u32_e32 v6, v6, v5
	v_mov_b32_e32 v5, 0
	s_branch .LBB3_50
.LBB3_47:                               ;   in Loop: Header=BB3_50 Depth=1
	s_or_b64 exec, exec, s[14:15]
.LBB3_48:                               ;   in Loop: Header=BB3_50 Depth=1
	s_or_b64 exec, exec, s[10:11]
	v_cmp_eq_u16_sdwa s[10:11], v7, v13 src0_sel:BYTE_0 src1_sel:DWORD
	v_and_b32_e32 v10, s11, v9
	v_or_b32_e32 v10, 0x80000000, v10
	ds_bpermute_b32 v43, v14, v6
	v_and_b32_e32 v11, s10, v8
	v_ffbl_b32_e32 v10, v10
	v_add_u32_e32 v10, 32, v10
	v_ffbl_b32_e32 v11, v11
	v_min_u32_e32 v10, v11, v10
	v_cmp_le_u32_e32 vcc, v15, v10
	s_waitcnt lgkmcnt(0)
	v_cndmask_b32_e32 v11, 0, v43, vcc
	v_add_u32_e32 v6, v11, v6
	ds_bpermute_b32 v11, v16, v6
	v_cmp_le_u32_e32 vcc, v17, v10
	v_subrev_u32_e32 v4, 64, v4
	s_mov_b64 s[10:11], 0
	s_waitcnt lgkmcnt(0)
	v_cndmask_b32_e32 v11, 0, v11, vcc
	v_add_u32_e32 v6, v6, v11
	ds_bpermute_b32 v11, v18, v6
	v_cmp_le_u32_e32 vcc, v35, v10
	s_waitcnt lgkmcnt(0)
	v_cndmask_b32_e32 v11, 0, v11, vcc
	v_add_u32_e32 v6, v6, v11
	ds_bpermute_b32 v11, v37, v6
	v_cmp_le_u32_e32 vcc, v38, v10
	;; [unrolled: 5-line block ×4, first 2 shown]
	s_waitcnt lgkmcnt(0)
	v_cndmask_b32_e32 v10, 0, v11, vcc
	v_add3_u32 v6, v10, v36, v6
.LBB3_49:                               ;   in Loop: Header=BB3_50 Depth=1
	s_and_b64 vcc, exec, s[10:11]
	s_cbranch_vccnz .LBB3_55
.LBB3_50:                               ; =>This Loop Header: Depth=1
                                        ;     Child Loop BB3_53 Depth 2
	v_cmp_ne_u16_sdwa s[10:11], v7, v13 src0_sel:BYTE_0 src1_sel:DWORD
	v_mov_b32_e32 v36, v6
	s_cmp_lg_u64 s[10:11], exec
	s_mov_b64 s[10:11], -1
                                        ; implicit-def: $vgpr6
                                        ; implicit-def: $vgpr7
	s_cbranch_scc1 .LBB3_49
; %bb.51:                               ;   in Loop: Header=BB3_50 Depth=1
	v_lshlrev_b64 v[6:7], 3, v[4:5]
	v_mov_b32_e32 v11, s13
	v_add_co_u32_e32 v10, vcc, s12, v6
	v_addc_co_u32_e32 v11, vcc, v11, v7, vcc
	global_load_dwordx2 v[6:7], v[10:11], off glc
	s_waitcnt vmcnt(0)
	v_cmp_eq_u16_sdwa s[14:15], v7, v5 src0_sel:BYTE_0 src1_sel:DWORD
	s_and_saveexec_b64 s[10:11], s[14:15]
	s_cbranch_execz .LBB3_48
; %bb.52:                               ;   in Loop: Header=BB3_50 Depth=1
	s_mov_b64 s[14:15], 0
.LBB3_53:                               ;   Parent Loop BB3_50 Depth=1
                                        ; =>  This Inner Loop Header: Depth=2
	global_load_dwordx2 v[6:7], v[10:11], off glc
	s_waitcnt vmcnt(0)
	v_cmp_ne_u16_sdwa s[16:17], v7, v5 src0_sel:BYTE_0 src1_sel:DWORD
	s_or_b64 s[14:15], s[16:17], s[14:15]
	s_andn2_b64 exec, exec, s[14:15]
	s_cbranch_execnz .LBB3_53
	s_branch .LBB3_47
.LBB3_54:
                                        ; implicit-def: $vgpr3_vgpr4_vgpr5_vgpr6_vgpr7_vgpr8_vgpr9_vgpr10_vgpr11_vgpr12_vgpr13_vgpr14_vgpr15_vgpr16_vgpr17_vgpr18
	s_load_dwordx4 s[8:11], s[4:5], 0x38
	s_cbranch_execnz .LBB3_60
	s_branch .LBB3_69
.LBB3_55:
	s_and_saveexec_b64 s[10:11], s[2:3]
	s_cbranch_execz .LBB3_57
; %bb.56:
	s_add_i32 s2, s6, 64
	s_mov_b32 s3, 0
	s_lshl_b64 s[2:3], s[2:3], 3
	s_add_u32 s2, s12, s2
	v_add_u32_e32 v3, v36, v3
	v_mov_b32_e32 v4, 2
	s_addc_u32 s3, s13, s3
	v_mov_b32_e32 v5, 0
	global_store_dwordx2 v5, v[3:4], s[2:3]
.LBB3_57:
	s_or_b64 exec, exec, s[10:11]
	s_and_b64 exec, exec, s[0:1]
; %bb.58:
	v_mov_b32_e32 v3, 0
	ds_write_b32 v3, v36
.LBB3_59:
	s_or_b64 exec, exec, s[8:9]
	v_mov_b32_e32 v3, 0
	s_waitcnt vmcnt(0) lgkmcnt(0)
	s_barrier
	ds_read_b32 v3, v3
	s_waitcnt lgkmcnt(0)
	v_add3_u32 v3, v12, v1, v3
	v_add_u32_e32 v4, v3, v2
	v_add_u32_e32 v5, v4, v29
	;; [unrolled: 1-line block ×14, first 2 shown]
	s_load_dwordx4 s[8:11], s[4:5], 0x38
	s_branch .LBB3_69
.LBB3_60:
	s_load_dword s2, s[4:5], 0x48
	v_cmp_eq_u32_e32 vcc, 0, v0
	v_cmp_ne_u32_e64 s[0:1], 0, v0
	s_waitcnt lgkmcnt(0)
	s_bitcmp1_b32 s2, 0
	s_cselect_b64 s[2:3], -1, 0
	s_and_b64 s[6:7], vcc, s[2:3]
	s_and_saveexec_b64 s[2:3], s[6:7]
	s_cbranch_execz .LBB3_62
; %bb.61:
	v_mov_b32_e32 v3, 0
	global_load_dword v3, v3, s[8:9]
	s_waitcnt vmcnt(0)
	v_add_u32_e32 v1, v3, v1
.LBB3_62:
	s_or_b64 exec, exec, s[2:3]
	v_add_u32_e32 v16, v2, v1
	v_add_u32_e32 v3, v16, v29
	;; [unrolled: 1-line block ×13, first 2 shown]
	v_and_b32_e32 v17, 28, v34
	v_add_u32_e32 v15, v14, v33
	v_lshl_add_u32 v17, v0, 2, v17
	v_cmp_gt_u32_e64 s[2:3], 64, v0
	ds_write_b32 v17, v15
	s_waitcnt lgkmcnt(0)
	s_barrier
	s_and_saveexec_b64 s[6:7], s[2:3]
	s_cbranch_execz .LBB3_64
; %bb.63:
	v_lshrrev_b32_e32 v17, 1, v0
	v_and_b32_e32 v17, 0x7c, v17
	v_lshl_add_u32 v36, v0, 4, v17
	ds_read2_b32 v[17:18], v36 offset1:1
	ds_read2_b32 v[34:35], v36 offset0:2 offset1:3
	v_mbcnt_lo_u32_b32 v37, -1, 0
	v_mbcnt_hi_u32_b32 v37, -1, v37
	v_and_b32_e32 v38, 15, v37
	s_waitcnt lgkmcnt(1)
	v_add_u32_e32 v39, v18, v17
	s_waitcnt lgkmcnt(0)
	v_add3_u32 v39, v39, v34, v35
	v_cmp_ne_u32_e64 s[2:3], 0, v38
	s_nop 0
	v_mov_b32_dpp v40, v39 row_shr:1 row_mask:0xf bank_mask:0xf
	v_cndmask_b32_e64 v40, 0, v40, s[2:3]
	v_add_u32_e32 v39, v40, v39
	v_cmp_lt_u32_e64 s[2:3], 1, v38
	s_nop 0
	v_mov_b32_dpp v40, v39 row_shr:2 row_mask:0xf bank_mask:0xf
	v_cndmask_b32_e64 v40, 0, v40, s[2:3]
	v_add_u32_e32 v39, v39, v40
	v_cmp_lt_u32_e64 s[2:3], 3, v38
	;; [unrolled: 5-line block ×3, first 2 shown]
	s_nop 0
	v_mov_b32_dpp v40, v39 row_shr:8 row_mask:0xf bank_mask:0xf
	v_cndmask_b32_e64 v38, 0, v40, s[2:3]
	v_add_u32_e32 v38, v39, v38
	v_bfe_i32 v40, v37, 4, 1
	v_cmp_lt_u32_e64 s[2:3], 31, v37
	v_mov_b32_dpp v39, v38 row_bcast:15 row_mask:0xf bank_mask:0xf
	v_and_b32_e32 v39, v40, v39
	v_add_u32_e32 v38, v38, v39
	v_and_b32_e32 v40, 64, v37
	s_nop 0
	v_mov_b32_dpp v39, v38 row_bcast:31 row_mask:0xf bank_mask:0xf
	v_cndmask_b32_e64 v39, 0, v39, s[2:3]
	v_add_u32_e32 v38, v38, v39
	v_add_u32_e32 v39, -1, v37
	v_cmp_lt_i32_e64 s[2:3], v39, v40
	v_cndmask_b32_e64 v37, v39, v37, s[2:3]
	v_lshlrev_b32_e32 v37, 2, v37
	ds_bpermute_b32 v37, v37, v38
	s_waitcnt lgkmcnt(0)
	v_add_u32_e32 v17, v37, v17
	v_cndmask_b32_e32 v17, v17, v15, vcc
	v_add_u32_e32 v18, v17, v18
	ds_write2_b32 v36, v17, v18 offset1:1
	v_add_u32_e32 v17, v18, v34
	v_add_u32_e32 v18, v17, v35
	ds_write2_b32 v36, v17, v18 offset0:2 offset1:3
.LBB3_64:
	s_or_b64 exec, exec, s[6:7]
	s_waitcnt lgkmcnt(0)
	s_barrier
	s_and_saveexec_b64 s[2:3], s[0:1]
	s_cbranch_execz .LBB3_66
; %bb.65:
	v_add_u32_e32 v3, -1, v0
	v_lshrrev_b32_e32 v4, 3, v3
	v_and_b32_e32 v4, 0x1ffffffc, v4
	v_lshl_add_u32 v3, v3, 2, v4
	ds_read_b32 v3, v3
	s_waitcnt lgkmcnt(0)
	v_add_u32_e32 v1, v3, v1
	v_add_u32_e32 v16, v1, v2
	;; [unrolled: 1-line block ×15, first 2 shown]
.LBB3_66:
	s_or_b64 exec, exec, s[2:3]
	s_and_saveexec_b64 s[0:1], vcc
	s_cbranch_execz .LBB3_68
; %bb.67:
	v_mov_b32_e32 v2, 0
	ds_read_b32 v17, v2 offset:1048
	v_mov_b32_e32 v18, 2
	s_waitcnt lgkmcnt(0)
	global_store_dwordx2 v2, v[17:18], s[12:13] offset:512
.LBB3_68:
	s_or_b64 exec, exec, s[0:1]
	v_mov_b32_e32 v2, v16
	v_mov_b32_e32 v18, v16
	;; [unrolled: 1-line block ×17, first 2 shown]
.LBB3_69:
	s_lshl_b64 s[0:1], s[28:29], 3
	s_add_u32 s0, s24, s0
	s_addc_u32 s1, s25, s1
	s_mov_b64 s[2:3], -1
	s_and_b64 vcc, exec, s[26:27]
	v_lshlrev_b32_e32 v18, 3, v0
	s_waitcnt vmcnt(0) lgkmcnt(0)
	s_barrier
	s_cbranch_vccz .LBB3_71
; %bb.70:
	ds_write2_b32 v32, v3, v4 offset1:1
	ds_write2_b32 v32, v5, v6 offset0:2 offset1:3
	ds_write2_b32 v32, v7, v8 offset0:4 offset1:5
	;; [unrolled: 1-line block ×6, first 2 shown]
	ds_write_b32 v32, v17 offset:56
	s_waitcnt lgkmcnt(0)
	s_barrier
	ds_read2st64_b32 v[1:2], v31 offset1:4
	ds_read2st64_b32 v[19:20], v31 offset0:8 offset1:12
	ds_read2st64_b32 v[25:26], v31 offset0:16 offset1:20
	;; [unrolled: 1-line block ×4, first 2 shown]
	s_waitcnt lgkmcnt(4)
	v_ashrrev_i32_e32 v22, 31, v1
	v_mov_b32_e32 v21, v1
	v_ashrrev_i32_e32 v24, 31, v2
	v_mov_b32_e32 v23, v2
	s_waitcnt lgkmcnt(3)
	v_ashrrev_i32_e32 v2, 31, v19
	v_mov_b32_e32 v1, v19
	v_ashrrev_i32_e32 v28, 31, v20
	v_mov_b32_e32 v27, v20
	ds_read2st64_b32 v[19:20], v31 offset0:24 offset1:28
	s_waitcnt lgkmcnt(3)
	v_ashrrev_i32_e32 v30, 31, v25
	v_mov_b32_e32 v29, v25
	v_ashrrev_i32_e32 v34, 31, v26
	v_mov_b32_e32 v33, v26
	s_waitcnt lgkmcnt(0)
	v_ashrrev_i32_e32 v26, 31, v19
	v_mov_b32_e32 v25, v19
	v_ashrrev_i32_e32 v38, 31, v20
	v_mov_b32_e32 v37, v20
	ds_read2st64_b32 v[19:20], v31 offset0:40 offset1:44
	v_ashrrev_i32_e32 v48, 31, v43
	v_mov_b32_e32 v47, v43
	v_ashrrev_i32_e32 v50, 31, v44
	v_mov_b32_e32 v49, v44
	v_mov_b32_e32 v43, s1
	v_add_co_u32_e32 v44, vcc, s0, v18
	v_addc_co_u32_e32 v43, vcc, 0, v43, vcc
	s_movk_i32 s2, 0x1000
	v_ashrrev_i32_e32 v40, 31, v35
	v_mov_b32_e32 v39, v35
	v_ashrrev_i32_e32 v42, 31, v36
	v_mov_b32_e32 v41, v36
	s_waitcnt lgkmcnt(0)
	v_ashrrev_i32_e32 v36, 31, v19
	v_mov_b32_e32 v35, v19
	ds_read_b32 v19, v31 offset:14336
	global_store_dwordx2 v18, v[21:22], s[0:1]
	global_store_dwordx2 v18, v[23:24], s[0:1] offset:2048
	v_add_co_u32_e32 v21, vcc, s2, v44
	v_addc_co_u32_e32 v22, vcc, 0, v43, vcc
	s_movk_i32 s2, 0x2000
	v_add_co_u32_e32 v23, vcc, s2, v44
	v_addc_co_u32_e32 v24, vcc, 0, v43, vcc
	s_movk_i32 s2, 0x3000
	global_store_dwordx2 v[23:24], v[1:2], off offset:-4096
	global_store_dwordx2 v[21:22], v[27:28], off offset:2048
	global_store_dwordx2 v[23:24], v[29:30], off
	global_store_dwordx2 v[23:24], v[33:34], off offset:2048
	v_add_co_u32_e32 v1, vcc, s2, v44
	v_addc_co_u32_e32 v2, vcc, 0, v43, vcc
	s_movk_i32 s2, 0x4000
	v_add_co_u32_e32 v21, vcc, s2, v44
	v_addc_co_u32_e32 v22, vcc, 0, v43, vcc
	s_movk_i32 s2, 0x5000
	global_store_dwordx2 v[21:22], v[25:26], off offset:-4096
	global_store_dwordx2 v[1:2], v[37:38], off offset:2048
	global_store_dwordx2 v[21:22], v[39:40], off
	global_store_dwordx2 v[21:22], v[41:42], off offset:2048
	v_add_co_u32_e32 v1, vcc, s2, v44
	v_addc_co_u32_e32 v2, vcc, 0, v43, vcc
	v_ashrrev_i32_e32 v46, 31, v20
	v_mov_b32_e32 v45, v20
	global_store_dwordx2 v[1:2], v[35:36], off
	global_store_dwordx2 v[1:2], v[45:46], off offset:2048
	v_add_co_u32_e32 v1, vcc, 0x6000, v44
	v_addc_co_u32_e32 v2, vcc, 0, v43, vcc
	global_store_dwordx2 v[1:2], v[47:48], off
	global_store_dwordx2 v[1:2], v[49:50], off offset:2048
	v_add_co_u32_e32 v1, vcc, 0x7000, v44
	s_waitcnt lgkmcnt(0)
	v_ashrrev_i32_e32 v20, 31, v19
	v_addc_co_u32_e32 v2, vcc, 0, v43, vcc
	global_store_dwordx2 v[1:2], v[19:20], off
	s_mov_b64 s[2:3], 0
.LBB3_71:
	s_andn2_b64 vcc, exec, s[2:3]
	s_cbranch_vccnz .LBB3_157
; %bb.72:
	ds_write2_b32 v32, v3, v4 offset1:1
	ds_write2_b32 v32, v5, v6 offset0:2 offset1:3
	ds_write2_b32 v32, v7, v8 offset0:4 offset1:5
	;; [unrolled: 1-line block ×6, first 2 shown]
	ds_write_b32 v32, v17 offset:56
	s_waitcnt vmcnt(0) lgkmcnt(0)
	s_barrier
	ds_read2st64_b32 v[2:3], v31 offset1:4
	ds_read2st64_b32 v[6:7], v31 offset0:8 offset1:12
	ds_read2st64_b32 v[8:9], v31 offset0:16 offset1:20
	;; [unrolled: 1-line block ×6, first 2 shown]
	ds_read_b32 v16, v31 offset:14336
	v_mov_b32_e32 v17, s1
	v_add_co_u32_e32 v18, vcc, s0, v18
	v_addc_co_u32_e32 v19, vcc, 0, v17, vcc
	v_mov_b32_e32 v1, 0
	v_cmp_gt_u32_e32 vcc, s23, v0
	s_and_saveexec_b64 s[0:1], vcc
	s_cbranch_execz .LBB3_74
; %bb.73:
	s_waitcnt lgkmcnt(7)
	v_ashrrev_i32_e32 v21, 31, v2
	v_mov_b32_e32 v20, v2
	global_store_dwordx2 v[18:19], v[20:21], off
.LBB3_74:
	s_or_b64 exec, exec, s[0:1]
	v_or_b32_e32 v17, 0x100, v0
	v_cmp_gt_u32_e32 vcc, s23, v17
	s_and_saveexec_b64 s[0:1], vcc
	s_cbranch_execz .LBB3_76
; %bb.75:
	s_waitcnt lgkmcnt(7)
	v_ashrrev_i32_e32 v21, 31, v3
	v_mov_b32_e32 v20, v3
	global_store_dwordx2 v[18:19], v[20:21], off offset:2048
.LBB3_76:
	s_or_b64 exec, exec, s[0:1]
	v_or_b32_e32 v17, 0x200, v0
	v_cmp_gt_u32_e32 vcc, s23, v17
	s_and_saveexec_b64 s[0:1], vcc
	s_cbranch_execz .LBB3_78
; %bb.77:
	v_add_co_u32_e32 v22, vcc, 0x1000, v18
	s_waitcnt lgkmcnt(6)
	v_ashrrev_i32_e32 v21, 31, v6
	v_mov_b32_e32 v20, v6
	v_addc_co_u32_e32 v23, vcc, 0, v19, vcc
	global_store_dwordx2 v[22:23], v[20:21], off
.LBB3_78:
	s_or_b64 exec, exec, s[0:1]
	v_or_b32_e32 v17, 0x300, v0
	v_cmp_gt_u32_e32 vcc, s23, v17
	s_and_saveexec_b64 s[0:1], vcc
	s_cbranch_execz .LBB3_80
; %bb.79:
	v_add_co_u32_e32 v22, vcc, 0x1000, v18
	s_waitcnt lgkmcnt(6)
	v_ashrrev_i32_e32 v21, 31, v7
	v_mov_b32_e32 v20, v7
	v_addc_co_u32_e32 v23, vcc, 0, v19, vcc
	global_store_dwordx2 v[22:23], v[20:21], off offset:2048
.LBB3_80:
	s_or_b64 exec, exec, s[0:1]
	v_or_b32_e32 v17, 0x400, v0
	v_cmp_gt_u32_e32 vcc, s23, v17
	s_and_saveexec_b64 s[0:1], vcc
	s_cbranch_execz .LBB3_82
; %bb.81:
	v_add_co_u32_e32 v22, vcc, 0x2000, v18
	s_waitcnt lgkmcnt(5)
	v_ashrrev_i32_e32 v21, 31, v8
	v_mov_b32_e32 v20, v8
	v_addc_co_u32_e32 v23, vcc, 0, v19, vcc
	global_store_dwordx2 v[22:23], v[20:21], off
.LBB3_82:
	s_or_b64 exec, exec, s[0:1]
	v_or_b32_e32 v17, 0x500, v0
	v_cmp_gt_u32_e32 vcc, s23, v17
	s_and_saveexec_b64 s[0:1], vcc
	s_cbranch_execz .LBB3_84
; %bb.83:
	v_add_co_u32_e32 v22, vcc, 0x2000, v18
	s_waitcnt lgkmcnt(5)
	v_ashrrev_i32_e32 v21, 31, v9
	v_mov_b32_e32 v20, v9
	v_addc_co_u32_e32 v23, vcc, 0, v19, vcc
	global_store_dwordx2 v[22:23], v[20:21], off offset:2048
.LBB3_84:
	;; [unrolled: 26-line block ×6, first 2 shown]
	s_or_b64 exec, exec, s[0:1]
	v_or_b32_e32 v17, 0xe00, v0
	v_cmp_gt_u32_e32 vcc, s23, v17
	s_and_saveexec_b64 s[0:1], vcc
	s_cbranch_execz .LBB3_102
; %bb.101:
	v_add_co_u32_e32 v18, vcc, 0x7000, v18
	s_waitcnt lgkmcnt(0)
	v_ashrrev_i32_e32 v17, 31, v16
	v_addc_co_u32_e32 v19, vcc, 0, v19, vcc
	global_store_dwordx2 v[18:19], v[16:17], off
.LBB3_102:
	s_or_b64 exec, exec, s[0:1]
	s_load_dword s0, s[4:5], 0x48
	s_waitcnt lgkmcnt(0)
	s_bfe_u32 s0, s0, 0x10008
	s_cmp_eq_u32 s0, 0
	s_cbranch_scc1 .LBB3_157
; %bb.103:
	s_add_u32 s0, s23, -1
	s_addc_u32 s1, s30, -1
	s_mul_i32 s5, s1, 0x88888889
	s_mul_hi_u32 s6, s0, 0x88888889
	s_mul_hi_u32 s4, s1, 0x88888889
	s_add_u32 s5, s5, s6
	s_mul_i32 s3, s0, 0x88888888
	s_addc_u32 s4, s4, 0
	s_mul_hi_u32 s2, s0, 0x88888888
	s_add_u32 s3, s3, s5
	s_addc_u32 s2, s2, 0
	s_add_u32 s2, s4, s2
	s_addc_u32 s3, 0, 0
	s_mul_i32 s5, s1, 0x88888888
	s_mul_hi_u32 s4, s1, 0x88888888
	s_add_u32 s2, s5, s2
	s_addc_u32 s3, s4, s3
	s_lshr_b64 s[2:3], s[2:3], 3
	v_cmp_eq_u64_e32 vcc, s[2:3], v[0:1]
	s_and_saveexec_b64 s[2:3], vcc
	s_cbranch_execz .LBB3_157
; %bb.104:
	v_mul_hi_u32_u24_e32 v1, 15, v0
	v_mul_u32_u24_e32 v0, 15, v0
	v_mov_b32_e32 v17, s1
	v_sub_co_u32_e32 v0, vcc, s0, v0
	v_subb_co_u32_e32 v1, vcc, v17, v1, vcc
	v_cmp_lt_i64_e32 vcc, 7, v[0:1]
	s_and_saveexec_b64 s[0:1], vcc
	s_xor_b64 s[0:1], exec, s[0:1]
	s_cbranch_execz .LBB3_130
; %bb.105:
	v_cmp_lt_i64_e32 vcc, 10, v[0:1]
	s_and_saveexec_b64 s[2:3], vcc
	s_xor_b64 s[2:3], exec, s[2:3]
	s_cbranch_execz .LBB3_119
; %bb.106:
	;; [unrolled: 5-line block ×4, first 2 shown]
	v_mov_b32_e32 v0, 0
	global_store_dword v0, v16, s[10:11]
                                        ; implicit-def: $vgpr14_vgpr15
.LBB3_109:
	s_andn2_saveexec_b64 s[6:7], s[6:7]
	s_cbranch_execz .LBB3_111
; %bb.110:
	v_mov_b32_e32 v0, 0
	global_store_dword v0, v15, s[10:11]
.LBB3_111:
	s_or_b64 exec, exec, s[6:7]
                                        ; implicit-def: $vgpr4_vgpr5
                                        ; implicit-def: $vgpr0_vgpr1
                                        ; implicit-def: $vgpr14_vgpr15
.LBB3_112:
	s_andn2_saveexec_b64 s[4:5], s[4:5]
	s_cbranch_execz .LBB3_118
; %bb.113:
	v_cmp_lt_i64_e32 vcc, 11, v[0:1]
	s_and_saveexec_b64 s[6:7], vcc
	s_xor_b64 s[6:7], exec, s[6:7]
	s_cbranch_execz .LBB3_115
; %bb.114:
	v_mov_b32_e32 v0, 0
	global_store_dword v0, v14, s[10:11]
                                        ; implicit-def: $vgpr4_vgpr5
.LBB3_115:
	s_andn2_saveexec_b64 s[6:7], s[6:7]
	s_cbranch_execz .LBB3_117
; %bb.116:
	v_mov_b32_e32 v0, 0
	global_store_dword v0, v5, s[10:11]
.LBB3_117:
	s_or_b64 exec, exec, s[6:7]
.LBB3_118:
	s_or_b64 exec, exec, s[4:5]
                                        ; implicit-def: $vgpr10_vgpr11
                                        ; implicit-def: $vgpr0_vgpr1
                                        ; implicit-def: $vgpr4_vgpr5
.LBB3_119:
	s_andn2_saveexec_b64 s[2:3], s[2:3]
	s_cbranch_execz .LBB3_129
; %bb.120:
	v_cmp_lt_i64_e32 vcc, 8, v[0:1]
	s_and_saveexec_b64 s[4:5], vcc
	s_xor_b64 s[4:5], exec, s[4:5]
	s_cbranch_execz .LBB3_126
; %bb.121:
	v_cmp_lt_i64_e32 vcc, 9, v[0:1]
	s_and_saveexec_b64 s[6:7], vcc
	s_xor_b64 s[6:7], exec, s[6:7]
	s_cbranch_execz .LBB3_123
; %bb.122:
	v_mov_b32_e32 v0, 0
	global_store_dword v0, v4, s[10:11]
                                        ; implicit-def: $vgpr10_vgpr11
.LBB3_123:
	s_andn2_saveexec_b64 s[6:7], s[6:7]
	s_cbranch_execz .LBB3_125
; %bb.124:
	v_mov_b32_e32 v0, 0
	global_store_dword v0, v11, s[10:11]
.LBB3_125:
	s_or_b64 exec, exec, s[6:7]
                                        ; implicit-def: $vgpr10_vgpr11
.LBB3_126:
	s_andn2_saveexec_b64 s[4:5], s[4:5]
	s_cbranch_execz .LBB3_128
; %bb.127:
	v_mov_b32_e32 v0, 0
	global_store_dword v0, v10, s[10:11]
.LBB3_128:
	s_or_b64 exec, exec, s[4:5]
.LBB3_129:
	s_or_b64 exec, exec, s[2:3]
                                        ; implicit-def: $vgpr0_vgpr1
                                        ; implicit-def: $vgpr2_vgpr3
                                        ; implicit-def: $vgpr8_vgpr9
                                        ; implicit-def: $vgpr6_vgpr7
                                        ; implicit-def: $vgpr12_vgpr13
.LBB3_130:
	s_andn2_saveexec_b64 s[0:1], s[0:1]
	s_cbranch_execz .LBB3_157
; %bb.131:
	v_cmp_lt_i64_e32 vcc, 3, v[0:1]
	s_and_saveexec_b64 s[0:1], vcc
	s_xor_b64 s[0:1], exec, s[0:1]
	s_cbranch_execz .LBB3_145
; %bb.132:
	v_cmp_lt_i64_e32 vcc, 5, v[0:1]
	s_and_saveexec_b64 s[2:3], vcc
	s_xor_b64 s[2:3], exec, s[2:3]
	;; [unrolled: 5-line block ×3, first 2 shown]
	s_cbranch_execz .LBB3_135
; %bb.134:
	v_mov_b32_e32 v0, 0
	global_store_dword v0, v13, s[10:11]
                                        ; implicit-def: $vgpr12_vgpr13
.LBB3_135:
	s_andn2_saveexec_b64 s[4:5], s[4:5]
	s_cbranch_execz .LBB3_137
; %bb.136:
	v_mov_b32_e32 v0, 0
	global_store_dword v0, v12, s[10:11]
.LBB3_137:
	s_or_b64 exec, exec, s[4:5]
                                        ; implicit-def: $vgpr8_vgpr9
                                        ; implicit-def: $vgpr0_vgpr1
.LBB3_138:
	s_andn2_saveexec_b64 s[2:3], s[2:3]
	s_cbranch_execz .LBB3_144
; %bb.139:
	v_cmp_lt_i64_e32 vcc, 4, v[0:1]
	s_and_saveexec_b64 s[4:5], vcc
	s_xor_b64 s[4:5], exec, s[4:5]
	s_cbranch_execz .LBB3_141
; %bb.140:
	v_mov_b32_e32 v0, 0
	global_store_dword v0, v9, s[10:11]
                                        ; implicit-def: $vgpr8_vgpr9
.LBB3_141:
	s_andn2_saveexec_b64 s[4:5], s[4:5]
	s_cbranch_execz .LBB3_143
; %bb.142:
	v_mov_b32_e32 v0, 0
	global_store_dword v0, v8, s[10:11]
.LBB3_143:
	s_or_b64 exec, exec, s[4:5]
.LBB3_144:
	s_or_b64 exec, exec, s[2:3]
                                        ; implicit-def: $vgpr0_vgpr1
                                        ; implicit-def: $vgpr2_vgpr3
                                        ; implicit-def: $vgpr6_vgpr7
.LBB3_145:
	s_andn2_saveexec_b64 s[0:1], s[0:1]
	s_cbranch_execz .LBB3_157
; %bb.146:
	v_cmp_lt_i64_e32 vcc, 1, v[0:1]
	s_and_saveexec_b64 s[0:1], vcc
	s_xor_b64 s[0:1], exec, s[0:1]
	s_cbranch_execz .LBB3_152
; %bb.147:
	v_cmp_lt_i64_e32 vcc, 2, v[0:1]
	s_and_saveexec_b64 s[2:3], vcc
	s_xor_b64 s[2:3], exec, s[2:3]
	s_cbranch_execz .LBB3_149
; %bb.148:
	v_mov_b32_e32 v0, 0
	global_store_dword v0, v7, s[10:11]
                                        ; implicit-def: $vgpr6_vgpr7
.LBB3_149:
	s_andn2_saveexec_b64 s[2:3], s[2:3]
	s_cbranch_execz .LBB3_151
; %bb.150:
	v_mov_b32_e32 v0, 0
	global_store_dword v0, v6, s[10:11]
.LBB3_151:
	s_or_b64 exec, exec, s[2:3]
                                        ; implicit-def: $vgpr2_vgpr3
                                        ; implicit-def: $vgpr0_vgpr1
.LBB3_152:
	s_andn2_saveexec_b64 s[0:1], s[0:1]
	s_cbranch_execz .LBB3_157
; %bb.153:
	v_cmp_ne_u64_e32 vcc, 1, v[0:1]
	s_and_saveexec_b64 s[0:1], vcc
	s_xor_b64 s[0:1], exec, s[0:1]
	s_cbranch_execz .LBB3_155
; %bb.154:
	v_mov_b32_e32 v0, 0
	global_store_dword v0, v2, s[10:11]
                                        ; implicit-def: $vgpr2_vgpr3
.LBB3_155:
	s_andn2_saveexec_b64 s[0:1], s[0:1]
	s_cbranch_execz .LBB3_157
; %bb.156:
	v_mov_b32_e32 v0, 0
	global_store_dword v0, v3, s[10:11]
.LBB3_157:
	s_endpgm
	.section	.rodata,"a",@progbits
	.p2align	6, 0x0
	.amdhsa_kernel _ZN7rocprim6detail20lookback_scan_kernelILNS0_25lookback_scan_determinismE0ELb0ENS0_19wrapped_scan_configINS_14default_configEiEEN6hipcub22TransformInputIteratorIiNS6_6CastOpIiEEPilEEPlNS6_3SumEiiNS0_19lookback_scan_stateIiLb0ELb1EEEEEvT2_T3_mT5_T4_T7_jPT6_SM_bb
		.amdhsa_group_segment_fixed_size 15360
		.amdhsa_private_segment_fixed_size 0
		.amdhsa_kernarg_size 76
		.amdhsa_user_sgpr_count 6
		.amdhsa_user_sgpr_private_segment_buffer 1
		.amdhsa_user_sgpr_dispatch_ptr 0
		.amdhsa_user_sgpr_queue_ptr 0
		.amdhsa_user_sgpr_kernarg_segment_ptr 1
		.amdhsa_user_sgpr_dispatch_id 0
		.amdhsa_user_sgpr_flat_scratch_init 0
		.amdhsa_user_sgpr_private_segment_size 0
		.amdhsa_uses_dynamic_stack 0
		.amdhsa_system_sgpr_private_segment_wavefront_offset 0
		.amdhsa_system_sgpr_workgroup_id_x 1
		.amdhsa_system_sgpr_workgroup_id_y 0
		.amdhsa_system_sgpr_workgroup_id_z 0
		.amdhsa_system_sgpr_workgroup_info 0
		.amdhsa_system_vgpr_workitem_id 0
		.amdhsa_next_free_vgpr 51
		.amdhsa_next_free_sgpr 98
		.amdhsa_reserve_vcc 1
		.amdhsa_reserve_flat_scratch 0
		.amdhsa_float_round_mode_32 0
		.amdhsa_float_round_mode_16_64 0
		.amdhsa_float_denorm_mode_32 3
		.amdhsa_float_denorm_mode_16_64 3
		.amdhsa_dx10_clamp 1
		.amdhsa_ieee_mode 1
		.amdhsa_fp16_overflow 0
		.amdhsa_exception_fp_ieee_invalid_op 0
		.amdhsa_exception_fp_denorm_src 0
		.amdhsa_exception_fp_ieee_div_zero 0
		.amdhsa_exception_fp_ieee_overflow 0
		.amdhsa_exception_fp_ieee_underflow 0
		.amdhsa_exception_fp_ieee_inexact 0
		.amdhsa_exception_int_div_zero 0
	.end_amdhsa_kernel
	.section	.text._ZN7rocprim6detail20lookback_scan_kernelILNS0_25lookback_scan_determinismE0ELb0ENS0_19wrapped_scan_configINS_14default_configEiEEN6hipcub22TransformInputIteratorIiNS6_6CastOpIiEEPilEEPlNS6_3SumEiiNS0_19lookback_scan_stateIiLb0ELb1EEEEEvT2_T3_mT5_T4_T7_jPT6_SM_bb,"axG",@progbits,_ZN7rocprim6detail20lookback_scan_kernelILNS0_25lookback_scan_determinismE0ELb0ENS0_19wrapped_scan_configINS_14default_configEiEEN6hipcub22TransformInputIteratorIiNS6_6CastOpIiEEPilEEPlNS6_3SumEiiNS0_19lookback_scan_stateIiLb0ELb1EEEEEvT2_T3_mT5_T4_T7_jPT6_SM_bb,comdat
.Lfunc_end3:
	.size	_ZN7rocprim6detail20lookback_scan_kernelILNS0_25lookback_scan_determinismE0ELb0ENS0_19wrapped_scan_configINS_14default_configEiEEN6hipcub22TransformInputIteratorIiNS6_6CastOpIiEEPilEEPlNS6_3SumEiiNS0_19lookback_scan_stateIiLb0ELb1EEEEEvT2_T3_mT5_T4_T7_jPT6_SM_bb, .Lfunc_end3-_ZN7rocprim6detail20lookback_scan_kernelILNS0_25lookback_scan_determinismE0ELb0ENS0_19wrapped_scan_configINS_14default_configEiEEN6hipcub22TransformInputIteratorIiNS6_6CastOpIiEEPilEEPlNS6_3SumEiiNS0_19lookback_scan_stateIiLb0ELb1EEEEEvT2_T3_mT5_T4_T7_jPT6_SM_bb
                                        ; -- End function
	.set _ZN7rocprim6detail20lookback_scan_kernelILNS0_25lookback_scan_determinismE0ELb0ENS0_19wrapped_scan_configINS_14default_configEiEEN6hipcub22TransformInputIteratorIiNS6_6CastOpIiEEPilEEPlNS6_3SumEiiNS0_19lookback_scan_stateIiLb0ELb1EEEEEvT2_T3_mT5_T4_T7_jPT6_SM_bb.num_vgpr, 51
	.set _ZN7rocprim6detail20lookback_scan_kernelILNS0_25lookback_scan_determinismE0ELb0ENS0_19wrapped_scan_configINS_14default_configEiEEN6hipcub22TransformInputIteratorIiNS6_6CastOpIiEEPilEEPlNS6_3SumEiiNS0_19lookback_scan_stateIiLb0ELb1EEEEEvT2_T3_mT5_T4_T7_jPT6_SM_bb.num_agpr, 0
	.set _ZN7rocprim6detail20lookback_scan_kernelILNS0_25lookback_scan_determinismE0ELb0ENS0_19wrapped_scan_configINS_14default_configEiEEN6hipcub22TransformInputIteratorIiNS6_6CastOpIiEEPilEEPlNS6_3SumEiiNS0_19lookback_scan_stateIiLb0ELb1EEEEEvT2_T3_mT5_T4_T7_jPT6_SM_bb.numbered_sgpr, 31
	.set _ZN7rocprim6detail20lookback_scan_kernelILNS0_25lookback_scan_determinismE0ELb0ENS0_19wrapped_scan_configINS_14default_configEiEEN6hipcub22TransformInputIteratorIiNS6_6CastOpIiEEPilEEPlNS6_3SumEiiNS0_19lookback_scan_stateIiLb0ELb1EEEEEvT2_T3_mT5_T4_T7_jPT6_SM_bb.num_named_barrier, 0
	.set _ZN7rocprim6detail20lookback_scan_kernelILNS0_25lookback_scan_determinismE0ELb0ENS0_19wrapped_scan_configINS_14default_configEiEEN6hipcub22TransformInputIteratorIiNS6_6CastOpIiEEPilEEPlNS6_3SumEiiNS0_19lookback_scan_stateIiLb0ELb1EEEEEvT2_T3_mT5_T4_T7_jPT6_SM_bb.private_seg_size, 0
	.set _ZN7rocprim6detail20lookback_scan_kernelILNS0_25lookback_scan_determinismE0ELb0ENS0_19wrapped_scan_configINS_14default_configEiEEN6hipcub22TransformInputIteratorIiNS6_6CastOpIiEEPilEEPlNS6_3SumEiiNS0_19lookback_scan_stateIiLb0ELb1EEEEEvT2_T3_mT5_T4_T7_jPT6_SM_bb.uses_vcc, 1
	.set _ZN7rocprim6detail20lookback_scan_kernelILNS0_25lookback_scan_determinismE0ELb0ENS0_19wrapped_scan_configINS_14default_configEiEEN6hipcub22TransformInputIteratorIiNS6_6CastOpIiEEPilEEPlNS6_3SumEiiNS0_19lookback_scan_stateIiLb0ELb1EEEEEvT2_T3_mT5_T4_T7_jPT6_SM_bb.uses_flat_scratch, 0
	.set _ZN7rocprim6detail20lookback_scan_kernelILNS0_25lookback_scan_determinismE0ELb0ENS0_19wrapped_scan_configINS_14default_configEiEEN6hipcub22TransformInputIteratorIiNS6_6CastOpIiEEPilEEPlNS6_3SumEiiNS0_19lookback_scan_stateIiLb0ELb1EEEEEvT2_T3_mT5_T4_T7_jPT6_SM_bb.has_dyn_sized_stack, 0
	.set _ZN7rocprim6detail20lookback_scan_kernelILNS0_25lookback_scan_determinismE0ELb0ENS0_19wrapped_scan_configINS_14default_configEiEEN6hipcub22TransformInputIteratorIiNS6_6CastOpIiEEPilEEPlNS6_3SumEiiNS0_19lookback_scan_stateIiLb0ELb1EEEEEvT2_T3_mT5_T4_T7_jPT6_SM_bb.has_recursion, 0
	.set _ZN7rocprim6detail20lookback_scan_kernelILNS0_25lookback_scan_determinismE0ELb0ENS0_19wrapped_scan_configINS_14default_configEiEEN6hipcub22TransformInputIteratorIiNS6_6CastOpIiEEPilEEPlNS6_3SumEiiNS0_19lookback_scan_stateIiLb0ELb1EEEEEvT2_T3_mT5_T4_T7_jPT6_SM_bb.has_indirect_call, 0
	.section	.AMDGPU.csdata,"",@progbits
; Kernel info:
; codeLenInByte = 5876
; TotalNumSgprs: 35
; NumVgprs: 51
; ScratchSize: 0
; MemoryBound: 0
; FloatMode: 240
; IeeeMode: 1
; LDSByteSize: 15360 bytes/workgroup (compile time only)
; SGPRBlocks: 12
; VGPRBlocks: 12
; NumSGPRsForWavesPerEU: 102
; NumVGPRsForWavesPerEU: 51
; Occupancy: 4
; WaveLimiterHint : 1
; COMPUTE_PGM_RSRC2:SCRATCH_EN: 0
; COMPUTE_PGM_RSRC2:USER_SGPR: 6
; COMPUTE_PGM_RSRC2:TRAP_HANDLER: 0
; COMPUTE_PGM_RSRC2:TGID_X_EN: 1
; COMPUTE_PGM_RSRC2:TGID_Y_EN: 0
; COMPUTE_PGM_RSRC2:TGID_Z_EN: 0
; COMPUTE_PGM_RSRC2:TIDIG_COMP_CNT: 0
	.section	.text._ZN7rocprim6detail16transform_kernelINS0_24wrapped_transform_configINS_14default_configEiEEiPiS5_NS_8identityIiEEEEvT1_mT2_T3_,"axG",@progbits,_ZN7rocprim6detail16transform_kernelINS0_24wrapped_transform_configINS_14default_configEiEEiPiS5_NS_8identityIiEEEEvT1_mT2_T3_,comdat
	.protected	_ZN7rocprim6detail16transform_kernelINS0_24wrapped_transform_configINS_14default_configEiEEiPiS5_NS_8identityIiEEEEvT1_mT2_T3_ ; -- Begin function _ZN7rocprim6detail16transform_kernelINS0_24wrapped_transform_configINS_14default_configEiEEiPiS5_NS_8identityIiEEEEvT1_mT2_T3_
	.globl	_ZN7rocprim6detail16transform_kernelINS0_24wrapped_transform_configINS_14default_configEiEEiPiS5_NS_8identityIiEEEEvT1_mT2_T3_
	.p2align	8
	.type	_ZN7rocprim6detail16transform_kernelINS0_24wrapped_transform_configINS_14default_configEiEEiPiS5_NS_8identityIiEEEEvT1_mT2_T3_,@function
_ZN7rocprim6detail16transform_kernelINS0_24wrapped_transform_configINS_14default_configEiEEiPiS5_NS_8identityIiEEEEvT1_mT2_T3_: ; @_ZN7rocprim6detail16transform_kernelINS0_24wrapped_transform_configINS_14default_configEiEEiPiS5_NS_8identityIiEEEEvT1_mT2_T3_
; %bb.0:
	s_load_dword s7, s[4:5], 0x20
	s_load_dwordx4 s[0:3], s[4:5], 0x0
	s_load_dwordx2 s[8:9], s[4:5], 0x10
	s_lshl_b32 s10, s6, 11
	s_mov_b32 s11, 0
	s_waitcnt lgkmcnt(0)
	s_add_i32 s7, s7, -1
	s_lshl_b64 s[4:5], s[10:11], 2
	s_add_u32 s0, s0, s4
	s_addc_u32 s1, s1, s5
	v_lshlrev_b32_e32 v5, 2, v0
	v_mov_b32_e32 v2, s1
	v_add_co_u32_e32 v1, vcc, s0, v5
	s_cmp_lg_u32 s6, s7
	v_addc_co_u32_e32 v2, vcc, 0, v2, vcc
	s_cbranch_scc0 .LBB4_2
; %bb.1:
	v_add_co_u32_e32 v3, vcc, 0x1000, v1
	global_load_dword v6, v[1:2], off
	v_addc_co_u32_e32 v4, vcc, 0, v2, vcc
	global_load_dword v3, v[3:4], off
	s_add_u32 s0, s8, s4
	s_addc_u32 s1, s9, s5
	s_mov_b64 s[6:7], -1
	s_waitcnt vmcnt(1)
	global_store_dword v5, v6, s[0:1]
	s_cbranch_execz .LBB4_3
	s_branch .LBB4_10
.LBB4_2:
	s_mov_b64 s[6:7], 0
                                        ; implicit-def: $vgpr3
.LBB4_3:
	s_sub_i32 s10, s2, s10
	s_waitcnt vmcnt(1)
	v_mov_b32_e32 v3, 0
	v_cmp_gt_u32_e64 s[0:1], s10, v0
	v_mov_b32_e32 v4, v3
	s_and_saveexec_b64 s[2:3], s[0:1]
	s_cbranch_execz .LBB4_5
; %bb.4:
	global_load_dword v6, v[1:2], off
	v_mov_b32_e32 v7, v3
	s_waitcnt vmcnt(0)
	v_mov_b32_e32 v3, v6
	v_mov_b32_e32 v4, v7
.LBB4_5:
	s_or_b64 exec, exec, s[2:3]
	v_or_b32_e32 v0, 0x400, v0
	v_cmp_gt_u32_e64 s[2:3], s10, v0
	s_and_saveexec_b64 s[10:11], s[2:3]
	s_cbranch_execnz .LBB4_13
; %bb.6:
	s_or_b64 exec, exec, s[10:11]
	v_cndmask_b32_e64 v0, 0, v3, s[0:1]
	s_and_saveexec_b64 s[10:11], s[0:1]
	s_cbranch_execnz .LBB4_14
.LBB4_7:
	s_or_b64 exec, exec, s[10:11]
                                        ; implicit-def: $vgpr3
	s_and_saveexec_b64 s[0:1], s[2:3]
	s_cbranch_execz .LBB4_9
.LBB4_8:
	s_waitcnt vmcnt(0)
	v_cndmask_b32_e64 v3, 0, v4, s[2:3]
	s_or_b64 s[6:7], s[6:7], exec
.LBB4_9:
	s_or_b64 exec, exec, s[0:1]
.LBB4_10:
	s_and_saveexec_b64 s[0:1], s[6:7]
	s_cbranch_execnz .LBB4_12
; %bb.11:
	s_endpgm
.LBB4_12:
	s_add_u32 s0, s8, s4
	s_addc_u32 s1, s9, s5
	v_mov_b32_e32 v0, s1
	v_add_co_u32_e32 v1, vcc, s0, v5
	v_addc_co_u32_e32 v2, vcc, 0, v0, vcc
	v_add_co_u32_e32 v0, vcc, 0x1000, v1
	v_addc_co_u32_e32 v1, vcc, 0, v2, vcc
	s_waitcnt vmcnt(1)
	global_store_dword v[0:1], v3, off
	s_endpgm
.LBB4_13:
	v_add_co_u32_e32 v0, vcc, 0x1000, v1
	v_addc_co_u32_e32 v1, vcc, 0, v2, vcc
	global_load_dword v4, v[0:1], off
	s_or_b64 exec, exec, s[10:11]
	v_cndmask_b32_e64 v0, 0, v3, s[0:1]
	s_and_saveexec_b64 s[10:11], s[0:1]
	s_cbranch_execz .LBB4_7
.LBB4_14:
	s_add_u32 s0, s8, s4
	s_addc_u32 s1, s9, s5
	global_store_dword v5, v0, s[0:1]
	s_or_b64 exec, exec, s[10:11]
                                        ; implicit-def: $vgpr3
	s_and_saveexec_b64 s[0:1], s[2:3]
	s_cbranch_execnz .LBB4_8
	s_branch .LBB4_9
	.section	.rodata,"a",@progbits
	.p2align	6, 0x0
	.amdhsa_kernel _ZN7rocprim6detail16transform_kernelINS0_24wrapped_transform_configINS_14default_configEiEEiPiS5_NS_8identityIiEEEEvT1_mT2_T3_
		.amdhsa_group_segment_fixed_size 0
		.amdhsa_private_segment_fixed_size 0
		.amdhsa_kernarg_size 288
		.amdhsa_user_sgpr_count 6
		.amdhsa_user_sgpr_private_segment_buffer 1
		.amdhsa_user_sgpr_dispatch_ptr 0
		.amdhsa_user_sgpr_queue_ptr 0
		.amdhsa_user_sgpr_kernarg_segment_ptr 1
		.amdhsa_user_sgpr_dispatch_id 0
		.amdhsa_user_sgpr_flat_scratch_init 0
		.amdhsa_user_sgpr_private_segment_size 0
		.amdhsa_uses_dynamic_stack 0
		.amdhsa_system_sgpr_private_segment_wavefront_offset 0
		.amdhsa_system_sgpr_workgroup_id_x 1
		.amdhsa_system_sgpr_workgroup_id_y 0
		.amdhsa_system_sgpr_workgroup_id_z 0
		.amdhsa_system_sgpr_workgroup_info 0
		.amdhsa_system_vgpr_workitem_id 0
		.amdhsa_next_free_vgpr 8
		.amdhsa_next_free_sgpr 12
		.amdhsa_reserve_vcc 1
		.amdhsa_reserve_flat_scratch 0
		.amdhsa_float_round_mode_32 0
		.amdhsa_float_round_mode_16_64 0
		.amdhsa_float_denorm_mode_32 3
		.amdhsa_float_denorm_mode_16_64 3
		.amdhsa_dx10_clamp 1
		.amdhsa_ieee_mode 1
		.amdhsa_fp16_overflow 0
		.amdhsa_exception_fp_ieee_invalid_op 0
		.amdhsa_exception_fp_denorm_src 0
		.amdhsa_exception_fp_ieee_div_zero 0
		.amdhsa_exception_fp_ieee_overflow 0
		.amdhsa_exception_fp_ieee_underflow 0
		.amdhsa_exception_fp_ieee_inexact 0
		.amdhsa_exception_int_div_zero 0
	.end_amdhsa_kernel
	.section	.text._ZN7rocprim6detail16transform_kernelINS0_24wrapped_transform_configINS_14default_configEiEEiPiS5_NS_8identityIiEEEEvT1_mT2_T3_,"axG",@progbits,_ZN7rocprim6detail16transform_kernelINS0_24wrapped_transform_configINS_14default_configEiEEiPiS5_NS_8identityIiEEEEvT1_mT2_T3_,comdat
.Lfunc_end4:
	.size	_ZN7rocprim6detail16transform_kernelINS0_24wrapped_transform_configINS_14default_configEiEEiPiS5_NS_8identityIiEEEEvT1_mT2_T3_, .Lfunc_end4-_ZN7rocprim6detail16transform_kernelINS0_24wrapped_transform_configINS_14default_configEiEEiPiS5_NS_8identityIiEEEEvT1_mT2_T3_
                                        ; -- End function
	.set _ZN7rocprim6detail16transform_kernelINS0_24wrapped_transform_configINS_14default_configEiEEiPiS5_NS_8identityIiEEEEvT1_mT2_T3_.num_vgpr, 8
	.set _ZN7rocprim6detail16transform_kernelINS0_24wrapped_transform_configINS_14default_configEiEEiPiS5_NS_8identityIiEEEEvT1_mT2_T3_.num_agpr, 0
	.set _ZN7rocprim6detail16transform_kernelINS0_24wrapped_transform_configINS_14default_configEiEEiPiS5_NS_8identityIiEEEEvT1_mT2_T3_.numbered_sgpr, 12
	.set _ZN7rocprim6detail16transform_kernelINS0_24wrapped_transform_configINS_14default_configEiEEiPiS5_NS_8identityIiEEEEvT1_mT2_T3_.num_named_barrier, 0
	.set _ZN7rocprim6detail16transform_kernelINS0_24wrapped_transform_configINS_14default_configEiEEiPiS5_NS_8identityIiEEEEvT1_mT2_T3_.private_seg_size, 0
	.set _ZN7rocprim6detail16transform_kernelINS0_24wrapped_transform_configINS_14default_configEiEEiPiS5_NS_8identityIiEEEEvT1_mT2_T3_.uses_vcc, 1
	.set _ZN7rocprim6detail16transform_kernelINS0_24wrapped_transform_configINS_14default_configEiEEiPiS5_NS_8identityIiEEEEvT1_mT2_T3_.uses_flat_scratch, 0
	.set _ZN7rocprim6detail16transform_kernelINS0_24wrapped_transform_configINS_14default_configEiEEiPiS5_NS_8identityIiEEEEvT1_mT2_T3_.has_dyn_sized_stack, 0
	.set _ZN7rocprim6detail16transform_kernelINS0_24wrapped_transform_configINS_14default_configEiEEiPiS5_NS_8identityIiEEEEvT1_mT2_T3_.has_recursion, 0
	.set _ZN7rocprim6detail16transform_kernelINS0_24wrapped_transform_configINS_14default_configEiEEiPiS5_NS_8identityIiEEEEvT1_mT2_T3_.has_indirect_call, 0
	.section	.AMDGPU.csdata,"",@progbits
; Kernel info:
; codeLenInByte = 408
; TotalNumSgprs: 16
; NumVgprs: 8
; ScratchSize: 0
; MemoryBound: 0
; FloatMode: 240
; IeeeMode: 1
; LDSByteSize: 0 bytes/workgroup (compile time only)
; SGPRBlocks: 1
; VGPRBlocks: 1
; NumSGPRsForWavesPerEU: 16
; NumVGPRsForWavesPerEU: 8
; Occupancy: 10
; WaveLimiterHint : 1
; COMPUTE_PGM_RSRC2:SCRATCH_EN: 0
; COMPUTE_PGM_RSRC2:USER_SGPR: 6
; COMPUTE_PGM_RSRC2:TRAP_HANDLER: 0
; COMPUTE_PGM_RSRC2:TGID_X_EN: 1
; COMPUTE_PGM_RSRC2:TGID_Y_EN: 0
; COMPUTE_PGM_RSRC2:TGID_Z_EN: 0
; COMPUTE_PGM_RSRC2:TIDIG_COMP_CNT: 0
	.section	.text._ZN7rocprim6detail18single_scan_kernelILb0ENS0_19wrapped_scan_configINS_14default_configEiEEN6hipcub22TransformInputIteratorIiNS5_6CastOpIiEEPilEEPlNS5_3SumEiiEEvT1_mT4_T2_T3_,"axG",@progbits,_ZN7rocprim6detail18single_scan_kernelILb0ENS0_19wrapped_scan_configINS_14default_configEiEEN6hipcub22TransformInputIteratorIiNS5_6CastOpIiEEPilEEPlNS5_3SumEiiEEvT1_mT4_T2_T3_,comdat
	.protected	_ZN7rocprim6detail18single_scan_kernelILb0ENS0_19wrapped_scan_configINS_14default_configEiEEN6hipcub22TransformInputIteratorIiNS5_6CastOpIiEEPilEEPlNS5_3SumEiiEEvT1_mT4_T2_T3_ ; -- Begin function _ZN7rocprim6detail18single_scan_kernelILb0ENS0_19wrapped_scan_configINS_14default_configEiEEN6hipcub22TransformInputIteratorIiNS5_6CastOpIiEEPilEEPlNS5_3SumEiiEEvT1_mT4_T2_T3_
	.globl	_ZN7rocprim6detail18single_scan_kernelILb0ENS0_19wrapped_scan_configINS_14default_configEiEEN6hipcub22TransformInputIteratorIiNS5_6CastOpIiEEPilEEPlNS5_3SumEiiEEvT1_mT4_T2_T3_
	.p2align	8
	.type	_ZN7rocprim6detail18single_scan_kernelILb0ENS0_19wrapped_scan_configINS_14default_configEiEEN6hipcub22TransformInputIteratorIiNS5_6CastOpIiEEPilEEPlNS5_3SumEiiEEvT1_mT4_T2_T3_,@function
_ZN7rocprim6detail18single_scan_kernelILb0ENS0_19wrapped_scan_configINS_14default_configEiEEN6hipcub22TransformInputIteratorIiNS5_6CastOpIiEEPilEEPlNS5_3SumEiiEEvT1_mT4_T2_T3_: ; @_ZN7rocprim6detail18single_scan_kernelILb0ENS0_19wrapped_scan_configINS_14default_configEiEEN6hipcub22TransformInputIteratorIiNS5_6CastOpIiEEPilEEPlNS5_3SumEiiEEvT1_mT4_T2_T3_
; %bb.0:
	s_load_dwordx2 s[0:1], s[4:5], 0x0
	s_load_dword s33, s[4:5], 0x10
	v_lshlrev_b32_e32 v19, 2, v0
	s_waitcnt lgkmcnt(0)
	s_load_dword s8, s[0:1], 0x0
	v_mov_b32_e32 v1, s1
	v_add_co_u32_e32 v17, vcc, s0, v19
	v_addc_co_u32_e32 v18, vcc, 0, v1, vcc
	s_waitcnt lgkmcnt(0)
	s_mov_b32 s9, s8
	s_mov_b32 s10, s8
	;; [unrolled: 1-line block ×14, first 2 shown]
	v_mov_b32_e32 v1, s8
	v_cmp_gt_u32_e64 s[0:1], s33, v0
	v_mov_b32_e32 v2, s9
	v_mov_b32_e32 v3, s10
	;; [unrolled: 1-line block ×15, first 2 shown]
	s_and_saveexec_b64 s[2:3], s[0:1]
	s_cbranch_execz .LBB5_2
; %bb.1:
	global_load_dword v1, v[17:18], off
	v_mov_b32_e32 v2, s8
	v_mov_b32_e32 v3, s8
	;; [unrolled: 1-line block ×14, first 2 shown]
.LBB5_2:
	s_or_b64 exec, exec, s[2:3]
	v_or_b32_e32 v16, 0x100, v0
	v_cmp_gt_u32_e64 s[2:3], s33, v16
	s_and_saveexec_b64 s[6:7], s[2:3]
	s_cbranch_execz .LBB5_4
; %bb.3:
	global_load_dword v2, v[17:18], off offset:1024
.LBB5_4:
	s_or_b64 exec, exec, s[6:7]
	v_or_b32_e32 v16, 0x200, v0
	v_cmp_gt_u32_e64 s[6:7], s33, v16
	s_and_saveexec_b64 s[8:9], s[6:7]
	s_cbranch_execz .LBB5_6
; %bb.5:
	global_load_dword v3, v[17:18], off offset:2048
.LBB5_6:
	;; [unrolled: 8-line block ×3, first 2 shown]
	s_or_b64 exec, exec, s[10:11]
	v_or_b32_e32 v16, 0x400, v0
	v_cmp_gt_u32_e64 s[10:11], s33, v16
	s_and_saveexec_b64 s[12:13], s[10:11]
	s_cbranch_execz .LBB5_10
; %bb.9:
	v_add_co_u32_e32 v20, vcc, 0x1000, v17
	v_addc_co_u32_e32 v21, vcc, 0, v18, vcc
	global_load_dword v5, v[20:21], off
.LBB5_10:
	s_or_b64 exec, exec, s[12:13]
	v_or_b32_e32 v16, 0x500, v0
	v_cmp_gt_u32_e64 s[12:13], s33, v16
	s_and_saveexec_b64 s[14:15], s[12:13]
	s_cbranch_execz .LBB5_12
; %bb.11:
	v_add_co_u32_e32 v20, vcc, 0x1000, v17
	v_addc_co_u32_e32 v21, vcc, 0, v18, vcc
	global_load_dword v6, v[20:21], off offset:1024
.LBB5_12:
	s_or_b64 exec, exec, s[14:15]
	v_or_b32_e32 v16, 0x600, v0
	v_cmp_gt_u32_e64 s[14:15], s33, v16
	s_and_saveexec_b64 s[16:17], s[14:15]
	s_cbranch_execz .LBB5_14
; %bb.13:
	v_add_co_u32_e32 v20, vcc, 0x1000, v17
	v_addc_co_u32_e32 v21, vcc, 0, v18, vcc
	global_load_dword v7, v[20:21], off offset:2048
.LBB5_14:
	;; [unrolled: 10-line block ×3, first 2 shown]
	s_or_b64 exec, exec, s[18:19]
	v_or_b32_e32 v16, 0x800, v0
	v_cmp_gt_u32_e64 s[18:19], s33, v16
	s_and_saveexec_b64 s[20:21], s[18:19]
	s_cbranch_execz .LBB5_18
; %bb.17:
	v_add_co_u32_e32 v20, vcc, 0x2000, v17
	v_addc_co_u32_e32 v21, vcc, 0, v18, vcc
	global_load_dword v9, v[20:21], off
.LBB5_18:
	s_or_b64 exec, exec, s[20:21]
	v_or_b32_e32 v16, 0x900, v0
	v_cmp_gt_u32_e64 s[20:21], s33, v16
	s_and_saveexec_b64 s[22:23], s[20:21]
	s_cbranch_execz .LBB5_20
; %bb.19:
	v_add_co_u32_e32 v20, vcc, 0x2000, v17
	v_addc_co_u32_e32 v21, vcc, 0, v18, vcc
	global_load_dword v10, v[20:21], off offset:1024
.LBB5_20:
	s_or_b64 exec, exec, s[22:23]
	v_or_b32_e32 v16, 0xa00, v0
	v_cmp_gt_u32_e64 s[22:23], s33, v16
	s_and_saveexec_b64 s[24:25], s[22:23]
	s_cbranch_execz .LBB5_22
; %bb.21:
	v_add_co_u32_e32 v20, vcc, 0x2000, v17
	v_addc_co_u32_e32 v21, vcc, 0, v18, vcc
	global_load_dword v11, v[20:21], off offset:2048
.LBB5_22:
	;; [unrolled: 10-line block ×3, first 2 shown]
	s_or_b64 exec, exec, s[26:27]
	v_or_b32_e32 v16, 0xc00, v0
	v_cmp_gt_u32_e64 s[26:27], s33, v16
	s_and_saveexec_b64 s[28:29], s[26:27]
	s_cbranch_execz .LBB5_26
; %bb.25:
	v_add_co_u32_e32 v20, vcc, 0x3000, v17
	v_addc_co_u32_e32 v21, vcc, 0, v18, vcc
	global_load_dword v13, v[20:21], off
.LBB5_26:
	s_or_b64 exec, exec, s[28:29]
	v_or_b32_e32 v16, 0xd00, v0
	v_cmp_gt_u32_e64 s[28:29], s33, v16
	s_and_saveexec_b64 s[30:31], s[28:29]
	s_cbranch_execz .LBB5_28
; %bb.27:
	v_add_co_u32_e32 v20, vcc, 0x3000, v17
	v_addc_co_u32_e32 v21, vcc, 0, v18, vcc
	global_load_dword v14, v[20:21], off offset:1024
.LBB5_28:
	s_or_b64 exec, exec, s[30:31]
	v_or_b32_e32 v16, 0xe00, v0
	v_cmp_gt_u32_e64 s[30:31], s33, v16
	s_and_saveexec_b64 s[34:35], s[30:31]
	s_cbranch_execz .LBB5_30
; %bb.29:
	v_add_co_u32_e32 v15, vcc, 0x3000, v17
	v_addc_co_u32_e32 v16, vcc, 0, v18, vcc
	global_load_dword v15, v[15:16], off offset:2048
.LBB5_30:
	s_or_b64 exec, exec, s[34:35]
	s_waitcnt vmcnt(0)
	ds_write2st64_b32 v19, v1, v2 offset1:4
	ds_write2st64_b32 v19, v3, v4 offset0:8 offset1:12
	ds_write2st64_b32 v19, v5, v6 offset0:16 offset1:20
	;; [unrolled: 1-line block ×6, first 2 shown]
	ds_write_b32 v19, v15 offset:14336
	v_mad_u32_u24 v15, v0, 56, v19
	s_waitcnt lgkmcnt(0)
	s_barrier
	ds_read2_b32 v[1:2], v15 offset1:1
	ds_read2_b32 v[13:14], v15 offset0:2 offset1:3
	ds_read2_b32 v[11:12], v15 offset0:4 offset1:5
	;; [unrolled: 1-line block ×6, first 2 shown]
	ds_read_b32 v30, v15 offset:56
	s_waitcnt lgkmcnt(7)
	v_add_u32_e32 v15, v2, v1
	s_waitcnt lgkmcnt(6)
	v_add_u32_e32 v16, v15, v13
	v_add_u32_e32 v17, v16, v14
	s_waitcnt lgkmcnt(5)
	v_add_u32_e32 v18, v17, v11
	;; [unrolled: 3-line block ×6, first 2 shown]
	v_lshrrev_b32_e32 v31, 3, v0
	v_add_u32_e32 v28, v27, v4
	v_and_b32_e32 v31, 28, v31
	s_waitcnt lgkmcnt(0)
	v_add_u32_e32 v29, v28, v30
	v_add_u32_e32 v31, v19, v31
	v_cmp_gt_u32_e32 vcc, 64, v0
	s_barrier
	ds_write_b32 v31, v29
	s_waitcnt lgkmcnt(0)
	s_barrier
	s_and_saveexec_b64 s[34:35], vcc
	s_cbranch_execz .LBB5_32
; %bb.31:
	v_lshrrev_b32_e32 v31, 1, v0
	v_and_b32_e32 v31, 0x7c, v31
	v_lshl_add_u32 v35, v0, 4, v31
	ds_read2_b32 v[31:32], v35 offset1:1
	ds_read2_b32 v[33:34], v35 offset0:2 offset1:3
	v_mbcnt_lo_u32_b32 v36, -1, 0
	v_mbcnt_hi_u32_b32 v36, -1, v36
	v_and_b32_e32 v37, 15, v36
	s_waitcnt lgkmcnt(1)
	v_add_u32_e32 v38, v32, v31
	s_waitcnt lgkmcnt(0)
	v_add3_u32 v38, v38, v33, v34
	v_cmp_ne_u32_e32 vcc, 0, v37
	s_nop 0
	v_mov_b32_dpp v39, v38 row_shr:1 row_mask:0xf bank_mask:0xf
	v_cndmask_b32_e32 v39, 0, v39, vcc
	v_add_u32_e32 v38, v39, v38
	v_cmp_lt_u32_e32 vcc, 1, v37
	s_nop 0
	v_mov_b32_dpp v39, v38 row_shr:2 row_mask:0xf bank_mask:0xf
	v_cndmask_b32_e32 v39, 0, v39, vcc
	v_add_u32_e32 v38, v38, v39
	v_cmp_lt_u32_e32 vcc, 3, v37
	;; [unrolled: 5-line block ×3, first 2 shown]
	s_nop 0
	v_mov_b32_dpp v39, v38 row_shr:8 row_mask:0xf bank_mask:0xf
	v_cndmask_b32_e32 v37, 0, v39, vcc
	v_add_u32_e32 v37, v38, v37
	v_bfe_i32 v39, v36, 4, 1
	v_cmp_lt_u32_e32 vcc, 31, v36
	v_mov_b32_dpp v38, v37 row_bcast:15 row_mask:0xf bank_mask:0xf
	v_and_b32_e32 v38, v39, v38
	v_add_u32_e32 v37, v37, v38
	v_and_b32_e32 v39, 64, v36
	s_nop 0
	v_mov_b32_dpp v38, v37 row_bcast:31 row_mask:0xf bank_mask:0xf
	v_cndmask_b32_e32 v38, 0, v38, vcc
	v_add_u32_e32 v37, v37, v38
	v_add_u32_e32 v38, -1, v36
	v_cmp_lt_i32_e32 vcc, v38, v39
	v_cndmask_b32_e32 v36, v38, v36, vcc
	v_lshlrev_b32_e32 v36, 2, v36
	ds_bpermute_b32 v36, v36, v37
	v_cmp_eq_u32_e32 vcc, 0, v0
	s_waitcnt lgkmcnt(0)
	v_add_u32_e32 v31, v36, v31
	v_cndmask_b32_e32 v31, v31, v29, vcc
	v_add_u32_e32 v32, v31, v32
	ds_write2_b32 v35, v31, v32 offset1:1
	v_add_u32_e32 v31, v32, v33
	v_add_u32_e32 v32, v31, v34
	ds_write2_b32 v35, v31, v32 offset0:2 offset1:3
.LBB5_32:
	s_or_b64 exec, exec, s[34:35]
	v_mul_u32_u24_e32 v31, 56, v0
	v_cmp_ne_u32_e32 vcc, 0, v0
	s_waitcnt lgkmcnt(0)
	s_barrier
	s_and_saveexec_b64 s[34:35], vcc
	s_cbranch_execz .LBB5_34
; %bb.33:
	v_add_u32_e32 v15, -1, v0
	v_lshrrev_b32_e32 v16, 3, v15
	v_and_b32_e32 v16, 0x1ffffffc, v16
	v_lshl_add_u32 v15, v15, 2, v16
	ds_read_b32 v15, v15
	s_waitcnt lgkmcnt(0)
	v_add_u32_e32 v1, v15, v1
	v_add_u32_e32 v15, v1, v2
	v_add_u32_e32 v16, v15, v13
	v_add_u32_e32 v17, v16, v14
	v_add_u32_e32 v18, v17, v11
	v_add_u32_e32 v20, v18, v12
	v_add_u32_e32 v21, v20, v9
	v_add_u32_e32 v22, v21, v10
	v_add_u32_e32 v23, v22, v7
	v_add_u32_e32 v24, v23, v8
	v_add_u32_e32 v25, v24, v5
	v_add_u32_e32 v26, v25, v6
	v_add_u32_e32 v27, v26, v3
	v_add_u32_e32 v28, v27, v4
	v_add_u32_e32 v29, v28, v30
.LBB5_34:
	s_or_b64 exec, exec, s[34:35]
	v_add_u32_e32 v2, v19, v31
	s_barrier
	ds_write2_b32 v2, v1, v15 offset1:1
	ds_write2_b32 v2, v16, v17 offset0:2 offset1:3
	ds_write2_b32 v2, v18, v20 offset0:4 offset1:5
	;; [unrolled: 1-line block ×6, first 2 shown]
	ds_write_b32 v2, v29 offset:56
	s_waitcnt lgkmcnt(0)
	s_barrier
	ds_read2st64_b32 v[15:16], v19 offset0:4 offset1:8
	ds_read2st64_b32 v[13:14], v19 offset0:12 offset1:16
	ds_read2st64_b32 v[11:12], v19 offset0:20 offset1:24
	ds_read2st64_b32 v[9:10], v19 offset0:28 offset1:32
	ds_read2st64_b32 v[7:8], v19 offset0:36 offset1:40
	ds_read2st64_b32 v[5:6], v19 offset0:44 offset1:48
	ds_read2st64_b32 v[1:2], v19 offset0:52 offset1:56
	s_load_dwordx2 s[4:5], s[4:5], 0x20
	v_lshlrev_b32_e32 v0, 3, v0
	s_waitcnt lgkmcnt(0)
	v_mov_b32_e32 v4, s5
	v_add_co_u32_e32 v3, vcc, s4, v0
	v_addc_co_u32_e32 v4, vcc, 0, v4, vcc
	s_and_saveexec_b64 s[4:5], s[0:1]
	s_cbranch_execnz .LBB5_50
; %bb.35:
	s_or_b64 exec, exec, s[4:5]
	s_and_saveexec_b64 s[0:1], s[2:3]
	s_cbranch_execnz .LBB5_51
.LBB5_36:
	s_or_b64 exec, exec, s[0:1]
	s_and_saveexec_b64 s[0:1], s[6:7]
	s_cbranch_execnz .LBB5_52
.LBB5_37:
	s_or_b64 exec, exec, s[0:1]
	s_and_saveexec_b64 s[0:1], s[8:9]
	s_cbranch_execnz .LBB5_53
.LBB5_38:
	s_or_b64 exec, exec, s[0:1]
	s_and_saveexec_b64 s[0:1], s[10:11]
	s_cbranch_execnz .LBB5_54
.LBB5_39:
	s_or_b64 exec, exec, s[0:1]
	s_and_saveexec_b64 s[0:1], s[12:13]
	s_cbranch_execnz .LBB5_55
.LBB5_40:
	s_or_b64 exec, exec, s[0:1]
	s_and_saveexec_b64 s[0:1], s[14:15]
	s_cbranch_execnz .LBB5_56
.LBB5_41:
	s_or_b64 exec, exec, s[0:1]
	s_and_saveexec_b64 s[0:1], s[16:17]
	s_cbranch_execnz .LBB5_57
.LBB5_42:
	s_or_b64 exec, exec, s[0:1]
	s_and_saveexec_b64 s[0:1], s[18:19]
	s_cbranch_execnz .LBB5_58
.LBB5_43:
	s_or_b64 exec, exec, s[0:1]
	s_and_saveexec_b64 s[0:1], s[20:21]
	s_cbranch_execnz .LBB5_59
.LBB5_44:
	s_or_b64 exec, exec, s[0:1]
	s_and_saveexec_b64 s[0:1], s[22:23]
	s_cbranch_execnz .LBB5_60
.LBB5_45:
	s_or_b64 exec, exec, s[0:1]
	s_and_saveexec_b64 s[0:1], s[24:25]
	s_cbranch_execnz .LBB5_61
.LBB5_46:
	s_or_b64 exec, exec, s[0:1]
	s_and_saveexec_b64 s[0:1], s[26:27]
	s_cbranch_execnz .LBB5_62
.LBB5_47:
	s_or_b64 exec, exec, s[0:1]
	s_and_saveexec_b64 s[0:1], s[28:29]
	s_cbranch_execnz .LBB5_63
.LBB5_48:
	s_or_b64 exec, exec, s[0:1]
	s_and_saveexec_b64 s[0:1], s[30:31]
	s_cbranch_execnz .LBB5_64
.LBB5_49:
	s_endpgm
.LBB5_50:
	ds_read_b32 v17, v19
	s_waitcnt lgkmcnt(0)
	v_ashrrev_i32_e32 v18, 31, v17
	global_store_dwordx2 v[3:4], v[17:18], off
	s_or_b64 exec, exec, s[4:5]
	s_and_saveexec_b64 s[0:1], s[2:3]
	s_cbranch_execz .LBB5_36
.LBB5_51:
	v_ashrrev_i32_e32 v18, 31, v15
	v_mov_b32_e32 v17, v15
	global_store_dwordx2 v[3:4], v[17:18], off offset:2048
	s_or_b64 exec, exec, s[0:1]
	s_and_saveexec_b64 s[0:1], s[6:7]
	s_cbranch_execz .LBB5_37
.LBB5_52:
	v_add_co_u32_e32 v18, vcc, 0x1000, v3
	v_ashrrev_i32_e32 v17, 31, v16
	v_addc_co_u32_e32 v19, vcc, 0, v4, vcc
	global_store_dwordx2 v[18:19], v[16:17], off
	s_or_b64 exec, exec, s[0:1]
	s_and_saveexec_b64 s[0:1], s[8:9]
	s_cbranch_execz .LBB5_38
.LBB5_53:
	v_add_co_u32_e32 v17, vcc, 0x1000, v3
	v_ashrrev_i32_e32 v16, 31, v13
	v_mov_b32_e32 v15, v13
	v_addc_co_u32_e32 v18, vcc, 0, v4, vcc
	global_store_dwordx2 v[17:18], v[15:16], off offset:2048
	s_or_b64 exec, exec, s[0:1]
	s_and_saveexec_b64 s[0:1], s[10:11]
	s_cbranch_execz .LBB5_39
.LBB5_54:
	v_add_co_u32_e32 v16, vcc, 0x2000, v3
	v_ashrrev_i32_e32 v15, 31, v14
	v_addc_co_u32_e32 v17, vcc, 0, v4, vcc
	global_store_dwordx2 v[16:17], v[14:15], off
	s_or_b64 exec, exec, s[0:1]
	s_and_saveexec_b64 s[0:1], s[12:13]
	s_cbranch_execz .LBB5_40
.LBB5_55:
	v_add_co_u32_e32 v15, vcc, 0x2000, v3
	v_ashrrev_i32_e32 v14, 31, v11
	v_mov_b32_e32 v13, v11
	v_addc_co_u32_e32 v16, vcc, 0, v4, vcc
	global_store_dwordx2 v[15:16], v[13:14], off offset:2048
	s_or_b64 exec, exec, s[0:1]
	s_and_saveexec_b64 s[0:1], s[14:15]
	s_cbranch_execz .LBB5_41
.LBB5_56:
	v_add_co_u32_e32 v14, vcc, 0x3000, v3
	v_ashrrev_i32_e32 v13, 31, v12
	v_addc_co_u32_e32 v15, vcc, 0, v4, vcc
	global_store_dwordx2 v[14:15], v[12:13], off
	s_or_b64 exec, exec, s[0:1]
	s_and_saveexec_b64 s[0:1], s[16:17]
	s_cbranch_execz .LBB5_42
.LBB5_57:
	v_add_co_u32_e32 v13, vcc, 0x3000, v3
	v_ashrrev_i32_e32 v12, 31, v9
	v_mov_b32_e32 v11, v9
	v_addc_co_u32_e32 v14, vcc, 0, v4, vcc
	global_store_dwordx2 v[13:14], v[11:12], off offset:2048
	s_or_b64 exec, exec, s[0:1]
	s_and_saveexec_b64 s[0:1], s[18:19]
	s_cbranch_execz .LBB5_43
.LBB5_58:
	v_add_co_u32_e32 v12, vcc, 0x4000, v3
	v_ashrrev_i32_e32 v11, 31, v10
	v_addc_co_u32_e32 v13, vcc, 0, v4, vcc
	global_store_dwordx2 v[12:13], v[10:11], off
	s_or_b64 exec, exec, s[0:1]
	s_and_saveexec_b64 s[0:1], s[20:21]
	s_cbranch_execz .LBB5_44
.LBB5_59:
	v_add_co_u32_e32 v11, vcc, 0x4000, v3
	v_ashrrev_i32_e32 v10, 31, v7
	v_mov_b32_e32 v9, v7
	v_addc_co_u32_e32 v12, vcc, 0, v4, vcc
	global_store_dwordx2 v[11:12], v[9:10], off offset:2048
	s_or_b64 exec, exec, s[0:1]
	s_and_saveexec_b64 s[0:1], s[22:23]
	s_cbranch_execz .LBB5_45
.LBB5_60:
	v_add_co_u32_e32 v10, vcc, 0x5000, v3
	v_ashrrev_i32_e32 v9, 31, v8
	v_addc_co_u32_e32 v11, vcc, 0, v4, vcc
	global_store_dwordx2 v[10:11], v[8:9], off
	s_or_b64 exec, exec, s[0:1]
	s_and_saveexec_b64 s[0:1], s[24:25]
	s_cbranch_execz .LBB5_46
.LBB5_61:
	v_add_co_u32_e32 v9, vcc, 0x5000, v3
	v_ashrrev_i32_e32 v8, 31, v5
	v_mov_b32_e32 v7, v5
	v_addc_co_u32_e32 v10, vcc, 0, v4, vcc
	global_store_dwordx2 v[9:10], v[7:8], off offset:2048
	s_or_b64 exec, exec, s[0:1]
	s_and_saveexec_b64 s[0:1], s[26:27]
	s_cbranch_execz .LBB5_47
.LBB5_62:
	v_add_co_u32_e32 v8, vcc, 0x6000, v3
	v_ashrrev_i32_e32 v7, 31, v6
	v_addc_co_u32_e32 v9, vcc, 0, v4, vcc
	global_store_dwordx2 v[8:9], v[6:7], off
	s_or_b64 exec, exec, s[0:1]
	s_and_saveexec_b64 s[0:1], s[28:29]
	s_cbranch_execz .LBB5_48
.LBB5_63:
	v_add_co_u32_e32 v0, vcc, 0x6000, v3
	v_ashrrev_i32_e32 v6, 31, v1
	v_mov_b32_e32 v5, v1
	v_addc_co_u32_e32 v1, vcc, 0, v4, vcc
	global_store_dwordx2 v[0:1], v[5:6], off offset:2048
	s_or_b64 exec, exec, s[0:1]
	s_and_saveexec_b64 s[0:1], s[30:31]
	s_cbranch_execz .LBB5_49
.LBB5_64:
	v_ashrrev_i32_e32 v1, 31, v2
	v_mov_b32_e32 v0, v2
	v_add_co_u32_e32 v2, vcc, 0x7000, v3
	v_addc_co_u32_e32 v3, vcc, 0, v4, vcc
	global_store_dwordx2 v[2:3], v[0:1], off
	s_endpgm
	.section	.rodata,"a",@progbits
	.p2align	6, 0x0
	.amdhsa_kernel _ZN7rocprim6detail18single_scan_kernelILb0ENS0_19wrapped_scan_configINS_14default_configEiEEN6hipcub22TransformInputIteratorIiNS5_6CastOpIiEEPilEEPlNS5_3SumEiiEEvT1_mT4_T2_T3_
		.amdhsa_group_segment_fixed_size 15360
		.amdhsa_private_segment_fixed_size 0
		.amdhsa_kernarg_size 44
		.amdhsa_user_sgpr_count 6
		.amdhsa_user_sgpr_private_segment_buffer 1
		.amdhsa_user_sgpr_dispatch_ptr 0
		.amdhsa_user_sgpr_queue_ptr 0
		.amdhsa_user_sgpr_kernarg_segment_ptr 1
		.amdhsa_user_sgpr_dispatch_id 0
		.amdhsa_user_sgpr_flat_scratch_init 0
		.amdhsa_user_sgpr_private_segment_size 0
		.amdhsa_uses_dynamic_stack 0
		.amdhsa_system_sgpr_private_segment_wavefront_offset 0
		.amdhsa_system_sgpr_workgroup_id_x 1
		.amdhsa_system_sgpr_workgroup_id_y 0
		.amdhsa_system_sgpr_workgroup_id_z 0
		.amdhsa_system_sgpr_workgroup_info 0
		.amdhsa_system_vgpr_workitem_id 0
		.amdhsa_next_free_vgpr 49
		.amdhsa_next_free_sgpr 98
		.amdhsa_reserve_vcc 1
		.amdhsa_reserve_flat_scratch 0
		.amdhsa_float_round_mode_32 0
		.amdhsa_float_round_mode_16_64 0
		.amdhsa_float_denorm_mode_32 3
		.amdhsa_float_denorm_mode_16_64 3
		.amdhsa_dx10_clamp 1
		.amdhsa_ieee_mode 1
		.amdhsa_fp16_overflow 0
		.amdhsa_exception_fp_ieee_invalid_op 0
		.amdhsa_exception_fp_denorm_src 0
		.amdhsa_exception_fp_ieee_div_zero 0
		.amdhsa_exception_fp_ieee_overflow 0
		.amdhsa_exception_fp_ieee_underflow 0
		.amdhsa_exception_fp_ieee_inexact 0
		.amdhsa_exception_int_div_zero 0
	.end_amdhsa_kernel
	.section	.text._ZN7rocprim6detail18single_scan_kernelILb0ENS0_19wrapped_scan_configINS_14default_configEiEEN6hipcub22TransformInputIteratorIiNS5_6CastOpIiEEPilEEPlNS5_3SumEiiEEvT1_mT4_T2_T3_,"axG",@progbits,_ZN7rocprim6detail18single_scan_kernelILb0ENS0_19wrapped_scan_configINS_14default_configEiEEN6hipcub22TransformInputIteratorIiNS5_6CastOpIiEEPilEEPlNS5_3SumEiiEEvT1_mT4_T2_T3_,comdat
.Lfunc_end5:
	.size	_ZN7rocprim6detail18single_scan_kernelILb0ENS0_19wrapped_scan_configINS_14default_configEiEEN6hipcub22TransformInputIteratorIiNS5_6CastOpIiEEPilEEPlNS5_3SumEiiEEvT1_mT4_T2_T3_, .Lfunc_end5-_ZN7rocprim6detail18single_scan_kernelILb0ENS0_19wrapped_scan_configINS_14default_configEiEEN6hipcub22TransformInputIteratorIiNS5_6CastOpIiEEPilEEPlNS5_3SumEiiEEvT1_mT4_T2_T3_
                                        ; -- End function
	.set _ZN7rocprim6detail18single_scan_kernelILb0ENS0_19wrapped_scan_configINS_14default_configEiEEN6hipcub22TransformInputIteratorIiNS5_6CastOpIiEEPilEEPlNS5_3SumEiiEEvT1_mT4_T2_T3_.num_vgpr, 40
	.set _ZN7rocprim6detail18single_scan_kernelILb0ENS0_19wrapped_scan_configINS_14default_configEiEEN6hipcub22TransformInputIteratorIiNS5_6CastOpIiEEPilEEPlNS5_3SumEiiEEvT1_mT4_T2_T3_.num_agpr, 0
	.set _ZN7rocprim6detail18single_scan_kernelILb0ENS0_19wrapped_scan_configINS_14default_configEiEEN6hipcub22TransformInputIteratorIiNS5_6CastOpIiEEPilEEPlNS5_3SumEiiEEvT1_mT4_T2_T3_.numbered_sgpr, 36
	.set _ZN7rocprim6detail18single_scan_kernelILb0ENS0_19wrapped_scan_configINS_14default_configEiEEN6hipcub22TransformInputIteratorIiNS5_6CastOpIiEEPilEEPlNS5_3SumEiiEEvT1_mT4_T2_T3_.num_named_barrier, 0
	.set _ZN7rocprim6detail18single_scan_kernelILb0ENS0_19wrapped_scan_configINS_14default_configEiEEN6hipcub22TransformInputIteratorIiNS5_6CastOpIiEEPilEEPlNS5_3SumEiiEEvT1_mT4_T2_T3_.private_seg_size, 0
	.set _ZN7rocprim6detail18single_scan_kernelILb0ENS0_19wrapped_scan_configINS_14default_configEiEEN6hipcub22TransformInputIteratorIiNS5_6CastOpIiEEPilEEPlNS5_3SumEiiEEvT1_mT4_T2_T3_.uses_vcc, 1
	.set _ZN7rocprim6detail18single_scan_kernelILb0ENS0_19wrapped_scan_configINS_14default_configEiEEN6hipcub22TransformInputIteratorIiNS5_6CastOpIiEEPilEEPlNS5_3SumEiiEEvT1_mT4_T2_T3_.uses_flat_scratch, 0
	.set _ZN7rocprim6detail18single_scan_kernelILb0ENS0_19wrapped_scan_configINS_14default_configEiEEN6hipcub22TransformInputIteratorIiNS5_6CastOpIiEEPilEEPlNS5_3SumEiiEEvT1_mT4_T2_T3_.has_dyn_sized_stack, 0
	.set _ZN7rocprim6detail18single_scan_kernelILb0ENS0_19wrapped_scan_configINS_14default_configEiEEN6hipcub22TransformInputIteratorIiNS5_6CastOpIiEEPilEEPlNS5_3SumEiiEEvT1_mT4_T2_T3_.has_recursion, 0
	.set _ZN7rocprim6detail18single_scan_kernelILb0ENS0_19wrapped_scan_configINS_14default_configEiEEN6hipcub22TransformInputIteratorIiNS5_6CastOpIiEEPilEEPlNS5_3SumEiiEEvT1_mT4_T2_T3_.has_indirect_call, 0
	.section	.AMDGPU.csdata,"",@progbits
; Kernel info:
; codeLenInByte = 2484
; TotalNumSgprs: 40
; NumVgprs: 40
; ScratchSize: 0
; MemoryBound: 0
; FloatMode: 240
; IeeeMode: 1
; LDSByteSize: 15360 bytes/workgroup (compile time only)
; SGPRBlocks: 12
; VGPRBlocks: 12
; NumSGPRsForWavesPerEU: 102
; NumVGPRsForWavesPerEU: 49
; Occupancy: 4
; WaveLimiterHint : 0
; COMPUTE_PGM_RSRC2:SCRATCH_EN: 0
; COMPUTE_PGM_RSRC2:USER_SGPR: 6
; COMPUTE_PGM_RSRC2:TRAP_HANDLER: 0
; COMPUTE_PGM_RSRC2:TGID_X_EN: 1
; COMPUTE_PGM_RSRC2:TGID_Y_EN: 0
; COMPUTE_PGM_RSRC2:TGID_Z_EN: 0
; COMPUTE_PGM_RSRC2:TIDIG_COMP_CNT: 0
	.section	.text._ZN7rocprim6detail31init_lookback_scan_state_kernelINS0_19lookback_scan_stateI6__halfLb1ELb1EEEEEvT_jjPNS5_10value_typeE,"axG",@progbits,_ZN7rocprim6detail31init_lookback_scan_state_kernelINS0_19lookback_scan_stateI6__halfLb1ELb1EEEEEvT_jjPNS5_10value_typeE,comdat
	.protected	_ZN7rocprim6detail31init_lookback_scan_state_kernelINS0_19lookback_scan_stateI6__halfLb1ELb1EEEEEvT_jjPNS5_10value_typeE ; -- Begin function _ZN7rocprim6detail31init_lookback_scan_state_kernelINS0_19lookback_scan_stateI6__halfLb1ELb1EEEEEvT_jjPNS5_10value_typeE
	.globl	_ZN7rocprim6detail31init_lookback_scan_state_kernelINS0_19lookback_scan_stateI6__halfLb1ELb1EEEEEvT_jjPNS5_10value_typeE
	.p2align	8
	.type	_ZN7rocprim6detail31init_lookback_scan_state_kernelINS0_19lookback_scan_stateI6__halfLb1ELb1EEEEEvT_jjPNS5_10value_typeE,@function
_ZN7rocprim6detail31init_lookback_scan_state_kernelINS0_19lookback_scan_stateI6__halfLb1ELb1EEEEEvT_jjPNS5_10value_typeE: ; @_ZN7rocprim6detail31init_lookback_scan_state_kernelINS0_19lookback_scan_stateI6__halfLb1ELb1EEEEEvT_jjPNS5_10value_typeE
; %bb.0:
	s_load_dword s7, s[4:5], 0x24
	s_load_dwordx2 s[8:9], s[4:5], 0x10
	s_load_dwordx4 s[0:3], s[4:5], 0x0
	s_waitcnt lgkmcnt(0)
	s_and_b32 s4, s7, 0xffff
	s_mul_i32 s6, s6, s4
	s_cmp_eq_u64 s[8:9], 0
	v_add_u32_e32 v0, s6, v0
	s_cbranch_scc1 .LBB6_9
; %bb.1:
	s_cmp_lt_u32 s3, s2
	s_cselect_b32 s4, s3, 0
	s_mov_b32 s7, 0
	v_cmp_eq_u32_e32 vcc, s4, v0
	s_and_saveexec_b64 s[4:5], vcc
	s_cbranch_execz .LBB6_8
; %bb.2:
	s_add_i32 s6, s3, 64
	s_lshl_b64 s[6:7], s[6:7], 2
	s_add_u32 s6, s0, s6
	s_addc_u32 s7, s1, s7
	v_mov_b32_e32 v1, 0
	global_load_dword v2, v1, s[6:7] glc
	s_waitcnt vmcnt(0)
	v_and_b32_e32 v3, 0xff0000, v2
	v_cmp_ne_u32_e32 vcc, 0, v3
	s_cbranch_vccnz .LBB6_7
; %bb.3:
	s_mov_b32 s3, 1
.LBB6_4:                                ; =>This Loop Header: Depth=1
                                        ;     Child Loop BB6_5 Depth 2
	s_mov_b32 s10, s3
.LBB6_5:                                ;   Parent Loop BB6_4 Depth=1
                                        ; =>  This Inner Loop Header: Depth=2
	s_add_i32 s10, s10, -1
	s_cmp_eq_u32 s10, 0
	s_sleep 1
	s_cbranch_scc0 .LBB6_5
; %bb.6:                                ;   in Loop: Header=BB6_4 Depth=1
	global_load_dword v2, v1, s[6:7] glc
	s_cmp_lt_u32 s3, 32
	s_cselect_b64 s[10:11], -1, 0
	s_cmp_lg_u64 s[10:11], 0
	s_addc_u32 s3, s3, 0
	s_waitcnt vmcnt(0)
	v_and_b32_e32 v3, 0xff0000, v2
	v_cmp_ne_u32_e32 vcc, 0, v3
	s_cbranch_vccz .LBB6_4
.LBB6_7:
	v_mov_b32_e32 v1, 0
	global_store_short v1, v2, s[8:9]
.LBB6_8:
	s_or_b64 exec, exec, s[4:5]
.LBB6_9:
	v_cmp_gt_u32_e32 vcc, s2, v0
	s_and_saveexec_b64 s[2:3], vcc
	s_cbranch_execnz .LBB6_12
; %bb.10:
	s_or_b64 exec, exec, s[2:3]
	v_cmp_gt_u32_e32 vcc, 64, v0
	s_and_saveexec_b64 s[2:3], vcc
	s_cbranch_execnz .LBB6_13
.LBB6_11:
	s_endpgm
.LBB6_12:
	v_add_u32_e32 v1, 64, v0
	v_mov_b32_e32 v2, 0
	v_lshlrev_b64 v[3:4], 2, v[1:2]
	v_mov_b32_e32 v1, s1
	v_add_co_u32_e32 v3, vcc, s0, v3
	v_addc_co_u32_e32 v4, vcc, v1, v4, vcc
	global_store_dword v[3:4], v2, off
	s_or_b64 exec, exec, s[2:3]
	v_cmp_gt_u32_e32 vcc, 64, v0
	s_and_saveexec_b64 s[2:3], vcc
	s_cbranch_execz .LBB6_11
.LBB6_13:
	v_mov_b32_e32 v1, 0
	v_lshlrev_b64 v[0:1], 2, v[0:1]
	v_mov_b32_e32 v2, s1
	v_add_co_u32_e32 v0, vcc, s0, v0
	v_addc_co_u32_e32 v1, vcc, v2, v1, vcc
	v_mov_b32_e32 v2, 0xff0000
	global_store_dword v[0:1], v2, off
	s_endpgm
	.section	.rodata,"a",@progbits
	.p2align	6, 0x0
	.amdhsa_kernel _ZN7rocprim6detail31init_lookback_scan_state_kernelINS0_19lookback_scan_stateI6__halfLb1ELb1EEEEEvT_jjPNS5_10value_typeE
		.amdhsa_group_segment_fixed_size 0
		.amdhsa_private_segment_fixed_size 0
		.amdhsa_kernarg_size 280
		.amdhsa_user_sgpr_count 6
		.amdhsa_user_sgpr_private_segment_buffer 1
		.amdhsa_user_sgpr_dispatch_ptr 0
		.amdhsa_user_sgpr_queue_ptr 0
		.amdhsa_user_sgpr_kernarg_segment_ptr 1
		.amdhsa_user_sgpr_dispatch_id 0
		.amdhsa_user_sgpr_flat_scratch_init 0
		.amdhsa_user_sgpr_private_segment_size 0
		.amdhsa_uses_dynamic_stack 0
		.amdhsa_system_sgpr_private_segment_wavefront_offset 0
		.amdhsa_system_sgpr_workgroup_id_x 1
		.amdhsa_system_sgpr_workgroup_id_y 0
		.amdhsa_system_sgpr_workgroup_id_z 0
		.amdhsa_system_sgpr_workgroup_info 0
		.amdhsa_system_vgpr_workitem_id 0
		.amdhsa_next_free_vgpr 5
		.amdhsa_next_free_sgpr 12
		.amdhsa_reserve_vcc 1
		.amdhsa_reserve_flat_scratch 0
		.amdhsa_float_round_mode_32 0
		.amdhsa_float_round_mode_16_64 0
		.amdhsa_float_denorm_mode_32 3
		.amdhsa_float_denorm_mode_16_64 3
		.amdhsa_dx10_clamp 1
		.amdhsa_ieee_mode 1
		.amdhsa_fp16_overflow 0
		.amdhsa_exception_fp_ieee_invalid_op 0
		.amdhsa_exception_fp_denorm_src 0
		.amdhsa_exception_fp_ieee_div_zero 0
		.amdhsa_exception_fp_ieee_overflow 0
		.amdhsa_exception_fp_ieee_underflow 0
		.amdhsa_exception_fp_ieee_inexact 0
		.amdhsa_exception_int_div_zero 0
	.end_amdhsa_kernel
	.section	.text._ZN7rocprim6detail31init_lookback_scan_state_kernelINS0_19lookback_scan_stateI6__halfLb1ELb1EEEEEvT_jjPNS5_10value_typeE,"axG",@progbits,_ZN7rocprim6detail31init_lookback_scan_state_kernelINS0_19lookback_scan_stateI6__halfLb1ELb1EEEEEvT_jjPNS5_10value_typeE,comdat
.Lfunc_end6:
	.size	_ZN7rocprim6detail31init_lookback_scan_state_kernelINS0_19lookback_scan_stateI6__halfLb1ELb1EEEEEvT_jjPNS5_10value_typeE, .Lfunc_end6-_ZN7rocprim6detail31init_lookback_scan_state_kernelINS0_19lookback_scan_stateI6__halfLb1ELb1EEEEEvT_jjPNS5_10value_typeE
                                        ; -- End function
	.set _ZN7rocprim6detail31init_lookback_scan_state_kernelINS0_19lookback_scan_stateI6__halfLb1ELb1EEEEEvT_jjPNS5_10value_typeE.num_vgpr, 5
	.set _ZN7rocprim6detail31init_lookback_scan_state_kernelINS0_19lookback_scan_stateI6__halfLb1ELb1EEEEEvT_jjPNS5_10value_typeE.num_agpr, 0
	.set _ZN7rocprim6detail31init_lookback_scan_state_kernelINS0_19lookback_scan_stateI6__halfLb1ELb1EEEEEvT_jjPNS5_10value_typeE.numbered_sgpr, 12
	.set _ZN7rocprim6detail31init_lookback_scan_state_kernelINS0_19lookback_scan_stateI6__halfLb1ELb1EEEEEvT_jjPNS5_10value_typeE.num_named_barrier, 0
	.set _ZN7rocprim6detail31init_lookback_scan_state_kernelINS0_19lookback_scan_stateI6__halfLb1ELb1EEEEEvT_jjPNS5_10value_typeE.private_seg_size, 0
	.set _ZN7rocprim6detail31init_lookback_scan_state_kernelINS0_19lookback_scan_stateI6__halfLb1ELb1EEEEEvT_jjPNS5_10value_typeE.uses_vcc, 1
	.set _ZN7rocprim6detail31init_lookback_scan_state_kernelINS0_19lookback_scan_stateI6__halfLb1ELb1EEEEEvT_jjPNS5_10value_typeE.uses_flat_scratch, 0
	.set _ZN7rocprim6detail31init_lookback_scan_state_kernelINS0_19lookback_scan_stateI6__halfLb1ELb1EEEEEvT_jjPNS5_10value_typeE.has_dyn_sized_stack, 0
	.set _ZN7rocprim6detail31init_lookback_scan_state_kernelINS0_19lookback_scan_stateI6__halfLb1ELb1EEEEEvT_jjPNS5_10value_typeE.has_recursion, 0
	.set _ZN7rocprim6detail31init_lookback_scan_state_kernelINS0_19lookback_scan_stateI6__halfLb1ELb1EEEEEvT_jjPNS5_10value_typeE.has_indirect_call, 0
	.section	.AMDGPU.csdata,"",@progbits
; Kernel info:
; codeLenInByte = 336
; TotalNumSgprs: 16
; NumVgprs: 5
; ScratchSize: 0
; MemoryBound: 0
; FloatMode: 240
; IeeeMode: 1
; LDSByteSize: 0 bytes/workgroup (compile time only)
; SGPRBlocks: 1
; VGPRBlocks: 1
; NumSGPRsForWavesPerEU: 16
; NumVGPRsForWavesPerEU: 5
; Occupancy: 10
; WaveLimiterHint : 0
; COMPUTE_PGM_RSRC2:SCRATCH_EN: 0
; COMPUTE_PGM_RSRC2:USER_SGPR: 6
; COMPUTE_PGM_RSRC2:TRAP_HANDLER: 0
; COMPUTE_PGM_RSRC2:TGID_X_EN: 1
; COMPUTE_PGM_RSRC2:TGID_Y_EN: 0
; COMPUTE_PGM_RSRC2:TGID_Z_EN: 0
; COMPUTE_PGM_RSRC2:TIDIG_COMP_CNT: 0
	.section	.text._ZN7rocprim6detail31init_lookback_scan_state_kernelINS0_19lookback_scan_stateI6__halfLb0ELb1EEEEEvT_jjPNS5_10value_typeE,"axG",@progbits,_ZN7rocprim6detail31init_lookback_scan_state_kernelINS0_19lookback_scan_stateI6__halfLb0ELb1EEEEEvT_jjPNS5_10value_typeE,comdat
	.protected	_ZN7rocprim6detail31init_lookback_scan_state_kernelINS0_19lookback_scan_stateI6__halfLb0ELb1EEEEEvT_jjPNS5_10value_typeE ; -- Begin function _ZN7rocprim6detail31init_lookback_scan_state_kernelINS0_19lookback_scan_stateI6__halfLb0ELb1EEEEEvT_jjPNS5_10value_typeE
	.globl	_ZN7rocprim6detail31init_lookback_scan_state_kernelINS0_19lookback_scan_stateI6__halfLb0ELb1EEEEEvT_jjPNS5_10value_typeE
	.p2align	8
	.type	_ZN7rocprim6detail31init_lookback_scan_state_kernelINS0_19lookback_scan_stateI6__halfLb0ELb1EEEEEvT_jjPNS5_10value_typeE,@function
_ZN7rocprim6detail31init_lookback_scan_state_kernelINS0_19lookback_scan_stateI6__halfLb0ELb1EEEEEvT_jjPNS5_10value_typeE: ; @_ZN7rocprim6detail31init_lookback_scan_state_kernelINS0_19lookback_scan_stateI6__halfLb0ELb1EEEEEvT_jjPNS5_10value_typeE
; %bb.0:
	s_load_dword s7, s[4:5], 0x24
	s_load_dwordx2 s[8:9], s[4:5], 0x10
	s_load_dwordx4 s[0:3], s[4:5], 0x0
	s_waitcnt lgkmcnt(0)
	s_and_b32 s4, s7, 0xffff
	s_mul_i32 s6, s6, s4
	s_cmp_eq_u64 s[8:9], 0
	v_add_u32_e32 v0, s6, v0
	s_cbranch_scc1 .LBB7_6
; %bb.1:
	s_cmp_lt_u32 s3, s2
	s_cselect_b32 s4, s3, 0
	s_mov_b32 s7, 0
	v_cmp_eq_u32_e32 vcc, s4, v0
	s_and_saveexec_b64 s[4:5], vcc
	s_cbranch_execz .LBB7_5
; %bb.2:
	s_add_i32 s6, s3, 64
	s_lshl_b64 s[6:7], s[6:7], 2
	s_add_u32 s6, s0, s6
	s_addc_u32 s7, s1, s7
	v_mov_b32_e32 v2, 0
	global_load_dword v1, v2, s[6:7] glc
	s_waitcnt vmcnt(0)
	v_and_b32_e32 v3, 0xff0000, v1
	v_cmp_ne_u32_e32 vcc, 0, v3
	s_cbranch_vccnz .LBB7_4
.LBB7_3:                                ; =>This Inner Loop Header: Depth=1
	global_load_dword v1, v2, s[6:7] glc
	s_waitcnt vmcnt(0)
	v_and_b32_e32 v3, 0xff0000, v1
	v_cmp_eq_u32_e32 vcc, 0, v3
	s_cbranch_vccnz .LBB7_3
.LBB7_4:
	v_mov_b32_e32 v2, 0
	global_store_short v2, v1, s[8:9]
.LBB7_5:
	s_or_b64 exec, exec, s[4:5]
.LBB7_6:
	v_cmp_gt_u32_e32 vcc, s2, v0
	s_and_saveexec_b64 s[2:3], vcc
	s_cbranch_execnz .LBB7_9
; %bb.7:
	s_or_b64 exec, exec, s[2:3]
	v_cmp_gt_u32_e32 vcc, 64, v0
	s_and_saveexec_b64 s[2:3], vcc
	s_cbranch_execnz .LBB7_10
.LBB7_8:
	s_endpgm
.LBB7_9:
	v_add_u32_e32 v1, 64, v0
	v_mov_b32_e32 v2, 0
	v_lshlrev_b64 v[3:4], 2, v[1:2]
	v_mov_b32_e32 v1, s1
	v_add_co_u32_e32 v3, vcc, s0, v3
	v_addc_co_u32_e32 v4, vcc, v1, v4, vcc
	global_store_dword v[3:4], v2, off
	s_or_b64 exec, exec, s[2:3]
	v_cmp_gt_u32_e32 vcc, 64, v0
	s_and_saveexec_b64 s[2:3], vcc
	s_cbranch_execz .LBB7_8
.LBB7_10:
	v_mov_b32_e32 v1, 0
	v_lshlrev_b64 v[0:1], 2, v[0:1]
	v_mov_b32_e32 v2, s1
	v_add_co_u32_e32 v0, vcc, s0, v0
	v_addc_co_u32_e32 v1, vcc, v2, v1, vcc
	v_mov_b32_e32 v2, 0xff0000
	global_store_dword v[0:1], v2, off
	s_endpgm
	.section	.rodata,"a",@progbits
	.p2align	6, 0x0
	.amdhsa_kernel _ZN7rocprim6detail31init_lookback_scan_state_kernelINS0_19lookback_scan_stateI6__halfLb0ELb1EEEEEvT_jjPNS5_10value_typeE
		.amdhsa_group_segment_fixed_size 0
		.amdhsa_private_segment_fixed_size 0
		.amdhsa_kernarg_size 280
		.amdhsa_user_sgpr_count 6
		.amdhsa_user_sgpr_private_segment_buffer 1
		.amdhsa_user_sgpr_dispatch_ptr 0
		.amdhsa_user_sgpr_queue_ptr 0
		.amdhsa_user_sgpr_kernarg_segment_ptr 1
		.amdhsa_user_sgpr_dispatch_id 0
		.amdhsa_user_sgpr_flat_scratch_init 0
		.amdhsa_user_sgpr_private_segment_size 0
		.amdhsa_uses_dynamic_stack 0
		.amdhsa_system_sgpr_private_segment_wavefront_offset 0
		.amdhsa_system_sgpr_workgroup_id_x 1
		.amdhsa_system_sgpr_workgroup_id_y 0
		.amdhsa_system_sgpr_workgroup_id_z 0
		.amdhsa_system_sgpr_workgroup_info 0
		.amdhsa_system_vgpr_workitem_id 0
		.amdhsa_next_free_vgpr 5
		.amdhsa_next_free_sgpr 10
		.amdhsa_reserve_vcc 1
		.amdhsa_reserve_flat_scratch 0
		.amdhsa_float_round_mode_32 0
		.amdhsa_float_round_mode_16_64 0
		.amdhsa_float_denorm_mode_32 3
		.amdhsa_float_denorm_mode_16_64 3
		.amdhsa_dx10_clamp 1
		.amdhsa_ieee_mode 1
		.amdhsa_fp16_overflow 0
		.amdhsa_exception_fp_ieee_invalid_op 0
		.amdhsa_exception_fp_denorm_src 0
		.amdhsa_exception_fp_ieee_div_zero 0
		.amdhsa_exception_fp_ieee_overflow 0
		.amdhsa_exception_fp_ieee_underflow 0
		.amdhsa_exception_fp_ieee_inexact 0
		.amdhsa_exception_int_div_zero 0
	.end_amdhsa_kernel
	.section	.text._ZN7rocprim6detail31init_lookback_scan_state_kernelINS0_19lookback_scan_stateI6__halfLb0ELb1EEEEEvT_jjPNS5_10value_typeE,"axG",@progbits,_ZN7rocprim6detail31init_lookback_scan_state_kernelINS0_19lookback_scan_stateI6__halfLb0ELb1EEEEEvT_jjPNS5_10value_typeE,comdat
.Lfunc_end7:
	.size	_ZN7rocprim6detail31init_lookback_scan_state_kernelINS0_19lookback_scan_stateI6__halfLb0ELb1EEEEEvT_jjPNS5_10value_typeE, .Lfunc_end7-_ZN7rocprim6detail31init_lookback_scan_state_kernelINS0_19lookback_scan_stateI6__halfLb0ELb1EEEEEvT_jjPNS5_10value_typeE
                                        ; -- End function
	.set _ZN7rocprim6detail31init_lookback_scan_state_kernelINS0_19lookback_scan_stateI6__halfLb0ELb1EEEEEvT_jjPNS5_10value_typeE.num_vgpr, 5
	.set _ZN7rocprim6detail31init_lookback_scan_state_kernelINS0_19lookback_scan_stateI6__halfLb0ELb1EEEEEvT_jjPNS5_10value_typeE.num_agpr, 0
	.set _ZN7rocprim6detail31init_lookback_scan_state_kernelINS0_19lookback_scan_stateI6__halfLb0ELb1EEEEEvT_jjPNS5_10value_typeE.numbered_sgpr, 10
	.set _ZN7rocprim6detail31init_lookback_scan_state_kernelINS0_19lookback_scan_stateI6__halfLb0ELb1EEEEEvT_jjPNS5_10value_typeE.num_named_barrier, 0
	.set _ZN7rocprim6detail31init_lookback_scan_state_kernelINS0_19lookback_scan_stateI6__halfLb0ELb1EEEEEvT_jjPNS5_10value_typeE.private_seg_size, 0
	.set _ZN7rocprim6detail31init_lookback_scan_state_kernelINS0_19lookback_scan_stateI6__halfLb0ELb1EEEEEvT_jjPNS5_10value_typeE.uses_vcc, 1
	.set _ZN7rocprim6detail31init_lookback_scan_state_kernelINS0_19lookback_scan_stateI6__halfLb0ELb1EEEEEvT_jjPNS5_10value_typeE.uses_flat_scratch, 0
	.set _ZN7rocprim6detail31init_lookback_scan_state_kernelINS0_19lookback_scan_stateI6__halfLb0ELb1EEEEEvT_jjPNS5_10value_typeE.has_dyn_sized_stack, 0
	.set _ZN7rocprim6detail31init_lookback_scan_state_kernelINS0_19lookback_scan_stateI6__halfLb0ELb1EEEEEvT_jjPNS5_10value_typeE.has_recursion, 0
	.set _ZN7rocprim6detail31init_lookback_scan_state_kernelINS0_19lookback_scan_stateI6__halfLb0ELb1EEEEEvT_jjPNS5_10value_typeE.has_indirect_call, 0
	.section	.AMDGPU.csdata,"",@progbits
; Kernel info:
; codeLenInByte = 296
; TotalNumSgprs: 14
; NumVgprs: 5
; ScratchSize: 0
; MemoryBound: 0
; FloatMode: 240
; IeeeMode: 1
; LDSByteSize: 0 bytes/workgroup (compile time only)
; SGPRBlocks: 1
; VGPRBlocks: 1
; NumSGPRsForWavesPerEU: 14
; NumVGPRsForWavesPerEU: 5
; Occupancy: 10
; WaveLimiterHint : 0
; COMPUTE_PGM_RSRC2:SCRATCH_EN: 0
; COMPUTE_PGM_RSRC2:USER_SGPR: 6
; COMPUTE_PGM_RSRC2:TRAP_HANDLER: 0
; COMPUTE_PGM_RSRC2:TGID_X_EN: 1
; COMPUTE_PGM_RSRC2:TGID_Y_EN: 0
; COMPUTE_PGM_RSRC2:TGID_Z_EN: 0
; COMPUTE_PGM_RSRC2:TIDIG_COMP_CNT: 0
	.section	.text._ZN7rocprim6detail20lookback_scan_kernelILNS0_25lookback_scan_determinismE0ELb0ENS0_19wrapped_scan_configINS_14default_configE6__halfEEPS5_S7_N6hipcub3MaxES5_S5_NS0_19lookback_scan_stateIS5_Lb1ELb1EEEEEvT2_T3_mT5_T4_T7_jPT6_SI_bb,"axG",@progbits,_ZN7rocprim6detail20lookback_scan_kernelILNS0_25lookback_scan_determinismE0ELb0ENS0_19wrapped_scan_configINS_14default_configE6__halfEEPS5_S7_N6hipcub3MaxES5_S5_NS0_19lookback_scan_stateIS5_Lb1ELb1EEEEEvT2_T3_mT5_T4_T7_jPT6_SI_bb,comdat
	.protected	_ZN7rocprim6detail20lookback_scan_kernelILNS0_25lookback_scan_determinismE0ELb0ENS0_19wrapped_scan_configINS_14default_configE6__halfEEPS5_S7_N6hipcub3MaxES5_S5_NS0_19lookback_scan_stateIS5_Lb1ELb1EEEEEvT2_T3_mT5_T4_T7_jPT6_SI_bb ; -- Begin function _ZN7rocprim6detail20lookback_scan_kernelILNS0_25lookback_scan_determinismE0ELb0ENS0_19wrapped_scan_configINS_14default_configE6__halfEEPS5_S7_N6hipcub3MaxES5_S5_NS0_19lookback_scan_stateIS5_Lb1ELb1EEEEEvT2_T3_mT5_T4_T7_jPT6_SI_bb
	.globl	_ZN7rocprim6detail20lookback_scan_kernelILNS0_25lookback_scan_determinismE0ELb0ENS0_19wrapped_scan_configINS_14default_configE6__halfEEPS5_S7_N6hipcub3MaxES5_S5_NS0_19lookback_scan_stateIS5_Lb1ELb1EEEEEvT2_T3_mT5_T4_T7_jPT6_SI_bb
	.p2align	8
	.type	_ZN7rocprim6detail20lookback_scan_kernelILNS0_25lookback_scan_determinismE0ELb0ENS0_19wrapped_scan_configINS_14default_configE6__halfEEPS5_S7_N6hipcub3MaxES5_S5_NS0_19lookback_scan_stateIS5_Lb1ELb1EEEEEvT2_T3_mT5_T4_T7_jPT6_SI_bb,@function
_ZN7rocprim6detail20lookback_scan_kernelILNS0_25lookback_scan_determinismE0ELb0ENS0_19wrapped_scan_configINS_14default_configE6__halfEEPS5_S7_N6hipcub3MaxES5_S5_NS0_19lookback_scan_stateIS5_Lb1ELb1EEEEEvT2_T3_mT5_T4_T7_jPT6_SI_bb: ; @_ZN7rocprim6detail20lookback_scan_kernelILNS0_25lookback_scan_determinismE0ELb0ENS0_19wrapped_scan_configINS_14default_configE6__halfEEPS5_S7_N6hipcub3MaxES5_S5_NS0_19lookback_scan_stateIS5_Lb1ELb1EEEEEvT2_T3_mT5_T4_T7_jPT6_SI_bb
; %bb.0:
	s_endpgm
	.section	.rodata,"a",@progbits
	.p2align	6, 0x0
	.amdhsa_kernel _ZN7rocprim6detail20lookback_scan_kernelILNS0_25lookback_scan_determinismE0ELb0ENS0_19wrapped_scan_configINS_14default_configE6__halfEEPS5_S7_N6hipcub3MaxES5_S5_NS0_19lookback_scan_stateIS5_Lb1ELb1EEEEEvT2_T3_mT5_T4_T7_jPT6_SI_bb
		.amdhsa_group_segment_fixed_size 0
		.amdhsa_private_segment_fixed_size 0
		.amdhsa_kernarg_size 68
		.amdhsa_user_sgpr_count 6
		.amdhsa_user_sgpr_private_segment_buffer 1
		.amdhsa_user_sgpr_dispatch_ptr 0
		.amdhsa_user_sgpr_queue_ptr 0
		.amdhsa_user_sgpr_kernarg_segment_ptr 1
		.amdhsa_user_sgpr_dispatch_id 0
		.amdhsa_user_sgpr_flat_scratch_init 0
		.amdhsa_user_sgpr_private_segment_size 0
		.amdhsa_uses_dynamic_stack 0
		.amdhsa_system_sgpr_private_segment_wavefront_offset 0
		.amdhsa_system_sgpr_workgroup_id_x 1
		.amdhsa_system_sgpr_workgroup_id_y 0
		.amdhsa_system_sgpr_workgroup_id_z 0
		.amdhsa_system_sgpr_workgroup_info 0
		.amdhsa_system_vgpr_workitem_id 0
		.amdhsa_next_free_vgpr 1
		.amdhsa_next_free_sgpr 0
		.amdhsa_reserve_vcc 0
		.amdhsa_reserve_flat_scratch 0
		.amdhsa_float_round_mode_32 0
		.amdhsa_float_round_mode_16_64 0
		.amdhsa_float_denorm_mode_32 3
		.amdhsa_float_denorm_mode_16_64 3
		.amdhsa_dx10_clamp 1
		.amdhsa_ieee_mode 1
		.amdhsa_fp16_overflow 0
		.amdhsa_exception_fp_ieee_invalid_op 0
		.amdhsa_exception_fp_denorm_src 0
		.amdhsa_exception_fp_ieee_div_zero 0
		.amdhsa_exception_fp_ieee_overflow 0
		.amdhsa_exception_fp_ieee_underflow 0
		.amdhsa_exception_fp_ieee_inexact 0
		.amdhsa_exception_int_div_zero 0
	.end_amdhsa_kernel
	.section	.text._ZN7rocprim6detail20lookback_scan_kernelILNS0_25lookback_scan_determinismE0ELb0ENS0_19wrapped_scan_configINS_14default_configE6__halfEEPS5_S7_N6hipcub3MaxES5_S5_NS0_19lookback_scan_stateIS5_Lb1ELb1EEEEEvT2_T3_mT5_T4_T7_jPT6_SI_bb,"axG",@progbits,_ZN7rocprim6detail20lookback_scan_kernelILNS0_25lookback_scan_determinismE0ELb0ENS0_19wrapped_scan_configINS_14default_configE6__halfEEPS5_S7_N6hipcub3MaxES5_S5_NS0_19lookback_scan_stateIS5_Lb1ELb1EEEEEvT2_T3_mT5_T4_T7_jPT6_SI_bb,comdat
.Lfunc_end8:
	.size	_ZN7rocprim6detail20lookback_scan_kernelILNS0_25lookback_scan_determinismE0ELb0ENS0_19wrapped_scan_configINS_14default_configE6__halfEEPS5_S7_N6hipcub3MaxES5_S5_NS0_19lookback_scan_stateIS5_Lb1ELb1EEEEEvT2_T3_mT5_T4_T7_jPT6_SI_bb, .Lfunc_end8-_ZN7rocprim6detail20lookback_scan_kernelILNS0_25lookback_scan_determinismE0ELb0ENS0_19wrapped_scan_configINS_14default_configE6__halfEEPS5_S7_N6hipcub3MaxES5_S5_NS0_19lookback_scan_stateIS5_Lb1ELb1EEEEEvT2_T3_mT5_T4_T7_jPT6_SI_bb
                                        ; -- End function
	.set _ZN7rocprim6detail20lookback_scan_kernelILNS0_25lookback_scan_determinismE0ELb0ENS0_19wrapped_scan_configINS_14default_configE6__halfEEPS5_S7_N6hipcub3MaxES5_S5_NS0_19lookback_scan_stateIS5_Lb1ELb1EEEEEvT2_T3_mT5_T4_T7_jPT6_SI_bb.num_vgpr, 0
	.set _ZN7rocprim6detail20lookback_scan_kernelILNS0_25lookback_scan_determinismE0ELb0ENS0_19wrapped_scan_configINS_14default_configE6__halfEEPS5_S7_N6hipcub3MaxES5_S5_NS0_19lookback_scan_stateIS5_Lb1ELb1EEEEEvT2_T3_mT5_T4_T7_jPT6_SI_bb.num_agpr, 0
	.set _ZN7rocprim6detail20lookback_scan_kernelILNS0_25lookback_scan_determinismE0ELb0ENS0_19wrapped_scan_configINS_14default_configE6__halfEEPS5_S7_N6hipcub3MaxES5_S5_NS0_19lookback_scan_stateIS5_Lb1ELb1EEEEEvT2_T3_mT5_T4_T7_jPT6_SI_bb.numbered_sgpr, 0
	.set _ZN7rocprim6detail20lookback_scan_kernelILNS0_25lookback_scan_determinismE0ELb0ENS0_19wrapped_scan_configINS_14default_configE6__halfEEPS5_S7_N6hipcub3MaxES5_S5_NS0_19lookback_scan_stateIS5_Lb1ELb1EEEEEvT2_T3_mT5_T4_T7_jPT6_SI_bb.num_named_barrier, 0
	.set _ZN7rocprim6detail20lookback_scan_kernelILNS0_25lookback_scan_determinismE0ELb0ENS0_19wrapped_scan_configINS_14default_configE6__halfEEPS5_S7_N6hipcub3MaxES5_S5_NS0_19lookback_scan_stateIS5_Lb1ELb1EEEEEvT2_T3_mT5_T4_T7_jPT6_SI_bb.private_seg_size, 0
	.set _ZN7rocprim6detail20lookback_scan_kernelILNS0_25lookback_scan_determinismE0ELb0ENS0_19wrapped_scan_configINS_14default_configE6__halfEEPS5_S7_N6hipcub3MaxES5_S5_NS0_19lookback_scan_stateIS5_Lb1ELb1EEEEEvT2_T3_mT5_T4_T7_jPT6_SI_bb.uses_vcc, 0
	.set _ZN7rocprim6detail20lookback_scan_kernelILNS0_25lookback_scan_determinismE0ELb0ENS0_19wrapped_scan_configINS_14default_configE6__halfEEPS5_S7_N6hipcub3MaxES5_S5_NS0_19lookback_scan_stateIS5_Lb1ELb1EEEEEvT2_T3_mT5_T4_T7_jPT6_SI_bb.uses_flat_scratch, 0
	.set _ZN7rocprim6detail20lookback_scan_kernelILNS0_25lookback_scan_determinismE0ELb0ENS0_19wrapped_scan_configINS_14default_configE6__halfEEPS5_S7_N6hipcub3MaxES5_S5_NS0_19lookback_scan_stateIS5_Lb1ELb1EEEEEvT2_T3_mT5_T4_T7_jPT6_SI_bb.has_dyn_sized_stack, 0
	.set _ZN7rocprim6detail20lookback_scan_kernelILNS0_25lookback_scan_determinismE0ELb0ENS0_19wrapped_scan_configINS_14default_configE6__halfEEPS5_S7_N6hipcub3MaxES5_S5_NS0_19lookback_scan_stateIS5_Lb1ELb1EEEEEvT2_T3_mT5_T4_T7_jPT6_SI_bb.has_recursion, 0
	.set _ZN7rocprim6detail20lookback_scan_kernelILNS0_25lookback_scan_determinismE0ELb0ENS0_19wrapped_scan_configINS_14default_configE6__halfEEPS5_S7_N6hipcub3MaxES5_S5_NS0_19lookback_scan_stateIS5_Lb1ELb1EEEEEvT2_T3_mT5_T4_T7_jPT6_SI_bb.has_indirect_call, 0
	.section	.AMDGPU.csdata,"",@progbits
; Kernel info:
; codeLenInByte = 4
; TotalNumSgprs: 4
; NumVgprs: 0
; ScratchSize: 0
; MemoryBound: 0
; FloatMode: 240
; IeeeMode: 1
; LDSByteSize: 0 bytes/workgroup (compile time only)
; SGPRBlocks: 0
; VGPRBlocks: 0
; NumSGPRsForWavesPerEU: 4
; NumVGPRsForWavesPerEU: 1
; Occupancy: 10
; WaveLimiterHint : 0
; COMPUTE_PGM_RSRC2:SCRATCH_EN: 0
; COMPUTE_PGM_RSRC2:USER_SGPR: 6
; COMPUTE_PGM_RSRC2:TRAP_HANDLER: 0
; COMPUTE_PGM_RSRC2:TGID_X_EN: 1
; COMPUTE_PGM_RSRC2:TGID_Y_EN: 0
; COMPUTE_PGM_RSRC2:TGID_Z_EN: 0
; COMPUTE_PGM_RSRC2:TIDIG_COMP_CNT: 0
	.section	.text._ZN7rocprim6detail20lookback_scan_kernelILNS0_25lookback_scan_determinismE0ELb0ENS0_19wrapped_scan_configINS_14default_configE6__halfEEPS5_S7_N6hipcub3MaxES5_S5_NS0_19lookback_scan_stateIS5_Lb0ELb1EEEEEvT2_T3_mT5_T4_T7_jPT6_SI_bb,"axG",@progbits,_ZN7rocprim6detail20lookback_scan_kernelILNS0_25lookback_scan_determinismE0ELb0ENS0_19wrapped_scan_configINS_14default_configE6__halfEEPS5_S7_N6hipcub3MaxES5_S5_NS0_19lookback_scan_stateIS5_Lb0ELb1EEEEEvT2_T3_mT5_T4_T7_jPT6_SI_bb,comdat
	.protected	_ZN7rocprim6detail20lookback_scan_kernelILNS0_25lookback_scan_determinismE0ELb0ENS0_19wrapped_scan_configINS_14default_configE6__halfEEPS5_S7_N6hipcub3MaxES5_S5_NS0_19lookback_scan_stateIS5_Lb0ELb1EEEEEvT2_T3_mT5_T4_T7_jPT6_SI_bb ; -- Begin function _ZN7rocprim6detail20lookback_scan_kernelILNS0_25lookback_scan_determinismE0ELb0ENS0_19wrapped_scan_configINS_14default_configE6__halfEEPS5_S7_N6hipcub3MaxES5_S5_NS0_19lookback_scan_stateIS5_Lb0ELb1EEEEEvT2_T3_mT5_T4_T7_jPT6_SI_bb
	.globl	_ZN7rocprim6detail20lookback_scan_kernelILNS0_25lookback_scan_determinismE0ELb0ENS0_19wrapped_scan_configINS_14default_configE6__halfEEPS5_S7_N6hipcub3MaxES5_S5_NS0_19lookback_scan_stateIS5_Lb0ELb1EEEEEvT2_T3_mT5_T4_T7_jPT6_SI_bb
	.p2align	8
	.type	_ZN7rocprim6detail20lookback_scan_kernelILNS0_25lookback_scan_determinismE0ELb0ENS0_19wrapped_scan_configINS_14default_configE6__halfEEPS5_S7_N6hipcub3MaxES5_S5_NS0_19lookback_scan_stateIS5_Lb0ELb1EEEEEvT2_T3_mT5_T4_T7_jPT6_SI_bb,@function
_ZN7rocprim6detail20lookback_scan_kernelILNS0_25lookback_scan_determinismE0ELb0ENS0_19wrapped_scan_configINS_14default_configE6__halfEEPS5_S7_N6hipcub3MaxES5_S5_NS0_19lookback_scan_stateIS5_Lb0ELb1EEEEEvT2_T3_mT5_T4_T7_jPT6_SI_bb: ; @_ZN7rocprim6detail20lookback_scan_kernelILNS0_25lookback_scan_determinismE0ELb0ENS0_19wrapped_scan_configINS_14default_configE6__halfEEPS5_S7_N6hipcub3MaxES5_S5_NS0_19lookback_scan_stateIS5_Lb0ELb1EEEEEvT2_T3_mT5_T4_T7_jPT6_SI_bb
; %bb.0:
	s_load_dword s3, s[4:5], 0x28
	s_load_dwordx4 s[12:15], s[4:5], 0x0
	s_load_dwordx2 s[0:1], s[4:5], 0x10
	s_mul_i32 s2, s6, 0x1800
	v_lshlrev_b32_e32 v19, 1, v0
	s_waitcnt lgkmcnt(0)
	s_add_i32 s7, s3, -1
	s_mul_i32 s8, s7, 0x1800
	s_sub_u32 s20, s0, s8
	s_subb_u32 s21, s1, 0
	s_mov_b32 s3, 0
	s_cmp_lg_u32 s6, s7
	s_cselect_b64 s[16:17], -1, 0
	s_lshl_b64 s[18:19], s[2:3], 1
	s_add_u32 s2, s12, s18
	s_addc_u32 s3, s13, s19
	s_mov_b64 s[0:1], -1
	s_and_b64 vcc, exec, s[16:17]
	s_cbranch_vccz .LBB9_2
; %bb.1:
	v_mov_b32_e32 v1, s3
	v_add_co_u32_e32 v3, vcc, s2, v19
	v_addc_co_u32_e32 v4, vcc, 0, v1, vcc
	v_add_co_u32_e32 v1, vcc, 0x1000, v3
	v_addc_co_u32_e32 v2, vcc, 0, v4, vcc
	global_load_ushort v5, v19, s[2:3]
	global_load_ushort v6, v19, s[2:3] offset:512
	global_load_ushort v7, v19, s[2:3] offset:1024
	;; [unrolled: 1-line block ×7, first 2 shown]
	global_load_ushort v13, v[1:2], off
	global_load_ushort v14, v[1:2], off offset:512
	global_load_ushort v15, v[1:2], off offset:1024
	;; [unrolled: 1-line block ×7, first 2 shown]
	v_add_co_u32_e32 v1, vcc, 0x2000, v3
	v_addc_co_u32_e32 v2, vcc, 0, v4, vcc
	global_load_ushort v3, v[1:2], off
	global_load_ushort v4, v[1:2], off offset:512
	global_load_ushort v22, v[1:2], off offset:1024
	;; [unrolled: 1-line block ×7, first 2 shown]
	s_mov_b64 s[0:1], 0
	s_waitcnt vmcnt(23)
	ds_write_b16 v19, v5
	s_waitcnt vmcnt(22)
	ds_write_b16 v19, v6 offset:512
	s_waitcnt vmcnt(21)
	ds_write_b16 v19, v7 offset:1024
	;; [unrolled: 2-line block ×23, first 2 shown]
	s_waitcnt lgkmcnt(0)
	s_barrier
.LBB9_2:
	s_andn2_b64 vcc, exec, s[0:1]
	v_cmp_gt_u32_e64 s[0:1], s20, v0
	s_cbranch_vccnz .LBB9_52
; %bb.3:
	v_mov_b32_e32 v1, 0
	global_load_ushort v3, v1, s[2:3]
	v_mov_b32_e32 v2, s3
	v_add_co_u32_e32 v1, vcc, s2, v19
	v_addc_co_u32_e32 v2, vcc, 0, v2, vcc
	s_waitcnt vmcnt(0)
	v_mov_b32_e32 v4, v3
	s_and_saveexec_b64 s[2:3], s[0:1]
	s_cbranch_execz .LBB9_5
; %bb.4:
	global_load_ushort v4, v[1:2], off
.LBB9_5:
	s_or_b64 exec, exec, s[2:3]
	v_or_b32_e32 v5, 0x100, v0
	v_cmp_gt_u32_e32 vcc, s20, v5
	v_mov_b32_e32 v5, v3
	s_and_saveexec_b64 s[0:1], vcc
	s_cbranch_execz .LBB9_7
; %bb.6:
	global_load_ushort v5, v[1:2], off offset:512
.LBB9_7:
	s_or_b64 exec, exec, s[0:1]
	v_or_b32_e32 v6, 0x200, v0
	v_cmp_gt_u32_e32 vcc, s20, v6
	v_mov_b32_e32 v6, v3
	s_and_saveexec_b64 s[0:1], vcc
	s_cbranch_execz .LBB9_9
; %bb.8:
	global_load_ushort v6, v[1:2], off offset:1024
.LBB9_9:
	;; [unrolled: 9-line block ×7, first 2 shown]
	s_or_b64 exec, exec, s[0:1]
	v_or_b32_e32 v12, 0x800, v0
	v_cmp_gt_u32_e32 vcc, s20, v12
	v_mov_b32_e32 v12, v3
	s_and_saveexec_b64 s[0:1], vcc
	s_cbranch_execz .LBB9_21
; %bb.20:
	v_add_co_u32_e32 v12, vcc, 0x1000, v1
	v_addc_co_u32_e32 v13, vcc, 0, v2, vcc
	global_load_ushort v12, v[12:13], off
.LBB9_21:
	s_or_b64 exec, exec, s[0:1]
	v_or_b32_e32 v13, 0x900, v0
	v_cmp_gt_u32_e32 vcc, s20, v13
	v_mov_b32_e32 v13, v3
	s_and_saveexec_b64 s[0:1], vcc
	s_cbranch_execz .LBB9_23
; %bb.22:
	v_add_co_u32_e32 v13, vcc, 0x1000, v1
	v_addc_co_u32_e32 v14, vcc, 0, v2, vcc
	global_load_ushort v13, v[13:14], off offset:512
.LBB9_23:
	s_or_b64 exec, exec, s[0:1]
	v_or_b32_e32 v14, 0xa00, v0
	v_cmp_gt_u32_e32 vcc, s20, v14
	v_mov_b32_e32 v14, v3
	s_and_saveexec_b64 s[0:1], vcc
	s_cbranch_execz .LBB9_25
; %bb.24:
	v_add_co_u32_e32 v14, vcc, 0x1000, v1
	v_addc_co_u32_e32 v15, vcc, 0, v2, vcc
	global_load_ushort v14, v[14:15], off offset:1024
.LBB9_25:
	s_or_b64 exec, exec, s[0:1]
	v_or_b32_e32 v15, 0xb00, v0
	v_cmp_gt_u32_e32 vcc, s20, v15
	v_mov_b32_e32 v15, v3
	s_and_saveexec_b64 s[0:1], vcc
	s_cbranch_execz .LBB9_27
; %bb.26:
	v_add_co_u32_e32 v15, vcc, 0x1000, v1
	v_addc_co_u32_e32 v16, vcc, 0, v2, vcc
	global_load_ushort v15, v[15:16], off offset:1536
.LBB9_27:
	s_or_b64 exec, exec, s[0:1]
	v_or_b32_e32 v16, 0xc00, v0
	v_cmp_gt_u32_e32 vcc, s20, v16
	v_mov_b32_e32 v16, v3
	s_and_saveexec_b64 s[0:1], vcc
	s_cbranch_execz .LBB9_29
; %bb.28:
	v_add_co_u32_e32 v16, vcc, 0x1000, v1
	v_addc_co_u32_e32 v17, vcc, 0, v2, vcc
	global_load_ushort v16, v[16:17], off offset:2048
.LBB9_29:
	s_or_b64 exec, exec, s[0:1]
	v_or_b32_e32 v17, 0xd00, v0
	v_cmp_gt_u32_e32 vcc, s20, v17
	v_mov_b32_e32 v17, v3
	s_and_saveexec_b64 s[0:1], vcc
	s_cbranch_execz .LBB9_31
; %bb.30:
	v_add_co_u32_e32 v17, vcc, 0x1000, v1
	v_addc_co_u32_e32 v18, vcc, 0, v2, vcc
	global_load_ushort v17, v[17:18], off offset:2560
.LBB9_31:
	s_or_b64 exec, exec, s[0:1]
	v_or_b32_e32 v18, 0xe00, v0
	v_cmp_gt_u32_e32 vcc, s20, v18
	v_mov_b32_e32 v18, v3
	s_and_saveexec_b64 s[0:1], vcc
	s_cbranch_execz .LBB9_33
; %bb.32:
	v_add_co_u32_e32 v20, vcc, 0x1000, v1
	v_addc_co_u32_e32 v21, vcc, 0, v2, vcc
	global_load_ushort v18, v[20:21], off offset:3072
.LBB9_33:
	s_or_b64 exec, exec, s[0:1]
	v_or_b32_e32 v20, 0xf00, v0
	v_cmp_gt_u32_e32 vcc, s20, v20
	v_mov_b32_e32 v20, v3
	s_and_saveexec_b64 s[0:1], vcc
	s_cbranch_execz .LBB9_35
; %bb.34:
	v_add_co_u32_e32 v20, vcc, 0x1000, v1
	v_addc_co_u32_e32 v21, vcc, 0, v2, vcc
	global_load_ushort v20, v[20:21], off offset:3584
.LBB9_35:
	s_or_b64 exec, exec, s[0:1]
	v_or_b32_e32 v21, 0x1000, v0
	v_cmp_gt_u32_e32 vcc, s20, v21
	v_mov_b32_e32 v21, v3
	s_and_saveexec_b64 s[0:1], vcc
	s_cbranch_execz .LBB9_37
; %bb.36:
	v_add_co_u32_e32 v21, vcc, 0x2000, v1
	v_addc_co_u32_e32 v22, vcc, 0, v2, vcc
	global_load_ushort v21, v[21:22], off
.LBB9_37:
	s_or_b64 exec, exec, s[0:1]
	v_or_b32_e32 v22, 0x1100, v0
	v_cmp_gt_u32_e32 vcc, s20, v22
	v_mov_b32_e32 v22, v3
	s_and_saveexec_b64 s[0:1], vcc
	s_cbranch_execz .LBB9_39
; %bb.38:
	v_add_co_u32_e32 v22, vcc, 0x2000, v1
	v_addc_co_u32_e32 v23, vcc, 0, v2, vcc
	global_load_ushort v22, v[22:23], off offset:512
.LBB9_39:
	s_or_b64 exec, exec, s[0:1]
	v_or_b32_e32 v23, 0x1200, v0
	v_cmp_gt_u32_e32 vcc, s20, v23
	v_mov_b32_e32 v23, v3
	s_and_saveexec_b64 s[0:1], vcc
	s_cbranch_execz .LBB9_41
; %bb.40:
	v_add_co_u32_e32 v23, vcc, 0x2000, v1
	v_addc_co_u32_e32 v24, vcc, 0, v2, vcc
	global_load_ushort v23, v[23:24], off offset:1024
.LBB9_41:
	;; [unrolled: 11-line block ×6, first 2 shown]
	s_or_b64 exec, exec, s[0:1]
	v_or_b32_e32 v28, 0x1700, v0
	v_cmp_gt_u32_e32 vcc, s20, v28
	s_and_saveexec_b64 s[0:1], vcc
	s_cbranch_execz .LBB9_51
; %bb.50:
	v_add_co_u32_e32 v1, vcc, 0x2000, v1
	v_addc_co_u32_e32 v2, vcc, 0, v2, vcc
	global_load_ushort v3, v[1:2], off offset:3584
.LBB9_51:
	s_or_b64 exec, exec, s[0:1]
	s_waitcnt vmcnt(0)
	ds_write_b16 v19, v4
	ds_write_b16 v19, v5 offset:512
	ds_write_b16 v19, v6 offset:1024
	;; [unrolled: 1-line block ×23, first 2 shown]
	s_waitcnt lgkmcnt(0)
	s_barrier
.LBB9_52:
	v_mul_u32_u24_e32 v20, 48, v0
	ds_read_b128 v[9:12], v20
	ds_read_b128 v[5:8], v20 offset:16
	ds_read_b128 v[1:4], v20 offset:32
	s_load_dwordx2 s[12:13], s[4:5], 0x20
	s_cmp_lg_u32 s6, 0
	v_mbcnt_lo_u32_b32 v35, -1, 0
	s_waitcnt lgkmcnt(0)
	v_lshrrev_b32_e32 v32, 16, v9
	v_lshrrev_b32_e32 v31, 16, v10
	;; [unrolled: 1-line block ×13, first 2 shown]
	v_or_b32_e32 v34, 63, v0
	s_barrier
	s_cbranch_scc0 .LBB9_74
; %bb.53:
	v_cmp_lt_f16_e32 vcc, v9, v32
	v_cndmask_b32_e32 v13, v9, v32, vcc
	v_cmp_lt_f16_e32 vcc, v13, v10
	v_cndmask_b32_e32 v13, v13, v10, vcc
	;; [unrolled: 2-line block ×23, first 2 shown]
	v_mbcnt_hi_u32_b32 v18, -1, v35
	v_and_b32_e32 v15, 0xffff, v13
	v_and_b32_e32 v14, 15, v18
	v_cmp_eq_u32_e32 vcc, 0, v14
	v_mov_b32_dpp v15, v15 row_shr:1 row_mask:0xf bank_mask:0xf
	v_cmp_gt_f16_e64 s[0:1], v13, v15
	s_or_b64 vcc, vcc, s[0:1]
	v_cndmask_b32_e32 v13, v15, v13, vcc
	v_and_b32_e32 v15, 0xffff, v13
	s_nop 1
	v_mov_b32_dpp v15, v15 row_shr:2 row_mask:0xf bank_mask:0xf
	v_cmp_gt_f16_e32 vcc, v13, v15
	v_cndmask_b32_e32 v15, v15, v13, vcc
	v_cmp_lt_u32_e32 vcc, 1, v14
	v_cndmask_b32_e32 v13, v13, v15, vcc
	v_and_b32_e32 v15, 0xffff, v13
	s_nop 1
	v_mov_b32_dpp v15, v15 row_shr:4 row_mask:0xf bank_mask:0xf
	v_cmp_gt_f16_e32 vcc, v13, v15
	v_cndmask_b32_e32 v15, v15, v13, vcc
	v_cmp_lt_u32_e32 vcc, 3, v14
	;; [unrolled: 7-line block ×3, first 2 shown]
	v_cndmask_b32_e32 v13, v13, v15, vcc
	v_and_b32_e32 v14, 0xffff, v13
	v_and_b32_e32 v15, 16, v18
	v_cmp_eq_u32_e32 vcc, 0, v15
	v_mov_b32_dpp v14, v14 row_bcast:15 row_mask:0xf bank_mask:0xf
	v_cmp_gt_f16_e64 s[0:1], v13, v14
	s_or_b64 vcc, vcc, s[0:1]
	v_cndmask_b32_e32 v13, v14, v13, vcc
	v_and_b32_e32 v14, 0xffff, v13
	s_nop 1
	v_mov_b32_dpp v14, v14 row_bcast:31 row_mask:0xf bank_mask:0xf
	v_cmp_gt_f16_e32 vcc, v13, v14
	v_cndmask_b32_e32 v14, v14, v13, vcc
	v_cmp_lt_u32_e32 vcc, 31, v18
	v_cndmask_b32_e32 v13, v13, v14, vcc
	v_cmp_eq_u32_e32 vcc, v0, v34
	s_and_saveexec_b64 s[0:1], vcc
; %bb.54:
	v_lshlrev_b32_e32 v14, 1, v33
	ds_write_b16 v14, v13
; %bb.55:
	s_or_b64 exec, exec, s[0:1]
	v_cmp_gt_u32_e32 vcc, 4, v0
	s_waitcnt lgkmcnt(0)
	s_barrier
	s_and_saveexec_b64 s[2:3], vcc
	s_cbranch_execz .LBB9_57
; %bb.56:
	ds_read_u16 v14, v19
	v_and_b32_e32 v15, 3, v18
	v_cmp_eq_u32_e32 vcc, 0, v15
	s_waitcnt lgkmcnt(0)
	v_and_b32_e32 v16, 0xffff, v14
	s_nop 1
	v_mov_b32_dpp v16, v16 row_shr:1 row_mask:0xf bank_mask:0xf
	v_cmp_lt_f16_e64 s[0:1], v16, v14
	s_or_b64 vcc, vcc, s[0:1]
	v_cndmask_b32_e32 v14, v16, v14, vcc
	v_and_b32_e32 v16, 0xffff, v14
	s_nop 1
	v_mov_b32_dpp v16, v16 row_shr:2 row_mask:0xf bank_mask:0xf
	v_cmp_gt_f16_e32 vcc, v14, v16
	v_cndmask_b32_e32 v16, v16, v14, vcc
	v_cmp_lt_u32_e32 vcc, 1, v15
	v_cndmask_b32_e32 v14, v14, v16, vcc
	ds_write_b16 v19, v14
.LBB9_57:
	s_or_b64 exec, exec, s[2:3]
	v_cmp_gt_u32_e32 vcc, 64, v0
	v_cmp_lt_u32_e64 s[0:1], 63, v0
	s_waitcnt lgkmcnt(0)
	s_barrier
                                        ; implicit-def: $vgpr36
	s_and_saveexec_b64 s[2:3], s[0:1]
	s_cbranch_execz .LBB9_59
; %bb.58:
	v_lshl_add_u32 v14, v33, 1, -2
	ds_read_u16 v36, v14
	s_waitcnt lgkmcnt(0)
	v_cmp_lt_f16_e64 s[0:1], v36, v13
	v_cndmask_b32_e64 v13, v36, v13, s[0:1]
.LBB9_59:
	s_or_b64 exec, exec, s[2:3]
	v_subrev_co_u32_e64 v14, s[0:1], 1, v18
	v_and_b32_e32 v15, 64, v18
	v_cmp_lt_i32_e64 s[2:3], v14, v15
	v_cndmask_b32_e64 v14, v14, v18, s[2:3]
	v_lshlrev_b32_e32 v14, 2, v14
	v_and_b32_e32 v13, 0xffff, v13
	ds_bpermute_b32 v37, v14, v13
	s_and_saveexec_b64 s[8:9], vcc
	s_cbranch_execz .LBB9_79
; %bb.60:
	v_mov_b32_e32 v15, 0
	ds_read_u16 v38, v15 offset:6
	s_and_saveexec_b64 s[2:3], s[0:1]
	s_cbranch_execz .LBB9_62
; %bb.61:
	s_add_i32 s10, s6, 64
	s_mov_b32 s11, 0
	s_lshl_b64 s[10:11], s[10:11], 2
	s_mov_b32 s7, 0x10000
	s_add_u32 s10, s12, s10
	s_waitcnt lgkmcnt(0)
	v_or_b32_sdwa v13, v38, s7 dst_sel:DWORD dst_unused:UNUSED_PAD src0_sel:WORD_0 src1_sel:DWORD
	s_addc_u32 s11, s13, s11
	global_store_dword v15, v13, s[10:11]
.LBB9_62:
	s_or_b64 exec, exec, s[2:3]
	v_xad_u32 v13, v18, -1, s6
	v_add_u32_e32 v14, 64, v13
	v_lshlrev_b64 v[16:17], 2, v[14:15]
	v_mov_b32_e32 v14, s13
	v_add_co_u32_e32 v16, vcc, s12, v16
	v_addc_co_u32_e32 v17, vcc, v14, v17, vcc
	global_load_dword v14, v[16:17], off glc
	s_waitcnt vmcnt(0)
	v_lshrrev_b32_e32 v39, 16, v14
	v_cmp_eq_u16_sdwa s[10:11], v39, v15 src0_sel:BYTE_0 src1_sel:DWORD
	s_and_saveexec_b64 s[2:3], s[10:11]
	s_cbranch_execz .LBB9_66
; %bb.63:
	s_mov_b64 s[10:11], 0
	v_mov_b32_e32 v15, 0
.LBB9_64:                               ; =>This Inner Loop Header: Depth=1
	global_load_dword v14, v[16:17], off glc
	s_waitcnt vmcnt(0)
	v_lshrrev_b32_e32 v39, 16, v14
	v_cmp_ne_u16_sdwa s[22:23], v39, v15 src0_sel:BYTE_0 src1_sel:DWORD
	s_or_b64 s[10:11], s[22:23], s[10:11]
	s_andn2_b64 exec, exec, s[10:11]
	s_cbranch_execnz .LBB9_64
; %bb.65:
	s_or_b64 exec, exec, s[10:11]
.LBB9_66:
	s_or_b64 exec, exec, s[2:3]
	v_and_b32_e32 v48, 63, v18
	v_cmp_ne_u32_e32 vcc, 63, v48
	v_addc_co_u32_e32 v41, vcc, 0, v18, vcc
	v_lshlrev_b32_e32 v41, 2, v41
	v_and_b32_e32 v43, 0xffff, v14
	v_mov_b32_e32 v40, 2
	v_lshlrev_b64 v[15:16], v18, -1
	ds_bpermute_b32 v44, v41, v43
	v_cmp_eq_u16_sdwa s[2:3], v39, v40 src0_sel:BYTE_0 src1_sel:DWORD
	v_and_b32_e32 v17, s3, v16
	v_or_b32_e32 v17, 0x80000000, v17
	v_and_b32_e32 v42, s2, v15
	v_ffbl_b32_e32 v17, v17
	v_add_u32_e32 v17, 32, v17
	v_ffbl_b32_e32 v42, v42
	s_waitcnt lgkmcnt(0)
	v_cmp_gt_f16_e32 vcc, v14, v44
	v_min_u32_e32 v17, v42, v17
	v_add_u32_e32 v42, 1, v18
	v_cndmask_b32_e32 v44, v44, v14, vcc
	v_and_b32_e32 v45, 0xffff, v44
	v_cmp_gt_u32_e32 vcc, v42, v17
	v_cmp_gt_u32_e64 s[2:3], 62, v48
	v_cndmask_b32_e32 v45, v45, v43, vcc
	v_cndmask_b32_e64 v43, 0, 2, s[2:3]
	v_add_lshl_u32 v43, v43, v18, 2
	ds_bpermute_b32 v46, v43, v45
	v_cndmask_b32_e32 v14, v44, v14, vcc
	v_add_u32_e32 v44, 2, v18
	v_cmp_gt_u32_e64 s[2:3], 60, v48
	s_waitcnt lgkmcnt(0)
	v_cmp_gt_f16_e32 vcc, v14, v46
	v_cndmask_b32_e32 v46, v46, v14, vcc
	v_and_b32_e32 v47, 0xffff, v46
	v_cmp_gt_u32_e32 vcc, v44, v17
	v_cndmask_b32_e32 v47, v47, v45, vcc
	v_cndmask_b32_e64 v45, 0, 4, s[2:3]
	v_add_lshl_u32 v45, v45, v18, 2
	ds_bpermute_b32 v49, v45, v47
	v_cndmask_b32_e32 v14, v46, v14, vcc
	v_add_u32_e32 v46, 4, v18
	v_cmp_gt_u32_e64 s[2:3], 56, v48
	s_waitcnt lgkmcnt(0)
	v_cmp_gt_f16_e32 vcc, v14, v49
	v_cndmask_b32_e32 v49, v49, v14, vcc
	v_and_b32_e32 v50, 0xffff, v49
	v_cmp_gt_u32_e32 vcc, v46, v17
	v_cndmask_b32_e32 v50, v50, v47, vcc
	v_cndmask_b32_e64 v47, 0, 8, s[2:3]
	v_add_lshl_u32 v47, v47, v18, 2
	ds_bpermute_b32 v51, v47, v50
	v_cndmask_b32_e32 v14, v49, v14, vcc
	v_add_u32_e32 v49, 8, v18
	v_cmp_gt_u32_e64 s[2:3], 48, v48
	v_cndmask_b32_e64 v48, 0, 16, s[2:3]
	s_waitcnt lgkmcnt(0)
	v_cmp_gt_f16_e32 vcc, v14, v51
	v_cndmask_b32_e32 v51, v51, v14, vcc
	v_and_b32_e32 v52, 0xffff, v51
	v_cmp_gt_u32_e32 vcc, v49, v17
	v_cndmask_b32_e32 v52, v52, v50, vcc
	v_add_lshl_u32 v50, v48, v18, 2
	ds_bpermute_b32 v48, v50, v52
	v_cndmask_b32_e32 v14, v51, v14, vcc
	v_add_u32_e32 v51, 16, v18
	s_waitcnt lgkmcnt(0)
	v_cmp_gt_f16_e32 vcc, v14, v48
	v_cndmask_b32_e32 v48, v48, v14, vcc
	v_and_b32_e32 v53, 0xffff, v48
	v_cmp_gt_u32_e32 vcc, v51, v17
	v_cndmask_b32_e32 v53, v53, v52, vcc
	v_mov_b32_e32 v52, 0x80
	v_lshl_or_b32 v52, v18, 2, v52
	ds_bpermute_b32 v54, v52, v53
	v_add_u32_e32 v53, 32, v18
	v_cndmask_b32_e32 v14, v48, v14, vcc
	v_cmp_gt_u32_e64 s[2:3], v53, v17
	s_waitcnt lgkmcnt(0)
	v_cmp_gt_f16_e32 vcc, v14, v54
	s_or_b64 vcc, s[2:3], vcc
	v_cndmask_b32_e32 v17, v54, v14, vcc
	v_mov_b32_e32 v14, 0
	s_branch .LBB9_70
.LBB9_67:                               ;   in Loop: Header=BB9_70 Depth=1
	s_or_b64 exec, exec, s[10:11]
.LBB9_68:                               ;   in Loop: Header=BB9_70 Depth=1
	s_or_b64 exec, exec, s[2:3]
	v_and_b32_e32 v55, 0xffff, v54
	ds_bpermute_b32 v56, v41, v55
	v_cmp_eq_u16_sdwa s[2:3], v39, v40 src0_sel:BYTE_0 src1_sel:DWORD
	v_and_b32_e32 v17, s3, v16
	v_or_b32_e32 v17, 0x80000000, v17
	v_and_b32_e32 v18, s2, v15
	v_ffbl_b32_e32 v17, v17
	v_add_u32_e32 v17, 32, v17
	v_ffbl_b32_e32 v18, v18
	s_waitcnt lgkmcnt(0)
	v_cmp_gt_f16_e32 vcc, v54, v56
	v_min_u32_e32 v17, v18, v17
	v_cndmask_b32_e32 v18, v56, v54, vcc
	v_and_b32_e32 v56, 0xffff, v18
	v_cmp_gt_u32_e32 vcc, v42, v17
	v_cndmask_b32_e32 v55, v56, v55, vcc
	ds_bpermute_b32 v56, v43, v55
	v_cndmask_b32_e32 v18, v18, v54, vcc
	v_cmp_gt_u32_e64 s[2:3], v53, v17
	v_subrev_u32_e32 v13, 64, v13
	s_waitcnt lgkmcnt(0)
	v_cmp_gt_f16_e32 vcc, v18, v56
	v_cndmask_b32_e32 v54, v56, v18, vcc
	v_and_b32_e32 v56, 0xffff, v54
	v_cmp_gt_u32_e32 vcc, v44, v17
	v_cndmask_b32_e32 v55, v56, v55, vcc
	ds_bpermute_b32 v56, v45, v55
	v_cndmask_b32_e32 v18, v54, v18, vcc
	s_waitcnt lgkmcnt(0)
	v_cmp_gt_f16_e32 vcc, v18, v56
	v_cndmask_b32_e32 v54, v56, v18, vcc
	v_and_b32_e32 v56, 0xffff, v54
	v_cmp_gt_u32_e32 vcc, v46, v17
	v_cndmask_b32_e32 v55, v56, v55, vcc
	ds_bpermute_b32 v56, v47, v55
	v_cndmask_b32_e32 v18, v54, v18, vcc
	;; [unrolled: 8-line block ×4, first 2 shown]
	s_waitcnt lgkmcnt(0)
	v_cmp_gt_f16_e32 vcc, v17, v55
	s_or_b64 vcc, s[2:3], vcc
	v_cndmask_b32_e32 v17, v55, v17, vcc
	v_cmp_lt_f16_e32 vcc, v17, v48
	v_cndmask_b32_e32 v17, v17, v48, vcc
	s_mov_b64 s[2:3], 0
.LBB9_69:                               ;   in Loop: Header=BB9_70 Depth=1
	s_and_b64 vcc, exec, s[2:3]
	s_cbranch_vccnz .LBB9_75
.LBB9_70:                               ; =>This Loop Header: Depth=1
                                        ;     Child Loop BB9_73 Depth 2
	v_cmp_ne_u16_sdwa s[2:3], v39, v40 src0_sel:BYTE_0 src1_sel:DWORD
	v_mov_b32_e32 v48, v17
	s_cmp_lg_u64 s[2:3], exec
	s_mov_b64 s[2:3], -1
                                        ; implicit-def: $vgpr17
                                        ; implicit-def: $vgpr39
	s_cbranch_scc1 .LBB9_69
; %bb.71:                               ;   in Loop: Header=BB9_70 Depth=1
	v_lshlrev_b64 v[17:18], 2, v[13:14]
	v_mov_b32_e32 v39, s13
	v_add_co_u32_e32 v17, vcc, s12, v17
	v_addc_co_u32_e32 v18, vcc, v39, v18, vcc
	global_load_dword v54, v[17:18], off glc
	s_waitcnt vmcnt(0)
	v_lshrrev_b32_e32 v39, 16, v54
	v_cmp_eq_u16_sdwa s[10:11], v39, v14 src0_sel:BYTE_0 src1_sel:DWORD
	s_and_saveexec_b64 s[2:3], s[10:11]
	s_cbranch_execz .LBB9_68
; %bb.72:                               ;   in Loop: Header=BB9_70 Depth=1
	s_mov_b64 s[10:11], 0
.LBB9_73:                               ;   Parent Loop BB9_70 Depth=1
                                        ; =>  This Inner Loop Header: Depth=2
	global_load_dword v54, v[17:18], off glc
	s_waitcnt vmcnt(0)
	v_lshrrev_b32_e32 v39, 16, v54
	v_cmp_ne_u16_sdwa s[22:23], v39, v14 src0_sel:BYTE_0 src1_sel:DWORD
	s_or_b64 s[10:11], s[22:23], s[10:11]
	s_andn2_b64 exec, exec, s[10:11]
	s_cbranch_execnz .LBB9_73
	s_branch .LBB9_67
.LBB9_74:
                                        ; implicit-def: $vgpr13
                                        ; implicit-def: $vgpr14
                                        ; implicit-def: $vgpr15
                                        ; implicit-def: $vgpr16
                                        ; implicit-def: $vgpr17
                                        ; implicit-def: $vgpr18
                                        ; implicit-def: $vgpr37
                                        ; implicit-def: $vgpr39
                                        ; implicit-def: $vgpr36
                                        ; implicit-def: $vgpr38
                                        ; implicit-def: $vgpr40
                                        ; implicit-def: $vgpr41
                                        ; implicit-def: $vgpr42
                                        ; implicit-def: $vgpr43
                                        ; implicit-def: $vgpr45
                                        ; implicit-def: $vgpr47
                                        ; implicit-def: $vgpr44
                                        ; implicit-def: $vgpr46
                                        ; implicit-def: $vgpr48
                                        ; implicit-def: $vgpr49
                                        ; implicit-def: $vgpr50
                                        ; implicit-def: $vgpr51
                                        ; implicit-def: $vgpr52
                                        ; implicit-def: $vgpr53
	s_load_dwordx4 s[8:11], s[4:5], 0x30
	s_cbranch_execnz .LBB9_80
	s_branch .LBB9_91
.LBB9_75:
	s_and_saveexec_b64 s[2:3], s[0:1]
	s_cbranch_execz .LBB9_77
; %bb.76:
	v_cmp_lt_f16_e32 vcc, v48, v38
	v_cndmask_b32_e32 v13, v48, v38, vcc
	s_mov_b32 s7, 0x20000
	v_or_b32_sdwa v13, v13, s7 dst_sel:DWORD dst_unused:UNUSED_PAD src0_sel:WORD_0 src1_sel:DWORD
	s_add_i32 s6, s6, 64
	s_mov_b32 s7, 0
	s_lshl_b64 s[6:7], s[6:7], 2
	s_add_u32 s6, s12, s6
	s_addc_u32 s7, s13, s7
	v_mov_b32_e32 v14, 0
	global_store_dword v14, v13, s[6:7]
.LBB9_77:
	s_or_b64 exec, exec, s[2:3]
	v_cmp_eq_u32_e32 vcc, 0, v0
	s_and_b64 exec, exec, vcc
; %bb.78:
	v_mov_b32_e32 v13, 0
	ds_write_b16 v13, v48 offset:6
.LBB9_79:
	s_or_b64 exec, exec, s[8:9]
	v_mov_b32_e32 v14, 0
	s_waitcnt vmcnt(0) lgkmcnt(0)
	s_barrier
	ds_read_u16 v14, v14 offset:6
	v_cndmask_b32_e64 v13, v37, v36, s[0:1]
	v_cmp_eq_u32_e32 vcc, 0, v0
	v_cmp_gt_f16_e64 s[0:1], v9, v13
	s_or_b64 vcc, vcc, s[0:1]
	v_cndmask_b32_e32 v13, v13, v9, vcc
	s_waitcnt lgkmcnt(0)
	v_cmp_lt_f16_e32 vcc, v14, v13
	v_cndmask_b32_e32 v13, v14, v13, vcc
	v_cmp_lt_f16_e32 vcc, v13, v32
	v_cndmask_b32_e32 v14, v13, v32, vcc
	v_cmp_lt_f16_e32 vcc, v14, v10
	v_cndmask_b32_e32 v15, v14, v10, vcc
	v_cmp_lt_f16_e32 vcc, v15, v31
	v_cndmask_b32_e32 v16, v15, v31, vcc
	v_cmp_lt_f16_e32 vcc, v16, v11
	v_cndmask_b32_e32 v17, v16, v11, vcc
	v_cmp_lt_f16_e32 vcc, v17, v30
	v_cndmask_b32_e32 v18, v17, v30, vcc
	v_cmp_lt_f16_e32 vcc, v18, v12
	v_cndmask_b32_e32 v37, v18, v12, vcc
	v_cmp_lt_f16_e32 vcc, v37, v29
	v_cndmask_b32_e32 v39, v37, v29, vcc
	v_cmp_lt_f16_e32 vcc, v39, v5
	v_cndmask_b32_e32 v36, v39, v5, vcc
	v_cmp_lt_f16_e32 vcc, v36, v28
	v_cndmask_b32_e32 v38, v36, v28, vcc
	v_cmp_lt_f16_e32 vcc, v38, v6
	v_cndmask_b32_e32 v40, v38, v6, vcc
	v_cmp_lt_f16_e32 vcc, v40, v27
	v_cndmask_b32_e32 v41, v40, v27, vcc
	v_cmp_lt_f16_e32 vcc, v41, v7
	v_cndmask_b32_e32 v42, v41, v7, vcc
	v_cmp_lt_f16_e32 vcc, v42, v26
	v_cndmask_b32_e32 v43, v42, v26, vcc
	v_cmp_lt_f16_e32 vcc, v43, v8
	v_cndmask_b32_e32 v45, v43, v8, vcc
	v_cmp_lt_f16_e32 vcc, v45, v25
	v_cndmask_b32_e32 v47, v45, v25, vcc
	v_cmp_lt_f16_e32 vcc, v47, v1
	v_cndmask_b32_e32 v44, v47, v1, vcc
	v_cmp_lt_f16_e32 vcc, v44, v24
	v_cndmask_b32_e32 v46, v44, v24, vcc
	v_cmp_lt_f16_e32 vcc, v46, v2
	v_cndmask_b32_e32 v48, v46, v2, vcc
	v_cmp_lt_f16_e32 vcc, v48, v23
	v_cndmask_b32_e32 v49, v48, v23, vcc
	v_cmp_lt_f16_e32 vcc, v49, v3
	v_cndmask_b32_e32 v50, v49, v3, vcc
	v_cmp_lt_f16_e32 vcc, v50, v22
	v_cndmask_b32_e32 v51, v50, v22, vcc
	v_cmp_lt_f16_e32 vcc, v51, v4
	v_cndmask_b32_e32 v52, v51, v4, vcc
	v_cmp_lt_f16_e32 vcc, v52, v21
	v_cndmask_b32_e32 v53, v52, v21, vcc
	s_load_dwordx4 s[8:11], s[4:5], 0x30
	s_branch .LBB9_91
.LBB9_80:
	s_load_dword s0, s[4:5], 0x40
	v_cmp_eq_u32_e32 vcc, 0, v0
	s_waitcnt lgkmcnt(0)
	s_bitcmp1_b32 s0, 0
	s_cselect_b64 s[0:1], -1, 0
	s_and_b64 s[0:1], vcc, s[0:1]
	s_and_saveexec_b64 s[2:3], s[0:1]
	s_cbranch_execz .LBB9_82
; %bb.81:
	v_mov_b32_e32 v13, 0
	global_load_ushort v13, v13, s[8:9]
	s_waitcnt vmcnt(0)
	v_cmp_lt_f16_e64 s[0:1], v13, v9
	v_cndmask_b32_e64 v9, v13, v9, s[0:1]
.LBB9_82:
	s_or_b64 exec, exec, s[2:3]
	v_cmp_lt_f16_e64 s[0:1], v9, v32
	v_cndmask_b32_e64 v13, v9, v32, s[0:1]
	v_cmp_lt_f16_e64 s[0:1], v13, v10
	v_cndmask_b32_e64 v13, v13, v10, s[0:1]
	v_cmp_lt_f16_e64 s[0:1], v13, v31
	v_cndmask_b32_e64 v13, v13, v31, s[0:1]
	v_cmp_lt_f16_e64 s[0:1], v13, v11
	v_cndmask_b32_e64 v13, v13, v11, s[0:1]
	v_cmp_lt_f16_e64 s[0:1], v13, v30
	v_cndmask_b32_e64 v13, v13, v30, s[0:1]
	v_cmp_lt_f16_e64 s[0:1], v13, v12
	v_cndmask_b32_e64 v13, v13, v12, s[0:1]
	v_cmp_lt_f16_e64 s[0:1], v13, v29
	v_cndmask_b32_e64 v13, v13, v29, s[0:1]
	v_cmp_lt_f16_e64 s[0:1], v13, v5
	v_cndmask_b32_e64 v13, v13, v5, s[0:1]
	v_cmp_lt_f16_e64 s[0:1], v13, v28
	v_cndmask_b32_e64 v13, v13, v28, s[0:1]
	v_cmp_lt_f16_e64 s[0:1], v13, v6
	v_cndmask_b32_e64 v13, v13, v6, s[0:1]
	v_cmp_lt_f16_e64 s[0:1], v13, v27
	v_cndmask_b32_e64 v13, v13, v27, s[0:1]
	v_cmp_lt_f16_e64 s[0:1], v13, v7
	v_cndmask_b32_e64 v13, v13, v7, s[0:1]
	v_cmp_lt_f16_e64 s[0:1], v13, v26
	v_cndmask_b32_e64 v13, v13, v26, s[0:1]
	v_cmp_lt_f16_e64 s[0:1], v13, v8
	v_cndmask_b32_e64 v13, v13, v8, s[0:1]
	v_cmp_lt_f16_e64 s[0:1], v13, v25
	v_cndmask_b32_e64 v13, v13, v25, s[0:1]
	v_cmp_lt_f16_e64 s[0:1], v13, v1
	v_cndmask_b32_e64 v13, v13, v1, s[0:1]
	v_cmp_lt_f16_e64 s[0:1], v13, v24
	v_cndmask_b32_e64 v13, v13, v24, s[0:1]
	v_cmp_lt_f16_e64 s[0:1], v13, v2
	v_cndmask_b32_e64 v13, v13, v2, s[0:1]
	v_cmp_lt_f16_e64 s[0:1], v13, v23
	v_cndmask_b32_e64 v13, v13, v23, s[0:1]
	v_cmp_lt_f16_e64 s[0:1], v13, v3
	v_cndmask_b32_e64 v13, v13, v3, s[0:1]
	v_cmp_lt_f16_e64 s[0:1], v13, v22
	v_cndmask_b32_e64 v13, v13, v22, s[0:1]
	v_cmp_lt_f16_e64 s[0:1], v13, v4
	v_cndmask_b32_e64 v13, v13, v4, s[0:1]
	v_cmp_lt_f16_e64 s[0:1], v13, v21
	v_cndmask_b32_e64 v14, v13, v21, s[0:1]
	v_mbcnt_hi_u32_b32 v13, -1, v35
	v_and_b32_e32 v16, 0xffff, v14
	v_and_b32_e32 v15, 15, v13
	v_cmp_eq_u32_e64 s[0:1], 0, v15
	v_mov_b32_dpp v16, v16 row_shr:1 row_mask:0xf bank_mask:0xf
	v_cmp_gt_f16_e64 s[2:3], v14, v16
	s_or_b64 s[0:1], s[0:1], s[2:3]
	v_cndmask_b32_e64 v14, v16, v14, s[0:1]
	v_and_b32_e32 v16, 0xffff, v14
	s_nop 1
	v_mov_b32_dpp v16, v16 row_shr:2 row_mask:0xf bank_mask:0xf
	v_cmp_gt_f16_e64 s[0:1], v14, v16
	v_cndmask_b32_e64 v16, v16, v14, s[0:1]
	v_cmp_lt_u32_e64 s[0:1], 1, v15
	v_cndmask_b32_e64 v14, v14, v16, s[0:1]
	v_and_b32_e32 v16, 0xffff, v14
	s_nop 1
	v_mov_b32_dpp v16, v16 row_shr:4 row_mask:0xf bank_mask:0xf
	v_cmp_gt_f16_e64 s[0:1], v14, v16
	v_cndmask_b32_e64 v16, v16, v14, s[0:1]
	v_cmp_lt_u32_e64 s[0:1], 3, v15
	v_cndmask_b32_e64 v14, v14, v16, s[0:1]
	v_and_b32_e32 v16, 0xffff, v14
	s_nop 1
	v_mov_b32_dpp v16, v16 row_shr:8 row_mask:0xf bank_mask:0xf
	v_cmp_gt_f16_e64 s[0:1], v14, v16
	v_cndmask_b32_e64 v16, v16, v14, s[0:1]
	v_cmp_lt_u32_e64 s[0:1], 7, v15
	v_cndmask_b32_e64 v14, v14, v16, s[0:1]
	v_and_b32_e32 v15, 0xffff, v14
	v_and_b32_e32 v16, 16, v13
	v_cmp_eq_u32_e64 s[0:1], 0, v16
	v_mov_b32_dpp v15, v15 row_bcast:15 row_mask:0xf bank_mask:0xf
	v_cmp_gt_f16_e64 s[2:3], v14, v15
	s_or_b64 s[0:1], s[0:1], s[2:3]
	v_cndmask_b32_e64 v14, v15, v14, s[0:1]
	v_and_b32_e32 v15, 0xffff, v14
	s_nop 1
	v_mov_b32_dpp v15, v15 row_bcast:31 row_mask:0xf bank_mask:0xf
	v_cmp_gt_f16_e64 s[0:1], v14, v15
	v_cndmask_b32_e64 v15, v15, v14, s[0:1]
	v_cmp_lt_u32_e64 s[0:1], 31, v13
	v_cndmask_b32_e64 v14, v14, v15, s[0:1]
	v_cmp_eq_u32_e64 s[0:1], v0, v34
	s_and_saveexec_b64 s[2:3], s[0:1]
; %bb.83:
	v_lshlrev_b32_e32 v15, 1, v33
	ds_write_b16 v15, v14
; %bb.84:
	s_or_b64 exec, exec, s[2:3]
	v_cmp_gt_u32_e64 s[0:1], 4, v0
	s_waitcnt lgkmcnt(0)
	s_barrier
	s_and_saveexec_b64 s[6:7], s[0:1]
	s_cbranch_execz .LBB9_86
; %bb.85:
	s_movk_i32 s0, 0xffd2
	v_mad_i32_i24 v15, v0, s0, v20
	ds_read_u16 v16, v15
	v_and_b32_e32 v17, 3, v13
	v_cmp_eq_u32_e64 s[0:1], 0, v17
	s_waitcnt lgkmcnt(0)
	v_and_b32_e32 v18, 0xffff, v16
	s_nop 1
	v_mov_b32_dpp v18, v18 row_shr:1 row_mask:0xf bank_mask:0xf
	v_cmp_lt_f16_e64 s[2:3], v18, v16
	s_or_b64 s[0:1], s[0:1], s[2:3]
	v_cndmask_b32_e64 v16, v18, v16, s[0:1]
	v_and_b32_e32 v18, 0xffff, v16
	s_nop 1
	v_mov_b32_dpp v18, v18 row_shr:2 row_mask:0xf bank_mask:0xf
	v_cmp_gt_f16_e64 s[0:1], v16, v18
	v_cndmask_b32_e64 v18, v18, v16, s[0:1]
	v_cmp_lt_u32_e64 s[0:1], 1, v17
	v_cndmask_b32_e64 v16, v16, v18, s[0:1]
	ds_write_b16 v15, v16
.LBB9_86:
	s_or_b64 exec, exec, s[6:7]
	v_cmp_lt_u32_e64 s[0:1], 63, v0
	s_waitcnt lgkmcnt(0)
	s_barrier
                                        ; implicit-def: $vgpr15
	s_and_saveexec_b64 s[2:3], s[0:1]
	s_cbranch_execz .LBB9_88
; %bb.87:
	v_lshl_add_u32 v15, v33, 1, -2
	ds_read_u16 v15, v15
	s_waitcnt lgkmcnt(0)
	v_cmp_lt_f16_e64 s[0:1], v15, v14
	v_cndmask_b32_e64 v14, v15, v14, s[0:1]
.LBB9_88:
	s_or_b64 exec, exec, s[2:3]
	v_subrev_co_u32_e64 v16, s[0:1], 1, v13
	v_and_b32_e32 v17, 64, v13
	v_cmp_lt_i32_e64 s[2:3], v16, v17
	v_cndmask_b32_e64 v13, v16, v13, s[2:3]
	v_lshlrev_b32_e32 v13, 2, v13
	v_and_b32_e32 v14, 0xffff, v14
	ds_bpermute_b32 v13, v13, v14
	s_waitcnt lgkmcnt(0)
	v_cndmask_b32_e64 v13, v13, v15, s[0:1]
	v_cmp_gt_f16_e64 s[0:1], v9, v13
	s_or_b64 s[0:1], vcc, s[0:1]
	v_cndmask_b32_e64 v13, v13, v9, s[0:1]
	v_cmp_lt_f16_e64 s[0:1], v13, v32
	v_cndmask_b32_e64 v14, v13, v32, s[0:1]
	v_cmp_lt_f16_e64 s[0:1], v14, v10
	;; [unrolled: 2-line block ×23, first 2 shown]
	s_and_saveexec_b64 s[2:3], vcc
	s_cbranch_execz .LBB9_90
; %bb.89:
	v_mov_b32_e32 v1, 0
	ds_read_u16 v2, v1 offset:6
	s_waitcnt lgkmcnt(0)
	v_or_b32_e32 v2, 0x20000, v2
	global_store_dword v1, v2, s[12:13] offset:256
.LBB9_90:
	s_or_b64 exec, exec, s[2:3]
	v_cndmask_b32_e64 v53, v52, v21, s[0:1]
.LBB9_91:
	s_add_u32 s0, s14, s18
	s_addc_u32 s1, s15, s19
	s_mov_b64 s[2:3], -1
	s_and_b64 vcc, exec, s[16:17]
	s_waitcnt vmcnt(0) lgkmcnt(0)
	s_barrier
	s_cbranch_vccz .LBB9_93
; %bb.92:
	s_mov_b32 s2, 0x5040100
	v_perm_b32 v4, v39, v37, s2
	v_perm_b32 v3, v18, v17, s2
	;; [unrolled: 1-line block ×4, first 2 shown]
	ds_write_b128 v20, v[1:4]
	v_perm_b32 v4, v47, v45, s2
	v_perm_b32 v3, v43, v42, s2
	;; [unrolled: 1-line block ×4, first 2 shown]
	ds_write_b128 v20, v[1:4] offset:16
	v_perm_b32 v4, v53, v52, s2
	v_perm_b32 v3, v51, v50, s2
	;; [unrolled: 1-line block ×4, first 2 shown]
	v_mov_b32_e32 v33, s1
	v_add_co_u32_e32 v34, vcc, s0, v19
	ds_write_b128 v20, v[1:4] offset:32
	s_waitcnt lgkmcnt(0)
	s_barrier
	ds_read_u16 v1, v19
	ds_read_u16 v2, v19 offset:512
	ds_read_u16 v3, v19 offset:1024
	;; [unrolled: 1-line block ×23, first 2 shown]
	v_addc_co_u32_e32 v33, vcc, 0, v33, vcc
	s_movk_i32 s2, 0x1000
	s_waitcnt lgkmcnt(14)
	global_store_short v19, v1, s[0:1]
	global_store_short v19, v2, s[0:1] offset:512
	global_store_short v19, v3, s[0:1] offset:1024
	;; [unrolled: 1-line block ×7, first 2 shown]
	v_add_co_u32_e32 v1, vcc, s2, v34
	v_addc_co_u32_e32 v2, vcc, 0, v33, vcc
	global_store_short v[1:2], v9, off
	global_store_short v[1:2], v10, off offset:512
	s_waitcnt lgkmcnt(13)
	global_store_short v[1:2], v11, off offset:1024
	s_waitcnt lgkmcnt(12)
	;; [unrolled: 2-line block ×6, first 2 shown]
	global_store_short v[1:2], v24, off offset:3584
	v_add_co_u32_e32 v1, vcc, 0x2000, v34
	v_addc_co_u32_e32 v2, vcc, 0, v33, vcc
	s_waitcnt lgkmcnt(7)
	global_store_short v[1:2], v25, off
	s_waitcnt lgkmcnt(6)
	global_store_short v[1:2], v26, off offset:512
	s_waitcnt lgkmcnt(5)
	global_store_short v[1:2], v27, off offset:1024
	;; [unrolled: 2-line block ×7, first 2 shown]
	s_mov_b64 s[2:3], 0
.LBB9_93:
	s_andn2_b64 vcc, exec, s[2:3]
	s_cbranch_vccnz .LBB9_150
; %bb.94:
	s_mov_b32 s2, 0x5040100
	v_perm_b32 v4, v39, v37, s2
	v_perm_b32 v3, v18, v17, s2
	;; [unrolled: 1-line block ×4, first 2 shown]
	ds_write_b128 v20, v[1:4]
	v_perm_b32 v4, v47, v45, s2
	v_perm_b32 v3, v43, v42, s2
	;; [unrolled: 1-line block ×4, first 2 shown]
	ds_write_b128 v20, v[1:4] offset:16
	v_perm_b32 v4, v53, v52, s2
	v_perm_b32 v3, v51, v50, s2
	;; [unrolled: 1-line block ×4, first 2 shown]
	s_movk_i32 s2, 0xffd2
	ds_write_b128 v20, v[1:4] offset:32
	v_mad_i32_i24 v2, v0, s2, v20
	s_waitcnt vmcnt(0) lgkmcnt(0)
	s_barrier
	ds_read_u16 v5, v2
	ds_read_u16 v4, v2 offset:512
	ds_read_u16 v7, v2 offset:1024
	;; [unrolled: 1-line block ×23, first 2 shown]
	v_mov_b32_e32 v3, s1
	v_add_co_u32_e32 v2, vcc, s0, v19
	v_addc_co_u32_e32 v3, vcc, 0, v3, vcc
	v_mov_b32_e32 v1, 0
	v_cmp_gt_u32_e32 vcc, s20, v0
	s_and_saveexec_b64 s[0:1], vcc
	s_cbranch_execz .LBB9_96
; %bb.95:
	s_waitcnt lgkmcnt(14)
	global_store_short v[2:3], v5, off
.LBB9_96:
	s_or_b64 exec, exec, s[0:1]
	v_or_b32_e32 v19, 0x100, v0
	v_cmp_gt_u32_e32 vcc, s20, v19
	s_and_saveexec_b64 s[0:1], vcc
	s_cbranch_execz .LBB9_98
; %bb.97:
	s_waitcnt lgkmcnt(14)
	global_store_short v[2:3], v4, off offset:512
.LBB9_98:
	s_or_b64 exec, exec, s[0:1]
	v_or_b32_e32 v19, 0x200, v0
	v_cmp_gt_u32_e32 vcc, s20, v19
	s_and_saveexec_b64 s[0:1], vcc
	s_cbranch_execz .LBB9_100
; %bb.99:
	s_waitcnt lgkmcnt(14)
	global_store_short v[2:3], v7, off offset:1024
.LBB9_100:
	;; [unrolled: 9-line block ×7, first 2 shown]
	s_or_b64 exec, exec, s[0:1]
	v_or_b32_e32 v19, 0x800, v0
	v_cmp_gt_u32_e32 vcc, s20, v19
	s_and_saveexec_b64 s[0:1], vcc
	s_cbranch_execz .LBB9_112
; %bb.111:
	v_add_co_u32_e32 v29, vcc, 0x1000, v2
	v_addc_co_u32_e32 v30, vcc, 0, v3, vcc
	s_waitcnt lgkmcnt(14)
	global_store_short v[29:30], v18, off
.LBB9_112:
	s_or_b64 exec, exec, s[0:1]
	v_or_b32_e32 v19, 0x900, v0
	v_cmp_gt_u32_e32 vcc, s20, v19
	s_and_saveexec_b64 s[0:1], vcc
	s_cbranch_execz .LBB9_114
; %bb.113:
	v_add_co_u32_e32 v29, vcc, 0x1000, v2
	v_addc_co_u32_e32 v30, vcc, 0, v3, vcc
	s_waitcnt lgkmcnt(14)
	global_store_short v[29:30], v23, off offset:512
.LBB9_114:
	s_or_b64 exec, exec, s[0:1]
	v_or_b32_e32 v19, 0xa00, v0
	v_cmp_gt_u32_e32 vcc, s20, v19
	s_and_saveexec_b64 s[0:1], vcc
	s_cbranch_execz .LBB9_116
; %bb.115:
	v_add_co_u32_e32 v29, vcc, 0x1000, v2
	v_addc_co_u32_e32 v30, vcc, 0, v3, vcc
	s_waitcnt lgkmcnt(13)
	global_store_short v[29:30], v22, off offset:1024
.LBB9_116:
	;; [unrolled: 11-line block ×7, first 2 shown]
	s_or_b64 exec, exec, s[0:1]
	v_or_b32_e32 v19, 0x1000, v0
	v_cmp_gt_u32_e32 vcc, s20, v19
	s_and_saveexec_b64 s[0:1], vcc
	s_cbranch_execz .LBB9_128
; %bb.127:
	v_add_co_u32_e32 v29, vcc, 0x2000, v2
	v_addc_co_u32_e32 v30, vcc, 0, v3, vcc
	s_waitcnt lgkmcnt(7)
	global_store_short v[29:30], v24, off
.LBB9_128:
	s_or_b64 exec, exec, s[0:1]
	v_or_b32_e32 v19, 0x1100, v0
	v_cmp_gt_u32_e32 vcc, s20, v19
	s_and_saveexec_b64 s[0:1], vcc
	s_cbranch_execz .LBB9_130
; %bb.129:
	v_add_co_u32_e32 v29, vcc, 0x2000, v2
	v_addc_co_u32_e32 v30, vcc, 0, v3, vcc
	s_waitcnt lgkmcnt(6)
	global_store_short v[29:30], v26, off offset:512
.LBB9_130:
	s_or_b64 exec, exec, s[0:1]
	v_or_b32_e32 v19, 0x1200, v0
	v_cmp_gt_u32_e32 vcc, s20, v19
	s_and_saveexec_b64 s[0:1], vcc
	s_cbranch_execz .LBB9_132
; %bb.131:
	v_add_co_u32_e32 v29, vcc, 0x2000, v2
	v_addc_co_u32_e32 v30, vcc, 0, v3, vcc
	s_waitcnt lgkmcnt(5)
	global_store_short v[29:30], v27, off offset:1024
.LBB9_132:
	;; [unrolled: 11-line block ×7, first 2 shown]
	s_or_b64 exec, exec, s[0:1]
	s_load_dword s0, s[4:5], 0x40
	s_waitcnt lgkmcnt(0)
	s_bfe_u32 s0, s0, 0x10008
	s_cmp_eq_u32 s0, 0
	s_cbranch_scc1 .LBB9_150
; %bb.143:
	s_add_u32 s0, s20, -1
	s_addc_u32 s1, s21, -1
	s_mul_i32 s5, s1, 0xaaaaaaab
	s_mul_hi_u32 s6, s0, 0xaaaaaaab
	s_mul_hi_u32 s4, s1, 0xaaaaaaab
	s_add_u32 s5, s5, s6
	s_mul_i32 s3, s0, 0xaaaaaaaa
	s_addc_u32 s4, s4, 0
	s_mul_hi_u32 s2, s0, 0xaaaaaaaa
	s_add_u32 s3, s3, s5
	s_addc_u32 s2, s2, 0
	s_add_u32 s2, s4, s2
	s_addc_u32 s3, 0, 0
	s_mul_i32 s5, s1, 0xaaaaaaaa
	s_mul_hi_u32 s4, s1, 0xaaaaaaaa
	s_add_u32 s2, s5, s2
	s_addc_u32 s3, s4, s3
	s_lshr_b64 s[2:3], s[2:3], 4
	v_cmp_eq_u64_e32 vcc, s[2:3], v[0:1]
	s_and_saveexec_b64 s[2:3], vcc
	s_cbranch_execz .LBB9_150
; %bb.144:
	v_mul_hi_u32_u24_e32 v1, 24, v0
	v_mul_u32_u24_e32 v0, 24, v0
	v_mov_b32_e32 v2, s1
	v_sub_co_u32_e32 v0, vcc, s0, v0
	v_subb_co_u32_e32 v1, vcc, v2, v1, vcc
	v_cmp_lt_i64_e32 vcc, 11, v[0:1]
	s_mov_b64 s[0:1], 0
	s_mov_b64 s[8:9], 0
	;; [unrolled: 1-line block ×4, first 2 shown]
	s_and_saveexec_b64 s[2:3], vcc
	s_xor_b64 s[2:3], exec, s[2:3]
	s_cbranch_execnz .LBB9_151
; %bb.145:
	s_andn2_saveexec_b64 s[2:3], s[2:3]
	s_cbranch_execnz .LBB9_196
.LBB9_146:
	s_or_b64 exec, exec, s[2:3]
	s_and_saveexec_b64 s[2:3], s[8:9]
	s_cbranch_execnz .LBB9_213
.LBB9_147:
	s_or_b64 exec, exec, s[2:3]
	s_and_saveexec_b64 s[2:3], s[6:7]
	s_cbranch_execnz .LBB9_214
.LBB9_148:
	s_or_b64 exec, exec, s[2:3]
	s_and_saveexec_b64 s[2:3], s[4:5]
	s_xor_b64 s[2:3], exec, s[2:3]
	s_cbranch_execnz .LBB9_215
.LBB9_149:
	s_or_b64 exec, exec, s[2:3]
	s_and_b64 exec, exec, s[0:1]
	s_cbranch_execnz .LBB9_216
.LBB9_150:
	s_endpgm
.LBB9_151:
	v_cmp_lt_i64_e32 vcc, 17, v[0:1]
	s_and_saveexec_b64 s[12:13], vcc
	s_xor_b64 s[12:13], exec, s[12:13]
	s_cbranch_execz .LBB9_173
; %bb.152:
	v_cmp_lt_i64_e32 vcc, 20, v[0:1]
	s_and_saveexec_b64 s[14:15], vcc
	s_xor_b64 s[14:15], exec, s[14:15]
	s_cbranch_execz .LBB9_162
; %bb.153:
	v_cmp_lt_i64_e32 vcc, 21, v[0:1]
	s_mov_b64 s[16:17], 0
	s_and_saveexec_b64 s[4:5], vcc
	s_xor_b64 s[4:5], exec, s[4:5]
	s_cbranch_execz .LBB9_159
; %bb.154:
	v_cmp_lt_i64_e32 vcc, 22, v[0:1]
	s_and_saveexec_b64 s[16:17], vcc
	s_xor_b64 s[16:17], exec, s[16:17]
	s_cbranch_execz .LBB9_156
; %bb.155:
	v_mov_b32_e32 v2, 0
	global_store_short v2, v28, s[10:11]
.LBB9_156:
	s_or_saveexec_b64 s[16:17], s[16:17]
	s_mov_b64 s[18:19], 0
	s_xor_b64 exec, exec, s[16:17]
; %bb.157:
	s_mov_b64 s[18:19], exec
; %bb.158:
	s_or_b64 exec, exec, s[16:17]
	s_and_b64 s[16:17], s[18:19], exec
.LBB9_159:
	s_andn2_saveexec_b64 s[4:5], s[4:5]
; %bb.160:
	s_mov_b64 s[6:7], exec
; %bb.161:
	s_or_b64 exec, exec, s[4:5]
	s_and_b64 s[4:5], s[16:17], exec
	s_and_b64 s[6:7], s[6:7], exec
                                        ; implicit-def: $vgpr27
                                        ; implicit-def: $vgpr25
.LBB9_162:
	s_andn2_saveexec_b64 s[14:15], s[14:15]
	s_cbranch_execz .LBB9_172
; %bb.163:
	v_cmp_lt_i64_e32 vcc, 18, v[0:1]
	s_mov_b64 s[16:17], 0
	s_and_saveexec_b64 s[8:9], vcc
	s_xor_b64 s[8:9], exec, s[8:9]
	s_cbranch_execz .LBB9_169
; %bb.164:
	v_cmp_lt_i64_e32 vcc, 19, v[0:1]
	s_and_saveexec_b64 s[18:19], vcc
	s_xor_b64 s[18:19], exec, s[18:19]
; %bb.165:
	s_mov_b64 s[16:17], exec
                                        ; implicit-def: $vgpr25
; %bb.166:
	s_andn2_saveexec_b64 s[18:19], s[18:19]
	s_cbranch_execz .LBB9_168
; %bb.167:
	v_mov_b32_e32 v2, 0
	global_store_short v2, v25, s[10:11]
.LBB9_168:
	s_or_b64 exec, exec, s[18:19]
	s_and_b64 s[16:17], s[16:17], exec
                                        ; implicit-def: $vgpr27
.LBB9_169:
	s_andn2_saveexec_b64 s[8:9], s[8:9]
	s_cbranch_execz .LBB9_171
; %bb.170:
	v_mov_b32_e32 v2, 0
	global_store_short v2, v27, s[10:11]
.LBB9_171:
	s_or_b64 exec, exec, s[8:9]
	s_and_b64 s[8:9], s[16:17], exec
.LBB9_172:
	s_or_b64 exec, exec, s[14:15]
	s_and_b64 s[4:5], s[4:5], exec
	s_and_b64 s[6:7], s[6:7], exec
	;; [unrolled: 1-line block ×3, first 2 shown]
                                        ; implicit-def: $vgpr17
                                        ; implicit-def: $vgpr15
                                        ; implicit-def: $vgpr16
                                        ; implicit-def: $vgpr21
                                        ; implicit-def: $vgpr24
                                        ; implicit-def: $vgpr26
.LBB9_173:
	s_andn2_saveexec_b64 s[12:13], s[12:13]
	s_cbranch_execz .LBB9_195
; %bb.174:
	v_cmp_lt_i64_e32 vcc, 14, v[0:1]
	s_mov_b64 s[14:15], s[4:5]
	s_and_saveexec_b64 s[16:17], vcc
	s_xor_b64 s[16:17], exec, s[16:17]
	s_cbranch_execz .LBB9_184
; %bb.175:
	v_cmp_lt_i64_e32 vcc, 15, v[0:1]
	s_and_saveexec_b64 s[14:15], vcc
	s_xor_b64 s[14:15], exec, s[14:15]
	s_cbranch_execz .LBB9_181
; %bb.176:
	v_cmp_lt_i64_e32 vcc, 16, v[0:1]
	s_and_saveexec_b64 s[18:19], vcc
	s_xor_b64 s[18:19], exec, s[18:19]
	s_cbranch_execz .LBB9_178
; %bb.177:
	v_mov_b32_e32 v2, 0
	global_store_short v2, v26, s[10:11]
                                        ; implicit-def: $vgpr24
.LBB9_178:
	s_andn2_saveexec_b64 s[18:19], s[18:19]
	s_cbranch_execz .LBB9_180
; %bb.179:
	v_mov_b32_e32 v2, 0
	global_store_short v2, v24, s[10:11]
.LBB9_180:
	s_or_b64 exec, exec, s[18:19]
.LBB9_181:
	s_or_saveexec_b64 s[14:15], s[14:15]
	s_mov_b64 s[18:19], s[4:5]
	s_xor_b64 exec, exec, s[14:15]
; %bb.182:
	s_or_b64 s[18:19], s[4:5], exec
; %bb.183:
	s_or_b64 exec, exec, s[14:15]
	s_andn2_b64 s[14:15], s[4:5], exec
	s_and_b64 s[18:19], s[18:19], exec
	s_or_b64 s[14:15], s[14:15], s[18:19]
                                        ; implicit-def: $vgpr16
                                        ; implicit-def: $vgpr21
                                        ; implicit-def: $vgpr15
.LBB9_184:
	s_or_saveexec_b64 s[16:17], s[16:17]
	s_mov_b64 s[18:19], s[6:7]
                                        ; implicit-def: $vgpr11
	s_xor_b64 exec, exec, s[16:17]
	s_cbranch_execz .LBB9_194
; %bb.185:
	v_cmp_lt_i64_e32 vcc, 12, v[0:1]
	s_mov_b64 s[20:21], s[6:7]
	s_mov_b64 s[22:23], s[14:15]
	s_and_saveexec_b64 s[18:19], vcc
	s_xor_b64 s[18:19], exec, s[18:19]
	s_cbranch_execz .LBB9_191
; %bb.186:
	v_cmp_lt_i64_e32 vcc, 13, v[0:1]
	s_mov_b64 s[20:21], s[14:15]
	s_and_saveexec_b64 s[22:23], vcc
	s_xor_b64 s[22:23], exec, s[22:23]
; %bb.187:
	s_or_b64 s[20:21], s[14:15], exec
; %bb.188:
	s_or_saveexec_b64 s[22:23], s[22:23]
	s_mov_b64 s[24:25], s[6:7]
	s_xor_b64 exec, exec, s[22:23]
; %bb.189:
	s_or_b64 s[24:25], s[6:7], exec
; %bb.190:
	s_or_b64 exec, exec, s[22:23]
	s_andn2_b64 s[22:23], s[14:15], exec
	s_and_b64 s[20:21], s[20:21], exec
	s_or_b64 s[22:23], s[22:23], s[20:21]
	s_andn2_b64 s[20:21], s[6:7], exec
	s_and_b64 s[24:25], s[24:25], exec
	s_or_b64 s[20:21], s[20:21], s[24:25]
                                        ; implicit-def: $vgpr21
.LBB9_191:
	s_andn2_saveexec_b64 s[18:19], s[18:19]
; %bb.192:
	s_or_b64 s[20:21], s[20:21], exec
	v_mov_b32_e32 v16, v21
; %bb.193:
	s_or_b64 exec, exec, s[18:19]
	s_andn2_b64 s[14:15], s[14:15], exec
	s_and_b64 s[18:19], s[22:23], exec
	s_or_b64 s[14:15], s[14:15], s[18:19]
	s_andn2_b64 s[18:19], s[6:7], exec
	s_and_b64 s[20:21], s[20:21], exec
	s_or_b64 s[18:19], s[18:19], s[20:21]
	v_mov_b32_e32 v17, v15
	v_mov_b32_e32 v11, v16
.LBB9_194:
	s_or_b64 exec, exec, s[16:17]
	s_andn2_b64 s[4:5], s[4:5], exec
	s_and_b64 s[14:15], s[14:15], exec
	s_or_b64 s[4:5], s[4:5], s[14:15]
	s_andn2_b64 s[6:7], s[6:7], exec
	s_and_b64 s[14:15], s[18:19], exec
	s_or_b64 s[6:7], s[6:7], s[14:15]
	v_mov_b32_e32 v12, v17
.LBB9_195:
	s_or_b64 exec, exec, s[12:13]
	s_and_b64 s[4:5], s[4:5], exec
	s_and_b64 s[6:7], s[6:7], exec
	;; [unrolled: 1-line block ×3, first 2 shown]
                                        ; implicit-def: $vgpr18
                                        ; implicit-def: $vgpr23
                                        ; implicit-def: $vgpr20
                                        ; implicit-def: $vgpr22
                                        ; implicit-def: $vgpr13
                                        ; implicit-def: $vgpr14
	s_andn2_saveexec_b64 s[2:3], s[2:3]
	s_cbranch_execz .LBB9_146
.LBB9_196:
	v_cmp_lt_i64_e32 vcc, 5, v[0:1]
	s_mov_b64 s[14:15], -1
	s_mov_b64 s[12:13], s[8:9]
	s_mov_b64 s[16:17], s[6:7]
	;; [unrolled: 1-line block ×3, first 2 shown]
                                        ; implicit-def: $vgpr10
	s_and_saveexec_b64 s[0:1], vcc
	s_cbranch_execz .LBB9_212
; %bb.197:
	v_cmp_lt_i64_e32 vcc, 8, v[0:1]
	s_mov_b64 s[12:13], s[8:9]
                                        ; implicit-def: $vgpr10
	s_and_saveexec_b64 s[14:15], vcc
	s_xor_b64 s[14:15], exec, s[14:15]
	s_cbranch_execz .LBB9_207
; %bb.198:
	v_cmp_lt_i64_e32 vcc, 9, v[0:1]
	s_and_saveexec_b64 s[12:13], vcc
	s_xor_b64 s[12:13], exec, s[12:13]
	s_cbranch_execz .LBB9_204
; %bb.199:
	v_cmp_lt_i64_e32 vcc, 10, v[0:1]
	s_and_saveexec_b64 s[16:17], vcc
	s_xor_b64 s[16:17], exec, s[16:17]
; %bb.200:
                                        ; implicit-def: $vgpr22
; %bb.201:
	s_andn2_saveexec_b64 s[16:17], s[16:17]
; %bb.202:
	v_mov_b32_e32 v20, v22
; %bb.203:
	s_or_b64 exec, exec, s[16:17]
                                        ; implicit-def: $vgpr23
.LBB9_204:
	s_andn2_saveexec_b64 s[12:13], s[12:13]
; %bb.205:
	v_mov_b32_e32 v20, v23
; %bb.206:
	s_or_b64 exec, exec, s[12:13]
	s_or_b64 s[12:13], s[8:9], exec
	v_mov_b32_e32 v10, v20
                                        ; implicit-def: $vgpr18
.LBB9_207:
	s_or_saveexec_b64 s[14:15], s[14:15]
	s_mov_b64 s[16:17], s[6:7]
	s_mov_b64 s[20:21], s[4:5]
	s_xor_b64 exec, exec, s[14:15]
	s_cbranch_execz .LBB9_211
; %bb.208:
	v_cmp_lt_i64_e32 vcc, 6, v[0:1]
	s_mov_b64 s[20:21], -1
	s_mov_b64 s[18:19], s[12:13]
	s_mov_b64 s[16:17], s[6:7]
	s_and_saveexec_b64 s[22:23], vcc
; %bb.209:
	v_cmp_lt_i64_e32 vcc, 7, v[0:1]
	s_andn2_b64 s[18:19], s[12:13], exec
	s_and_b64 s[24:25], vcc, exec
	s_xor_b64 s[20:21], exec, -1
	s_or_b64 s[16:17], s[6:7], exec
	s_or_b64 s[18:19], s[18:19], s[24:25]
; %bb.210:
	s_or_b64 exec, exec, s[22:23]
	s_andn2_b64 s[22:23], s[4:5], exec
	s_and_b64 s[20:21], s[20:21], exec
	s_or_b64 s[20:21], s[22:23], s[20:21]
	s_andn2_b64 s[22:23], s[6:7], exec
	s_and_b64 s[16:17], s[16:17], exec
	s_andn2_b64 s[12:13], s[12:13], exec
	s_and_b64 s[18:19], s[18:19], exec
	s_or_b64 s[16:17], s[22:23], s[16:17]
	s_or_b64 s[12:13], s[12:13], s[18:19]
	v_mov_b32_e32 v10, v18
.LBB9_211:
	s_or_b64 exec, exec, s[14:15]
	s_andn2_b64 s[18:19], s[4:5], exec
	s_and_b64 s[20:21], s[20:21], exec
	s_or_b64 s[18:19], s[18:19], s[20:21]
	s_andn2_b64 s[20:21], s[6:7], exec
	s_and_b64 s[16:17], s[16:17], exec
	s_or_b64 s[16:17], s[20:21], s[16:17]
	s_andn2_b64 s[20:21], s[8:9], exec
	s_and_b64 s[12:13], s[12:13], exec
	s_xor_b64 s[14:15], exec, -1
	s_or_b64 s[12:13], s[20:21], s[12:13]
.LBB9_212:
	s_or_b64 exec, exec, s[0:1]
	s_and_b64 s[0:1], s[14:15], exec
	s_andn2_b64 s[4:5], s[4:5], exec
	s_and_b64 s[14:15], s[18:19], exec
	s_or_b64 s[4:5], s[4:5], s[14:15]
	s_andn2_b64 s[6:7], s[6:7], exec
	s_and_b64 s[14:15], s[16:17], exec
	s_andn2_b64 s[8:9], s[8:9], exec
	s_and_b64 s[12:13], s[12:13], exec
	s_or_b64 s[6:7], s[6:7], s[14:15]
	s_or_b64 s[8:9], s[8:9], s[12:13]
	v_mov_b32_e32 v12, v13
	v_mov_b32_e32 v11, v14
	s_or_b64 exec, exec, s[2:3]
	s_and_saveexec_b64 s[2:3], s[8:9]
	s_cbranch_execz .LBB9_147
.LBB9_213:
	v_mov_b32_e32 v2, 0
	s_andn2_b64 s[6:7], s[6:7], exec
	global_store_short v2, v10, s[10:11]
	s_or_b64 exec, exec, s[2:3]
	s_and_saveexec_b64 s[2:3], s[6:7]
	s_cbranch_execz .LBB9_148
.LBB9_214:
	v_mov_b32_e32 v2, 0
	global_store_short v2, v11, s[10:11]
	s_or_b64 exec, exec, s[2:3]
	s_and_saveexec_b64 s[2:3], s[4:5]
	s_xor_b64 s[2:3], exec, s[2:3]
	s_cbranch_execz .LBB9_149
.LBB9_215:
	v_mov_b32_e32 v2, 0
	global_store_short v2, v12, s[10:11]
	s_or_b64 exec, exec, s[2:3]
	s_and_b64 exec, exec, s[0:1]
	s_cbranch_execz .LBB9_150
.LBB9_216:
	v_cmp_lt_i64_e32 vcc, 2, v[0:1]
	s_and_saveexec_b64 s[0:1], vcc
	s_xor_b64 s[0:1], exec, s[0:1]
	s_cbranch_execz .LBB9_226
; %bb.217:
	v_cmp_lt_i64_e32 vcc, 3, v[0:1]
	s_and_saveexec_b64 s[2:3], vcc
	s_xor_b64 s[2:3], exec, s[2:3]
	s_cbranch_execz .LBB9_223
; %bb.218:
	;; [unrolled: 5-line block ×3, first 2 shown]
	v_mov_b32_e32 v0, 0
	global_store_short v0, v9, s[10:11]
                                        ; implicit-def: $vgpr6
.LBB9_220:
	s_andn2_saveexec_b64 s[4:5], s[4:5]
	s_cbranch_execz .LBB9_222
; %bb.221:
	v_mov_b32_e32 v0, 0
	global_store_short v0, v6, s[10:11]
.LBB9_222:
	s_or_b64 exec, exec, s[4:5]
                                        ; implicit-def: $vgpr8
.LBB9_223:
	s_andn2_saveexec_b64 s[2:3], s[2:3]
	s_cbranch_execz .LBB9_225
; %bb.224:
	v_mov_b32_e32 v0, 0
	global_store_short v0, v8, s[10:11]
.LBB9_225:
	s_or_b64 exec, exec, s[2:3]
                                        ; implicit-def: $vgpr0_vgpr1
                                        ; implicit-def: $vgpr7
                                        ; implicit-def: $vgpr4
                                        ; implicit-def: $vgpr5
.LBB9_226:
	s_andn2_saveexec_b64 s[0:1], s[0:1]
	s_cbranch_execz .LBB9_150
; %bb.227:
	v_cmp_lt_i64_e32 vcc, 1, v[0:1]
	s_and_saveexec_b64 s[0:1], vcc
	s_xor_b64 s[0:1], exec, s[0:1]
	s_cbranch_execz .LBB9_229
; %bb.228:
	v_mov_b32_e32 v0, 0
	global_store_short v0, v7, s[10:11]
                                        ; implicit-def: $vgpr4
                                        ; implicit-def: $vgpr0_vgpr1
                                        ; implicit-def: $vgpr5
.LBB9_229:
	s_andn2_saveexec_b64 s[0:1], s[0:1]
	s_cbranch_execz .LBB9_150
; %bb.230:
	v_cmp_ne_u64_e32 vcc, 1, v[0:1]
	s_and_saveexec_b64 s[0:1], vcc
	s_xor_b64 s[0:1], exec, s[0:1]
	s_cbranch_execz .LBB9_232
; %bb.231:
	v_mov_b32_e32 v0, 0
	global_store_short v0, v5, s[10:11]
                                        ; implicit-def: $vgpr4
.LBB9_232:
	s_andn2_saveexec_b64 s[0:1], s[0:1]
	s_cbranch_execz .LBB9_150
; %bb.233:
	v_mov_b32_e32 v0, 0
	global_store_short v0, v4, s[10:11]
	s_endpgm
	.section	.rodata,"a",@progbits
	.p2align	6, 0x0
	.amdhsa_kernel _ZN7rocprim6detail20lookback_scan_kernelILNS0_25lookback_scan_determinismE0ELb0ENS0_19wrapped_scan_configINS_14default_configE6__halfEEPS5_S7_N6hipcub3MaxES5_S5_NS0_19lookback_scan_stateIS5_Lb0ELb1EEEEEvT2_T3_mT5_T4_T7_jPT6_SI_bb
		.amdhsa_group_segment_fixed_size 12288
		.amdhsa_private_segment_fixed_size 0
		.amdhsa_kernarg_size 68
		.amdhsa_user_sgpr_count 6
		.amdhsa_user_sgpr_private_segment_buffer 1
		.amdhsa_user_sgpr_dispatch_ptr 0
		.amdhsa_user_sgpr_queue_ptr 0
		.amdhsa_user_sgpr_kernarg_segment_ptr 1
		.amdhsa_user_sgpr_dispatch_id 0
		.amdhsa_user_sgpr_flat_scratch_init 0
		.amdhsa_user_sgpr_private_segment_size 0
		.amdhsa_uses_dynamic_stack 0
		.amdhsa_system_sgpr_private_segment_wavefront_offset 0
		.amdhsa_system_sgpr_workgroup_id_x 1
		.amdhsa_system_sgpr_workgroup_id_y 0
		.amdhsa_system_sgpr_workgroup_id_z 0
		.amdhsa_system_sgpr_workgroup_info 0
		.amdhsa_system_vgpr_workitem_id 0
		.amdhsa_next_free_vgpr 57
		.amdhsa_next_free_sgpr 98
		.amdhsa_reserve_vcc 1
		.amdhsa_reserve_flat_scratch 0
		.amdhsa_float_round_mode_32 0
		.amdhsa_float_round_mode_16_64 0
		.amdhsa_float_denorm_mode_32 3
		.amdhsa_float_denorm_mode_16_64 3
		.amdhsa_dx10_clamp 1
		.amdhsa_ieee_mode 1
		.amdhsa_fp16_overflow 0
		.amdhsa_exception_fp_ieee_invalid_op 0
		.amdhsa_exception_fp_denorm_src 0
		.amdhsa_exception_fp_ieee_div_zero 0
		.amdhsa_exception_fp_ieee_overflow 0
		.amdhsa_exception_fp_ieee_underflow 0
		.amdhsa_exception_fp_ieee_inexact 0
		.amdhsa_exception_int_div_zero 0
	.end_amdhsa_kernel
	.section	.text._ZN7rocprim6detail20lookback_scan_kernelILNS0_25lookback_scan_determinismE0ELb0ENS0_19wrapped_scan_configINS_14default_configE6__halfEEPS5_S7_N6hipcub3MaxES5_S5_NS0_19lookback_scan_stateIS5_Lb0ELb1EEEEEvT2_T3_mT5_T4_T7_jPT6_SI_bb,"axG",@progbits,_ZN7rocprim6detail20lookback_scan_kernelILNS0_25lookback_scan_determinismE0ELb0ENS0_19wrapped_scan_configINS_14default_configE6__halfEEPS5_S7_N6hipcub3MaxES5_S5_NS0_19lookback_scan_stateIS5_Lb0ELb1EEEEEvT2_T3_mT5_T4_T7_jPT6_SI_bb,comdat
.Lfunc_end9:
	.size	_ZN7rocprim6detail20lookback_scan_kernelILNS0_25lookback_scan_determinismE0ELb0ENS0_19wrapped_scan_configINS_14default_configE6__halfEEPS5_S7_N6hipcub3MaxES5_S5_NS0_19lookback_scan_stateIS5_Lb0ELb1EEEEEvT2_T3_mT5_T4_T7_jPT6_SI_bb, .Lfunc_end9-_ZN7rocprim6detail20lookback_scan_kernelILNS0_25lookback_scan_determinismE0ELb0ENS0_19wrapped_scan_configINS_14default_configE6__halfEEPS5_S7_N6hipcub3MaxES5_S5_NS0_19lookback_scan_stateIS5_Lb0ELb1EEEEEvT2_T3_mT5_T4_T7_jPT6_SI_bb
                                        ; -- End function
	.set _ZN7rocprim6detail20lookback_scan_kernelILNS0_25lookback_scan_determinismE0ELb0ENS0_19wrapped_scan_configINS_14default_configE6__halfEEPS5_S7_N6hipcub3MaxES5_S5_NS0_19lookback_scan_stateIS5_Lb0ELb1EEEEEvT2_T3_mT5_T4_T7_jPT6_SI_bb.num_vgpr, 57
	.set _ZN7rocprim6detail20lookback_scan_kernelILNS0_25lookback_scan_determinismE0ELb0ENS0_19wrapped_scan_configINS_14default_configE6__halfEEPS5_S7_N6hipcub3MaxES5_S5_NS0_19lookback_scan_stateIS5_Lb0ELb1EEEEEvT2_T3_mT5_T4_T7_jPT6_SI_bb.num_agpr, 0
	.set _ZN7rocprim6detail20lookback_scan_kernelILNS0_25lookback_scan_determinismE0ELb0ENS0_19wrapped_scan_configINS_14default_configE6__halfEEPS5_S7_N6hipcub3MaxES5_S5_NS0_19lookback_scan_stateIS5_Lb0ELb1EEEEEvT2_T3_mT5_T4_T7_jPT6_SI_bb.numbered_sgpr, 26
	.set _ZN7rocprim6detail20lookback_scan_kernelILNS0_25lookback_scan_determinismE0ELb0ENS0_19wrapped_scan_configINS_14default_configE6__halfEEPS5_S7_N6hipcub3MaxES5_S5_NS0_19lookback_scan_stateIS5_Lb0ELb1EEEEEvT2_T3_mT5_T4_T7_jPT6_SI_bb.num_named_barrier, 0
	.set _ZN7rocprim6detail20lookback_scan_kernelILNS0_25lookback_scan_determinismE0ELb0ENS0_19wrapped_scan_configINS_14default_configE6__halfEEPS5_S7_N6hipcub3MaxES5_S5_NS0_19lookback_scan_stateIS5_Lb0ELb1EEEEEvT2_T3_mT5_T4_T7_jPT6_SI_bb.private_seg_size, 0
	.set _ZN7rocprim6detail20lookback_scan_kernelILNS0_25lookback_scan_determinismE0ELb0ENS0_19wrapped_scan_configINS_14default_configE6__halfEEPS5_S7_N6hipcub3MaxES5_S5_NS0_19lookback_scan_stateIS5_Lb0ELb1EEEEEvT2_T3_mT5_T4_T7_jPT6_SI_bb.uses_vcc, 1
	.set _ZN7rocprim6detail20lookback_scan_kernelILNS0_25lookback_scan_determinismE0ELb0ENS0_19wrapped_scan_configINS_14default_configE6__halfEEPS5_S7_N6hipcub3MaxES5_S5_NS0_19lookback_scan_stateIS5_Lb0ELb1EEEEEvT2_T3_mT5_T4_T7_jPT6_SI_bb.uses_flat_scratch, 0
	.set _ZN7rocprim6detail20lookback_scan_kernelILNS0_25lookback_scan_determinismE0ELb0ENS0_19wrapped_scan_configINS_14default_configE6__halfEEPS5_S7_N6hipcub3MaxES5_S5_NS0_19lookback_scan_stateIS5_Lb0ELb1EEEEEvT2_T3_mT5_T4_T7_jPT6_SI_bb.has_dyn_sized_stack, 0
	.set _ZN7rocprim6detail20lookback_scan_kernelILNS0_25lookback_scan_determinismE0ELb0ENS0_19wrapped_scan_configINS_14default_configE6__halfEEPS5_S7_N6hipcub3MaxES5_S5_NS0_19lookback_scan_stateIS5_Lb0ELb1EEEEEvT2_T3_mT5_T4_T7_jPT6_SI_bb.has_recursion, 0
	.set _ZN7rocprim6detail20lookback_scan_kernelILNS0_25lookback_scan_determinismE0ELb0ENS0_19wrapped_scan_configINS_14default_configE6__halfEEPS5_S7_N6hipcub3MaxES5_S5_NS0_19lookback_scan_stateIS5_Lb0ELb1EEEEEvT2_T3_mT5_T4_T7_jPT6_SI_bb.has_indirect_call, 0
	.section	.AMDGPU.csdata,"",@progbits
; Kernel info:
; codeLenInByte = 9152
; TotalNumSgprs: 30
; NumVgprs: 57
; ScratchSize: 0
; MemoryBound: 0
; FloatMode: 240
; IeeeMode: 1
; LDSByteSize: 12288 bytes/workgroup (compile time only)
; SGPRBlocks: 12
; VGPRBlocks: 14
; NumSGPRsForWavesPerEU: 102
; NumVGPRsForWavesPerEU: 57
; Occupancy: 4
; WaveLimiterHint : 1
; COMPUTE_PGM_RSRC2:SCRATCH_EN: 0
; COMPUTE_PGM_RSRC2:USER_SGPR: 6
; COMPUTE_PGM_RSRC2:TRAP_HANDLER: 0
; COMPUTE_PGM_RSRC2:TGID_X_EN: 1
; COMPUTE_PGM_RSRC2:TGID_Y_EN: 0
; COMPUTE_PGM_RSRC2:TGID_Z_EN: 0
; COMPUTE_PGM_RSRC2:TIDIG_COMP_CNT: 0
	.section	.text._ZN7rocprim6detail16transform_kernelINS0_24wrapped_transform_configINS_14default_configE6__halfEES4_PS4_S6_NS_8identityIS4_EEEEvT1_mT2_T3_,"axG",@progbits,_ZN7rocprim6detail16transform_kernelINS0_24wrapped_transform_configINS_14default_configE6__halfEES4_PS4_S6_NS_8identityIS4_EEEEvT1_mT2_T3_,comdat
	.protected	_ZN7rocprim6detail16transform_kernelINS0_24wrapped_transform_configINS_14default_configE6__halfEES4_PS4_S6_NS_8identityIS4_EEEEvT1_mT2_T3_ ; -- Begin function _ZN7rocprim6detail16transform_kernelINS0_24wrapped_transform_configINS_14default_configE6__halfEES4_PS4_S6_NS_8identityIS4_EEEEvT1_mT2_T3_
	.globl	_ZN7rocprim6detail16transform_kernelINS0_24wrapped_transform_configINS_14default_configE6__halfEES4_PS4_S6_NS_8identityIS4_EEEEvT1_mT2_T3_
	.p2align	8
	.type	_ZN7rocprim6detail16transform_kernelINS0_24wrapped_transform_configINS_14default_configE6__halfEES4_PS4_S6_NS_8identityIS4_EEEEvT1_mT2_T3_,@function
_ZN7rocprim6detail16transform_kernelINS0_24wrapped_transform_configINS_14default_configE6__halfEES4_PS4_S6_NS_8identityIS4_EEEEvT1_mT2_T3_: ; @_ZN7rocprim6detail16transform_kernelINS0_24wrapped_transform_configINS_14default_configE6__halfEES4_PS4_S6_NS_8identityIS4_EEEEvT1_mT2_T3_
; %bb.0:
	s_load_dword s7, s[4:5], 0x20
	s_load_dwordx4 s[0:3], s[4:5], 0x0
	s_load_dwordx2 s[8:9], s[4:5], 0x10
	s_lshl_b32 s4, s6, 11
	s_mov_b32 s5, 0
	s_waitcnt lgkmcnt(0)
	s_add_i32 s7, s7, -1
	s_lshl_b64 s[10:11], s[4:5], 1
	s_add_u32 s0, s0, s10
	s_addc_u32 s1, s1, s11
	v_lshlrev_b32_e32 v3, 1, v0
	v_mov_b32_e32 v2, s1
	v_add_co_u32_e32 v1, vcc, s0, v3
	s_cmp_lg_u32 s6, s7
	v_addc_co_u32_e32 v2, vcc, 0, v2, vcc
	s_cbranch_scc0 .LBB10_2
; %bb.1:
	global_load_ushort v5, v[1:2], off
	global_load_ushort v6, v[1:2], off offset:1024
	global_load_ushort v7, v[1:2], off offset:2048
	;; [unrolled: 1-line block ×3, first 2 shown]
	s_add_u32 s6, s8, s10
	s_addc_u32 s7, s9, s11
	s_waitcnt vmcnt(3)
	global_store_short v3, v5, s[6:7]
	s_waitcnt vmcnt(3)
	global_store_short v3, v6, s[6:7] offset:1024
	s_waitcnt vmcnt(3)
	global_store_short v3, v7, s[6:7] offset:2048
	s_mov_b64 s[6:7], -1
	s_cbranch_execz .LBB10_3
	s_branch .LBB10_16
.LBB10_2:
	s_mov_b64 s[6:7], 0
                                        ; implicit-def: $vgpr4
.LBB10_3:
	s_sub_i32 s6, s2, s4
	v_cmp_gt_u32_e32 vcc, s6, v0
                                        ; implicit-def: $vgpr5
	s_and_saveexec_b64 s[0:1], vcc
	s_cbranch_execz .LBB10_5
; %bb.4:
	global_load_ushort v5, v[1:2], off
.LBB10_5:
	s_or_b64 exec, exec, s[0:1]
	s_waitcnt vmcnt(3)
	v_or_b32_e32 v4, 0x200, v0
	v_cmp_gt_u32_e64 s[0:1], s6, v4
                                        ; implicit-def: $vgpr6
	s_and_saveexec_b64 s[2:3], s[0:1]
	s_cbranch_execz .LBB10_7
; %bb.6:
	global_load_ushort v6, v[1:2], off offset:1024
.LBB10_7:
	s_or_b64 exec, exec, s[2:3]
	v_or_b32_e32 v4, 0x400, v0
	v_cmp_gt_u32_e64 s[2:3], s6, v4
                                        ; implicit-def: $vgpr7
	s_and_saveexec_b64 s[4:5], s[2:3]
	s_cbranch_execz .LBB10_9
; %bb.8:
	global_load_ushort v7, v[1:2], off offset:2048
.LBB10_9:
	s_or_b64 exec, exec, s[4:5]
	v_or_b32_e32 v0, 0x600, v0
	v_cmp_gt_u32_e64 s[6:7], s6, v0
                                        ; implicit-def: $vgpr4
	s_and_saveexec_b64 s[4:5], s[6:7]
	s_cbranch_execz .LBB10_11
; %bb.10:
	global_load_ushort v4, v[1:2], off offset:3072
.LBB10_11:
	s_or_b64 exec, exec, s[4:5]
	s_add_u32 s4, s8, s10
	s_addc_u32 s5, s9, s11
	v_mov_b32_e32 v1, s5
	v_add_co_u32_e64 v0, s[4:5], s4, v3
	v_addc_co_u32_e64 v1, s[4:5], 0, v1, s[4:5]
	s_and_saveexec_b64 s[4:5], vcc
	s_cbranch_execnz .LBB10_19
; %bb.12:
	s_or_b64 exec, exec, s[4:5]
	s_and_saveexec_b64 s[4:5], s[0:1]
	s_cbranch_execnz .LBB10_20
.LBB10_13:
	s_or_b64 exec, exec, s[4:5]
	s_and_saveexec_b64 s[0:1], s[2:3]
	s_cbranch_execz .LBB10_15
.LBB10_14:
	s_waitcnt vmcnt(0)
	global_store_short v[0:1], v7, off offset:2048
.LBB10_15:
	s_or_b64 exec, exec, s[0:1]
.LBB10_16:
	s_and_saveexec_b64 s[0:1], s[6:7]
	s_cbranch_execnz .LBB10_18
; %bb.17:
	s_endpgm
.LBB10_18:
	s_add_u32 s0, s8, s10
	s_addc_u32 s1, s9, s11
	s_waitcnt vmcnt(0)
	global_store_short v3, v4, s[0:1] offset:3072
	s_endpgm
.LBB10_19:
	s_waitcnt vmcnt(0)
	global_store_short v[0:1], v5, off
	s_or_b64 exec, exec, s[4:5]
	s_and_saveexec_b64 s[4:5], s[0:1]
	s_cbranch_execz .LBB10_13
.LBB10_20:
	s_waitcnt vmcnt(0)
	global_store_short v[0:1], v6, off offset:1024
	s_or_b64 exec, exec, s[4:5]
	s_and_saveexec_b64 s[0:1], s[2:3]
	s_cbranch_execnz .LBB10_14
	s_branch .LBB10_15
	.section	.rodata,"a",@progbits
	.p2align	6, 0x0
	.amdhsa_kernel _ZN7rocprim6detail16transform_kernelINS0_24wrapped_transform_configINS_14default_configE6__halfEES4_PS4_S6_NS_8identityIS4_EEEEvT1_mT2_T3_
		.amdhsa_group_segment_fixed_size 0
		.amdhsa_private_segment_fixed_size 0
		.amdhsa_kernarg_size 288
		.amdhsa_user_sgpr_count 6
		.amdhsa_user_sgpr_private_segment_buffer 1
		.amdhsa_user_sgpr_dispatch_ptr 0
		.amdhsa_user_sgpr_queue_ptr 0
		.amdhsa_user_sgpr_kernarg_segment_ptr 1
		.amdhsa_user_sgpr_dispatch_id 0
		.amdhsa_user_sgpr_flat_scratch_init 0
		.amdhsa_user_sgpr_private_segment_size 0
		.amdhsa_uses_dynamic_stack 0
		.amdhsa_system_sgpr_private_segment_wavefront_offset 0
		.amdhsa_system_sgpr_workgroup_id_x 1
		.amdhsa_system_sgpr_workgroup_id_y 0
		.amdhsa_system_sgpr_workgroup_id_z 0
		.amdhsa_system_sgpr_workgroup_info 0
		.amdhsa_system_vgpr_workitem_id 0
		.amdhsa_next_free_vgpr 8
		.amdhsa_next_free_sgpr 12
		.amdhsa_reserve_vcc 1
		.amdhsa_reserve_flat_scratch 0
		.amdhsa_float_round_mode_32 0
		.amdhsa_float_round_mode_16_64 0
		.amdhsa_float_denorm_mode_32 3
		.amdhsa_float_denorm_mode_16_64 3
		.amdhsa_dx10_clamp 1
		.amdhsa_ieee_mode 1
		.amdhsa_fp16_overflow 0
		.amdhsa_exception_fp_ieee_invalid_op 0
		.amdhsa_exception_fp_denorm_src 0
		.amdhsa_exception_fp_ieee_div_zero 0
		.amdhsa_exception_fp_ieee_overflow 0
		.amdhsa_exception_fp_ieee_underflow 0
		.amdhsa_exception_fp_ieee_inexact 0
		.amdhsa_exception_int_div_zero 0
	.end_amdhsa_kernel
	.section	.text._ZN7rocprim6detail16transform_kernelINS0_24wrapped_transform_configINS_14default_configE6__halfEES4_PS4_S6_NS_8identityIS4_EEEEvT1_mT2_T3_,"axG",@progbits,_ZN7rocprim6detail16transform_kernelINS0_24wrapped_transform_configINS_14default_configE6__halfEES4_PS4_S6_NS_8identityIS4_EEEEvT1_mT2_T3_,comdat
.Lfunc_end10:
	.size	_ZN7rocprim6detail16transform_kernelINS0_24wrapped_transform_configINS_14default_configE6__halfEES4_PS4_S6_NS_8identityIS4_EEEEvT1_mT2_T3_, .Lfunc_end10-_ZN7rocprim6detail16transform_kernelINS0_24wrapped_transform_configINS_14default_configE6__halfEES4_PS4_S6_NS_8identityIS4_EEEEvT1_mT2_T3_
                                        ; -- End function
	.set _ZN7rocprim6detail16transform_kernelINS0_24wrapped_transform_configINS_14default_configE6__halfEES4_PS4_S6_NS_8identityIS4_EEEEvT1_mT2_T3_.num_vgpr, 8
	.set _ZN7rocprim6detail16transform_kernelINS0_24wrapped_transform_configINS_14default_configE6__halfEES4_PS4_S6_NS_8identityIS4_EEEEvT1_mT2_T3_.num_agpr, 0
	.set _ZN7rocprim6detail16transform_kernelINS0_24wrapped_transform_configINS_14default_configE6__halfEES4_PS4_S6_NS_8identityIS4_EEEEvT1_mT2_T3_.numbered_sgpr, 12
	.set _ZN7rocprim6detail16transform_kernelINS0_24wrapped_transform_configINS_14default_configE6__halfEES4_PS4_S6_NS_8identityIS4_EEEEvT1_mT2_T3_.num_named_barrier, 0
	.set _ZN7rocprim6detail16transform_kernelINS0_24wrapped_transform_configINS_14default_configE6__halfEES4_PS4_S6_NS_8identityIS4_EEEEvT1_mT2_T3_.private_seg_size, 0
	.set _ZN7rocprim6detail16transform_kernelINS0_24wrapped_transform_configINS_14default_configE6__halfEES4_PS4_S6_NS_8identityIS4_EEEEvT1_mT2_T3_.uses_vcc, 1
	.set _ZN7rocprim6detail16transform_kernelINS0_24wrapped_transform_configINS_14default_configE6__halfEES4_PS4_S6_NS_8identityIS4_EEEEvT1_mT2_T3_.uses_flat_scratch, 0
	.set _ZN7rocprim6detail16transform_kernelINS0_24wrapped_transform_configINS_14default_configE6__halfEES4_PS4_S6_NS_8identityIS4_EEEEvT1_mT2_T3_.has_dyn_sized_stack, 0
	.set _ZN7rocprim6detail16transform_kernelINS0_24wrapped_transform_configINS_14default_configE6__halfEES4_PS4_S6_NS_8identityIS4_EEEEvT1_mT2_T3_.has_recursion, 0
	.set _ZN7rocprim6detail16transform_kernelINS0_24wrapped_transform_configINS_14default_configE6__halfEES4_PS4_S6_NS_8identityIS4_EEEEvT1_mT2_T3_.has_indirect_call, 0
	.section	.AMDGPU.csdata,"",@progbits
; Kernel info:
; codeLenInByte = 472
; TotalNumSgprs: 16
; NumVgprs: 8
; ScratchSize: 0
; MemoryBound: 0
; FloatMode: 240
; IeeeMode: 1
; LDSByteSize: 0 bytes/workgroup (compile time only)
; SGPRBlocks: 1
; VGPRBlocks: 1
; NumSGPRsForWavesPerEU: 16
; NumVGPRsForWavesPerEU: 8
; Occupancy: 10
; WaveLimiterHint : 1
; COMPUTE_PGM_RSRC2:SCRATCH_EN: 0
; COMPUTE_PGM_RSRC2:USER_SGPR: 6
; COMPUTE_PGM_RSRC2:TRAP_HANDLER: 0
; COMPUTE_PGM_RSRC2:TGID_X_EN: 1
; COMPUTE_PGM_RSRC2:TGID_Y_EN: 0
; COMPUTE_PGM_RSRC2:TGID_Z_EN: 0
; COMPUTE_PGM_RSRC2:TIDIG_COMP_CNT: 0
	.section	.text._ZN7rocprim6detail18single_scan_kernelILb0ENS0_19wrapped_scan_configINS_14default_configE6__halfEEPS4_S6_N6hipcub3MaxES4_S4_EEvT1_mT4_T2_T3_,"axG",@progbits,_ZN7rocprim6detail18single_scan_kernelILb0ENS0_19wrapped_scan_configINS_14default_configE6__halfEEPS4_S6_N6hipcub3MaxES4_S4_EEvT1_mT4_T2_T3_,comdat
	.protected	_ZN7rocprim6detail18single_scan_kernelILb0ENS0_19wrapped_scan_configINS_14default_configE6__halfEEPS4_S6_N6hipcub3MaxES4_S4_EEvT1_mT4_T2_T3_ ; -- Begin function _ZN7rocprim6detail18single_scan_kernelILb0ENS0_19wrapped_scan_configINS_14default_configE6__halfEEPS4_S6_N6hipcub3MaxES4_S4_EEvT1_mT4_T2_T3_
	.globl	_ZN7rocprim6detail18single_scan_kernelILb0ENS0_19wrapped_scan_configINS_14default_configE6__halfEEPS4_S6_N6hipcub3MaxES4_S4_EEvT1_mT4_T2_T3_
	.p2align	8
	.type	_ZN7rocprim6detail18single_scan_kernelILb0ENS0_19wrapped_scan_configINS_14default_configE6__halfEEPS4_S6_N6hipcub3MaxES4_S4_EEvT1_mT4_T2_T3_,@function
_ZN7rocprim6detail18single_scan_kernelILb0ENS0_19wrapped_scan_configINS_14default_configE6__halfEEPS4_S6_N6hipcub3MaxES4_S4_EEvT1_mT4_T2_T3_: ; @_ZN7rocprim6detail18single_scan_kernelILb0ENS0_19wrapped_scan_configINS_14default_configE6__halfEEPS4_S6_N6hipcub3MaxES4_S4_EEvT1_mT4_T2_T3_
; %bb.0:
	s_load_dwordx4 s[48:51], s[4:5], 0x0
	v_mov_b32_e32 v1, 0
	v_lshlrev_b32_e32 v13, 1, v0
	s_waitcnt lgkmcnt(0)
	global_load_ushort v3, v1, s[48:49]
	v_mov_b32_e32 v2, s49
	v_add_co_u32_e32 v1, vcc, s48, v13
	v_addc_co_u32_e32 v2, vcc, 0, v2, vcc
	v_cmp_gt_u32_e64 s[0:1], s50, v0
	s_waitcnt vmcnt(0)
	v_mov_b32_e32 v4, v3
	s_and_saveexec_b64 s[2:3], s[0:1]
	s_cbranch_execz .LBB11_2
; %bb.1:
	global_load_ushort v4, v[1:2], off
.LBB11_2:
	s_or_b64 exec, exec, s[2:3]
	v_or_b32_e32 v5, 0x100, v0
	v_cmp_gt_u32_e64 s[2:3], s50, v5
	v_mov_b32_e32 v5, v3
	s_and_saveexec_b64 s[6:7], s[2:3]
	s_cbranch_execz .LBB11_4
; %bb.3:
	global_load_ushort v5, v[1:2], off offset:512
.LBB11_4:
	s_or_b64 exec, exec, s[6:7]
	v_or_b32_e32 v6, 0x200, v0
	v_cmp_gt_u32_e64 s[44:45], s50, v6
	v_mov_b32_e32 v6, v3
	s_and_saveexec_b64 s[6:7], s[44:45]
	s_cbranch_execz .LBB11_6
; %bb.5:
	global_load_ushort v6, v[1:2], off offset:1024
.LBB11_6:
	;; [unrolled: 9-line block ×7, first 2 shown]
	s_or_b64 exec, exec, s[16:17]
	v_or_b32_e32 v12, 0x800, v0
	v_cmp_gt_u32_e64 s[16:17], s50, v12
	v_mov_b32_e32 v12, v3
	s_and_saveexec_b64 s[18:19], s[16:17]
	s_cbranch_execz .LBB11_18
; %bb.17:
	v_add_co_u32_e32 v14, vcc, 0x1000, v1
	v_addc_co_u32_e32 v15, vcc, 0, v2, vcc
	global_load_ushort v12, v[14:15], off
.LBB11_18:
	s_or_b64 exec, exec, s[18:19]
	v_or_b32_e32 v14, 0x900, v0
	v_cmp_gt_u32_e64 s[18:19], s50, v14
	v_mov_b32_e32 v14, v3
	s_and_saveexec_b64 s[20:21], s[18:19]
	s_cbranch_execz .LBB11_20
; %bb.19:
	v_add_co_u32_e32 v14, vcc, 0x1000, v1
	v_addc_co_u32_e32 v15, vcc, 0, v2, vcc
	global_load_ushort v14, v[14:15], off offset:512
.LBB11_20:
	s_or_b64 exec, exec, s[20:21]
	v_or_b32_e32 v15, 0xa00, v0
	v_cmp_gt_u32_e64 s[20:21], s50, v15
	v_mov_b32_e32 v15, v3
	s_and_saveexec_b64 s[22:23], s[20:21]
	s_cbranch_execz .LBB11_22
; %bb.21:
	v_add_co_u32_e32 v15, vcc, 0x1000, v1
	v_addc_co_u32_e32 v16, vcc, 0, v2, vcc
	global_load_ushort v15, v[15:16], off offset:1024
.LBB11_22:
	;; [unrolled: 11-line block ×7, first 2 shown]
	s_or_b64 exec, exec, s[34:35]
	v_or_b32_e32 v21, 0x1000, v0
	v_cmp_gt_u32_e64 s[34:35], s50, v21
	v_mov_b32_e32 v21, v3
	s_and_saveexec_b64 s[36:37], s[34:35]
	s_cbranch_execz .LBB11_34
; %bb.33:
	v_add_co_u32_e32 v21, vcc, 0x2000, v1
	v_addc_co_u32_e32 v22, vcc, 0, v2, vcc
	global_load_ushort v21, v[21:22], off
.LBB11_34:
	s_or_b64 exec, exec, s[36:37]
	v_or_b32_e32 v22, 0x1100, v0
	v_cmp_gt_u32_e64 s[36:37], s50, v22
	v_mov_b32_e32 v22, v3
	s_and_saveexec_b64 s[38:39], s[36:37]
	s_cbranch_execz .LBB11_36
; %bb.35:
	v_add_co_u32_e32 v22, vcc, 0x2000, v1
	v_addc_co_u32_e32 v23, vcc, 0, v2, vcc
	global_load_ushort v22, v[22:23], off offset:512
.LBB11_36:
	s_or_b64 exec, exec, s[38:39]
	v_or_b32_e32 v23, 0x1200, v0
	v_cmp_gt_u32_e64 s[38:39], s50, v23
	v_mov_b32_e32 v23, v3
	s_and_saveexec_b64 s[40:41], s[38:39]
	s_cbranch_execz .LBB11_38
; %bb.37:
	v_add_co_u32_e32 v23, vcc, 0x2000, v1
	v_addc_co_u32_e32 v24, vcc, 0, v2, vcc
	global_load_ushort v23, v[23:24], off offset:1024
.LBB11_38:
	;; [unrolled: 11-line block ×6, first 2 shown]
	s_or_b64 exec, exec, s[52:53]
	v_or_b32_e32 v28, 0x1700, v0
	v_cmp_gt_u32_e64 s[50:51], s50, v28
	s_and_saveexec_b64 s[52:53], s[50:51]
	s_cbranch_execz .LBB11_48
; %bb.47:
	v_add_co_u32_e32 v1, vcc, 0x2000, v1
	v_addc_co_u32_e32 v2, vcc, 0, v2, vcc
	global_load_ushort v3, v[1:2], off offset:3584
.LBB11_48:
	s_or_b64 exec, exec, s[52:53]
	v_mad_u32_u24 v1, v0, 46, v13
	s_waitcnt vmcnt(0)
	ds_write_b16 v13, v4
	ds_write_b16 v13, v5 offset:512
	ds_write_b16 v13, v6 offset:1024
	;; [unrolled: 1-line block ×23, first 2 shown]
	s_waitcnt lgkmcnt(0)
	s_barrier
	ds_read_b128 v[9:12], v1
	ds_read_b128 v[5:8], v1 offset:16
	ds_read_b128 v[1:4], v1 offset:32
	s_waitcnt lgkmcnt(0)
	s_barrier
	v_lshrrev_b32_e32 v25, 16, v9
	v_cmp_lt_f16_e32 vcc, v9, v25
	v_cndmask_b32_e32 v26, v9, v25, vcc
	v_cmp_lt_f16_e32 vcc, v26, v10
	v_lshrrev_b32_e32 v24, 16, v10
	v_cndmask_b32_e32 v26, v26, v10, vcc
	v_cmp_lt_f16_e32 vcc, v26, v24
	v_cndmask_b32_e32 v26, v26, v24, vcc
	v_cmp_lt_f16_e32 vcc, v26, v11
	v_lshrrev_b32_e32 v23, 16, v11
	v_cndmask_b32_e32 v26, v26, v11, vcc
	;; [unrolled: 5-line block ×11, first 2 shown]
	v_cmp_lt_f16_e32 vcc, v26, v14
	v_cndmask_b32_e32 v27, v26, v14, vcc
	v_mbcnt_lo_u32_b32 v26, -1, 0
	v_mbcnt_hi_u32_b32 v26, -1, v26
	v_and_b32_e32 v29, 0xffff, v27
	v_and_b32_e32 v28, 15, v26
	v_cmp_eq_u32_e32 vcc, 0, v28
	v_mov_b32_dpp v29, v29 row_shr:1 row_mask:0xf bank_mask:0xf
	v_cmp_gt_f16_e64 s[52:53], v27, v29
	s_or_b64 vcc, vcc, s[52:53]
	v_cndmask_b32_e32 v27, v29, v27, vcc
	v_and_b32_e32 v29, 0xffff, v27
	s_nop 1
	v_mov_b32_dpp v29, v29 row_shr:2 row_mask:0xf bank_mask:0xf
	v_cmp_gt_f16_e32 vcc, v27, v29
	v_cndmask_b32_e32 v29, v29, v27, vcc
	v_cmp_lt_u32_e32 vcc, 1, v28
	v_cndmask_b32_e32 v27, v27, v29, vcc
	v_and_b32_e32 v29, 0xffff, v27
	s_nop 1
	v_mov_b32_dpp v29, v29 row_shr:4 row_mask:0xf bank_mask:0xf
	v_cmp_gt_f16_e32 vcc, v27, v29
	v_cndmask_b32_e32 v29, v29, v27, vcc
	v_cmp_lt_u32_e32 vcc, 3, v28
	;; [unrolled: 7-line block ×3, first 2 shown]
	v_cndmask_b32_e32 v27, v27, v29, vcc
	v_and_b32_e32 v28, 0xffff, v27
	v_and_b32_e32 v29, 16, v26
	v_cmp_eq_u32_e32 vcc, 0, v29
	v_mov_b32_dpp v28, v28 row_bcast:15 row_mask:0xf bank_mask:0xf
	v_cmp_gt_f16_e64 s[52:53], v27, v28
	s_or_b64 vcc, vcc, s[52:53]
	v_cndmask_b32_e32 v27, v28, v27, vcc
	v_and_b32_e32 v28, 0xffff, v27
	v_lshrrev_b32_e32 v29, 6, v0
	s_nop 0
	v_mov_b32_dpp v28, v28 row_bcast:31 row_mask:0xf bank_mask:0xf
	v_cmp_gt_f16_e32 vcc, v27, v28
	v_cndmask_b32_e32 v28, v28, v27, vcc
	v_cmp_lt_u32_e32 vcc, 31, v26
	v_cndmask_b32_e32 v28, v27, v28, vcc
	v_or_b32_e32 v27, 63, v0
	v_cmp_eq_u32_e32 vcc, v0, v27
	s_and_saveexec_b64 s[52:53], vcc
; %bb.49:
	v_lshlrev_b32_e32 v27, 1, v29
	ds_write_b16 v27, v28
; %bb.50:
	s_or_b64 exec, exec, s[52:53]
	v_cmp_gt_u32_e32 vcc, 4, v0
	s_waitcnt lgkmcnt(0)
	s_barrier
	s_and_saveexec_b64 s[54:55], vcc
	s_cbranch_execz .LBB11_52
; %bb.51:
	ds_read_u16 v27, v13
	v_and_b32_e32 v30, 3, v26
	v_cmp_eq_u32_e32 vcc, 0, v30
	s_waitcnt lgkmcnt(0)
	v_and_b32_e32 v31, 0xffff, v27
	s_nop 1
	v_mov_b32_dpp v31, v31 row_shr:1 row_mask:0xf bank_mask:0xf
	v_cmp_lt_f16_e64 s[52:53], v31, v27
	s_or_b64 vcc, vcc, s[52:53]
	v_cndmask_b32_e32 v27, v31, v27, vcc
	v_and_b32_e32 v31, 0xffff, v27
	s_nop 1
	v_mov_b32_dpp v31, v31 row_shr:2 row_mask:0xf bank_mask:0xf
	v_cmp_gt_f16_e32 vcc, v27, v31
	v_cndmask_b32_e32 v31, v31, v27, vcc
	v_cmp_lt_u32_e32 vcc, 1, v30
	v_cndmask_b32_e32 v27, v27, v31, vcc
	ds_write_b16 v13, v27
.LBB11_52:
	s_or_b64 exec, exec, s[54:55]
	v_mul_u32_u24_e32 v27, 46, v0
	v_cmp_lt_u32_e32 vcc, 63, v0
	s_waitcnt lgkmcnt(0)
	s_barrier
                                        ; implicit-def: $vgpr30
	s_and_saveexec_b64 s[52:53], vcc
	s_cbranch_execz .LBB11_54
; %bb.53:
	v_lshl_add_u32 v29, v29, 1, -2
	ds_read_u16 v30, v29
	s_waitcnt lgkmcnt(0)
	v_cmp_lt_f16_e32 vcc, v30, v28
	v_cndmask_b32_e32 v28, v30, v28, vcc
.LBB11_54:
	s_or_b64 exec, exec, s[52:53]
	v_subrev_co_u32_e32 v29, vcc, 1, v26
	v_and_b32_e32 v31, 64, v26
	v_cmp_lt_i32_e64 s[52:53], v29, v31
	v_cndmask_b32_e64 v26, v29, v26, s[52:53]
	v_lshlrev_b32_e32 v26, 2, v26
	v_and_b32_e32 v28, 0xffff, v28
	ds_bpermute_b32 v26, v26, v28
	s_load_dwordx2 s[52:53], s[4:5], 0x18
	v_cmp_eq_u32_e64 s[4:5], 0, v0
	v_add_u32_e32 v27, v13, v27
	s_waitcnt lgkmcnt(0)
	v_cndmask_b32_e32 v0, v26, v30, vcc
	v_cmp_gt_f16_e32 vcc, v9, v0
	s_or_b64 vcc, s[4:5], vcc
	v_cndmask_b32_e32 v0, v0, v9, vcc
	v_cmp_lt_f16_e32 vcc, v0, v25
	v_cndmask_b32_e32 v9, v0, v25, vcc
	v_cmp_lt_f16_e32 vcc, v9, v10
	;; [unrolled: 2-line block ×22, first 2 shown]
	v_cndmask_b32_e32 v4, v15, v4, vcc
	s_mov_b32 s4, 0x5040100
	v_cmp_lt_f16_e32 vcc, v4, v14
	v_perm_b32 v3, v22, v12, s4
	v_perm_b32 v2, v23, v11, s4
	;; [unrolled: 1-line block ×4, first 2 shown]
	v_cndmask_b32_e32 v14, v4, v14, vcc
	s_barrier
	ds_write_b128 v27, v[0:3]
	v_perm_b32 v3, v18, v8, s4
	v_perm_b32 v2, v19, v7, s4
	;; [unrolled: 1-line block ×4, first 2 shown]
	ds_write_b128 v27, v[0:3] offset:16
	v_perm_b32 v3, v14, v4, s4
	v_perm_b32 v2, v15, v28, s4
	;; [unrolled: 1-line block ×4, first 2 shown]
	ds_write_b128 v27, v[0:3] offset:32
	s_waitcnt lgkmcnt(0)
	s_barrier
	ds_read_u16 v25, v13 offset:512
	ds_read_u16 v24, v13 offset:1024
	;; [unrolled: 1-line block ×23, first 2 shown]
	v_mov_b32_e32 v1, s53
	v_add_co_u32_e32 v0, vcc, s52, v13
	v_addc_co_u32_e32 v1, vcc, 0, v1, vcc
	s_and_saveexec_b64 s[4:5], s[0:1]
	s_cbranch_execnz .LBB11_79
; %bb.55:
	s_or_b64 exec, exec, s[4:5]
	s_and_saveexec_b64 s[0:1], s[2:3]
	s_cbranch_execnz .LBB11_80
.LBB11_56:
	s_or_b64 exec, exec, s[0:1]
	s_and_saveexec_b64 s[0:1], s[44:45]
	s_cbranch_execnz .LBB11_81
.LBB11_57:
	s_or_b64 exec, exec, s[0:1]
	s_and_saveexec_b64 s[0:1], s[6:7]
	s_cbranch_execnz .LBB11_82
.LBB11_58:
	s_or_b64 exec, exec, s[0:1]
	s_and_saveexec_b64 s[0:1], s[8:9]
	s_cbranch_execnz .LBB11_83
.LBB11_59:
	s_or_b64 exec, exec, s[0:1]
	s_and_saveexec_b64 s[0:1], s[10:11]
	s_cbranch_execnz .LBB11_84
.LBB11_60:
	s_or_b64 exec, exec, s[0:1]
	s_and_saveexec_b64 s[0:1], s[12:13]
	s_cbranch_execnz .LBB11_85
.LBB11_61:
	s_or_b64 exec, exec, s[0:1]
	s_and_saveexec_b64 s[0:1], s[14:15]
	s_cbranch_execnz .LBB11_86
.LBB11_62:
	s_or_b64 exec, exec, s[0:1]
	s_and_saveexec_b64 s[0:1], s[16:17]
	s_cbranch_execnz .LBB11_87
.LBB11_63:
	s_or_b64 exec, exec, s[0:1]
	s_and_saveexec_b64 s[0:1], s[18:19]
	s_cbranch_execnz .LBB11_88
.LBB11_64:
	s_or_b64 exec, exec, s[0:1]
	s_and_saveexec_b64 s[0:1], s[20:21]
	s_cbranch_execnz .LBB11_89
.LBB11_65:
	s_or_b64 exec, exec, s[0:1]
	s_and_saveexec_b64 s[0:1], s[22:23]
	s_cbranch_execnz .LBB11_90
.LBB11_66:
	s_or_b64 exec, exec, s[0:1]
	s_and_saveexec_b64 s[0:1], s[24:25]
	s_cbranch_execnz .LBB11_91
.LBB11_67:
	s_or_b64 exec, exec, s[0:1]
	s_and_saveexec_b64 s[0:1], s[26:27]
	s_cbranch_execnz .LBB11_92
.LBB11_68:
	s_or_b64 exec, exec, s[0:1]
	s_and_saveexec_b64 s[0:1], s[28:29]
	s_cbranch_execnz .LBB11_93
.LBB11_69:
	s_or_b64 exec, exec, s[0:1]
	s_and_saveexec_b64 s[0:1], s[30:31]
	s_cbranch_execnz .LBB11_94
.LBB11_70:
	s_or_b64 exec, exec, s[0:1]
	s_and_saveexec_b64 s[0:1], s[34:35]
	s_cbranch_execnz .LBB11_95
.LBB11_71:
	s_or_b64 exec, exec, s[0:1]
	s_and_saveexec_b64 s[0:1], s[36:37]
	s_cbranch_execnz .LBB11_96
.LBB11_72:
	s_or_b64 exec, exec, s[0:1]
	s_and_saveexec_b64 s[0:1], s[38:39]
	s_cbranch_execnz .LBB11_97
.LBB11_73:
	s_or_b64 exec, exec, s[0:1]
	s_and_saveexec_b64 s[0:1], s[40:41]
	s_cbranch_execnz .LBB11_98
.LBB11_74:
	s_or_b64 exec, exec, s[0:1]
	s_and_saveexec_b64 s[0:1], s[42:43]
	s_cbranch_execnz .LBB11_99
.LBB11_75:
	s_or_b64 exec, exec, s[0:1]
	s_and_saveexec_b64 s[0:1], s[46:47]
	s_cbranch_execnz .LBB11_100
.LBB11_76:
	s_or_b64 exec, exec, s[0:1]
	s_and_saveexec_b64 s[0:1], s[48:49]
	s_cbranch_execnz .LBB11_101
.LBB11_77:
	s_or_b64 exec, exec, s[0:1]
	s_and_saveexec_b64 s[0:1], s[50:51]
	s_cbranch_execnz .LBB11_102
.LBB11_78:
	s_endpgm
.LBB11_79:
	ds_read_u16 v13, v13
	s_waitcnt lgkmcnt(0)
	global_store_short v[0:1], v13, off
	s_or_b64 exec, exec, s[4:5]
	s_and_saveexec_b64 s[0:1], s[2:3]
	s_cbranch_execz .LBB11_56
.LBB11_80:
	s_waitcnt lgkmcnt(14)
	global_store_short v[0:1], v25, off offset:512
	s_or_b64 exec, exec, s[0:1]
	s_and_saveexec_b64 s[0:1], s[44:45]
	s_cbranch_execz .LBB11_57
.LBB11_81:
	s_waitcnt lgkmcnt(14)
	global_store_short v[0:1], v24, off offset:1024
	s_or_b64 exec, exec, s[0:1]
	s_and_saveexec_b64 s[0:1], s[6:7]
	s_cbranch_execz .LBB11_58
.LBB11_82:
	s_waitcnt lgkmcnt(14)
	global_store_short v[0:1], v23, off offset:1536
	s_or_b64 exec, exec, s[0:1]
	s_and_saveexec_b64 s[0:1], s[8:9]
	s_cbranch_execz .LBB11_59
.LBB11_83:
	s_waitcnt lgkmcnt(14)
	global_store_short v[0:1], v22, off offset:2048
	s_or_b64 exec, exec, s[0:1]
	s_and_saveexec_b64 s[0:1], s[10:11]
	s_cbranch_execz .LBB11_60
.LBB11_84:
	s_waitcnt lgkmcnt(14)
	global_store_short v[0:1], v21, off offset:2560
	s_or_b64 exec, exec, s[0:1]
	s_and_saveexec_b64 s[0:1], s[12:13]
	s_cbranch_execz .LBB11_61
.LBB11_85:
	s_waitcnt lgkmcnt(14)
	global_store_short v[0:1], v20, off offset:3072
	s_or_b64 exec, exec, s[0:1]
	s_and_saveexec_b64 s[0:1], s[14:15]
	s_cbranch_execz .LBB11_62
.LBB11_86:
	s_waitcnt lgkmcnt(14)
	global_store_short v[0:1], v19, off offset:3584
	s_or_b64 exec, exec, s[0:1]
	s_and_saveexec_b64 s[0:1], s[16:17]
	s_cbranch_execz .LBB11_63
.LBB11_87:
	s_waitcnt lgkmcnt(14)
	v_add_co_u32_e32 v19, vcc, 0x1000, v0
	v_addc_co_u32_e32 v20, vcc, 0, v1, vcc
	global_store_short v[19:20], v18, off
	s_or_b64 exec, exec, s[0:1]
	s_and_saveexec_b64 s[0:1], s[18:19]
	s_cbranch_execz .LBB11_64
.LBB11_88:
	s_waitcnt lgkmcnt(14)
	v_add_co_u32_e32 v18, vcc, 0x1000, v0
	v_addc_co_u32_e32 v19, vcc, 0, v1, vcc
	global_store_short v[18:19], v17, off offset:512
	s_or_b64 exec, exec, s[0:1]
	s_and_saveexec_b64 s[0:1], s[20:21]
	s_cbranch_execz .LBB11_65
.LBB11_89:
	s_waitcnt lgkmcnt(14)
	v_add_co_u32_e32 v17, vcc, 0x1000, v0
	v_addc_co_u32_e32 v18, vcc, 0, v1, vcc
	s_waitcnt lgkmcnt(13)
	global_store_short v[17:18], v16, off offset:1024
	s_or_b64 exec, exec, s[0:1]
	s_and_saveexec_b64 s[0:1], s[22:23]
	s_cbranch_execz .LBB11_66
.LBB11_90:
	s_waitcnt lgkmcnt(13)
	v_add_co_u32_e32 v16, vcc, 0x1000, v0
	v_addc_co_u32_e32 v17, vcc, 0, v1, vcc
	s_waitcnt lgkmcnt(12)
	global_store_short v[16:17], v15, off offset:1536
	s_or_b64 exec, exec, s[0:1]
	s_and_saveexec_b64 s[0:1], s[24:25]
	s_cbranch_execz .LBB11_67
.LBB11_91:
	s_waitcnt lgkmcnt(12)
	v_add_co_u32_e32 v15, vcc, 0x1000, v0
	v_addc_co_u32_e32 v16, vcc, 0, v1, vcc
	s_waitcnt lgkmcnt(11)
	global_store_short v[15:16], v14, off offset:2048
	s_or_b64 exec, exec, s[0:1]
	s_and_saveexec_b64 s[0:1], s[26:27]
	s_cbranch_execz .LBB11_68
.LBB11_92:
	v_add_co_u32_e32 v13, vcc, 0x1000, v0
	s_waitcnt lgkmcnt(11)
	v_addc_co_u32_e32 v14, vcc, 0, v1, vcc
	s_waitcnt lgkmcnt(10)
	global_store_short v[13:14], v12, off offset:2560
	s_or_b64 exec, exec, s[0:1]
	s_and_saveexec_b64 s[0:1], s[28:29]
	s_cbranch_execz .LBB11_69
.LBB11_93:
	s_waitcnt lgkmcnt(10)
	v_add_co_u32_e32 v12, vcc, 0x1000, v0
	v_addc_co_u32_e32 v13, vcc, 0, v1, vcc
	s_waitcnt lgkmcnt(9)
	global_store_short v[12:13], v11, off offset:3072
	s_or_b64 exec, exec, s[0:1]
	s_and_saveexec_b64 s[0:1], s[30:31]
	s_cbranch_execz .LBB11_70
.LBB11_94:
	s_waitcnt lgkmcnt(9)
	v_add_co_u32_e32 v11, vcc, 0x1000, v0
	v_addc_co_u32_e32 v12, vcc, 0, v1, vcc
	s_waitcnt lgkmcnt(8)
	global_store_short v[11:12], v10, off offset:3584
	s_or_b64 exec, exec, s[0:1]
	s_and_saveexec_b64 s[0:1], s[34:35]
	s_cbranch_execz .LBB11_71
.LBB11_95:
	s_waitcnt lgkmcnt(8)
	v_add_co_u32_e32 v10, vcc, 0x2000, v0
	v_addc_co_u32_e32 v11, vcc, 0, v1, vcc
	s_waitcnt lgkmcnt(7)
	global_store_short v[10:11], v9, off
	s_or_b64 exec, exec, s[0:1]
	s_and_saveexec_b64 s[0:1], s[36:37]
	s_cbranch_execz .LBB11_72
.LBB11_96:
	s_waitcnt lgkmcnt(7)
	v_add_co_u32_e32 v9, vcc, 0x2000, v0
	v_addc_co_u32_e32 v10, vcc, 0, v1, vcc
	s_waitcnt lgkmcnt(6)
	global_store_short v[9:10], v8, off offset:512
	s_or_b64 exec, exec, s[0:1]
	s_and_saveexec_b64 s[0:1], s[38:39]
	s_cbranch_execz .LBB11_73
.LBB11_97:
	s_waitcnt lgkmcnt(6)
	v_add_co_u32_e32 v8, vcc, 0x2000, v0
	v_addc_co_u32_e32 v9, vcc, 0, v1, vcc
	s_waitcnt lgkmcnt(5)
	global_store_short v[8:9], v7, off offset:1024
	s_or_b64 exec, exec, s[0:1]
	s_and_saveexec_b64 s[0:1], s[40:41]
	s_cbranch_execz .LBB11_74
.LBB11_98:
	s_waitcnt lgkmcnt(5)
	v_add_co_u32_e32 v7, vcc, 0x2000, v0
	v_addc_co_u32_e32 v8, vcc, 0, v1, vcc
	s_waitcnt lgkmcnt(4)
	global_store_short v[7:8], v6, off offset:1536
	s_or_b64 exec, exec, s[0:1]
	s_and_saveexec_b64 s[0:1], s[42:43]
	s_cbranch_execz .LBB11_75
.LBB11_99:
	s_waitcnt lgkmcnt(4)
	v_add_co_u32_e32 v6, vcc, 0x2000, v0
	v_addc_co_u32_e32 v7, vcc, 0, v1, vcc
	s_waitcnt lgkmcnt(3)
	global_store_short v[6:7], v5, off offset:2048
	s_or_b64 exec, exec, s[0:1]
	s_and_saveexec_b64 s[0:1], s[46:47]
	s_cbranch_execz .LBB11_76
.LBB11_100:
	s_waitcnt lgkmcnt(3)
	v_add_co_u32_e32 v5, vcc, 0x2000, v0
	v_addc_co_u32_e32 v6, vcc, 0, v1, vcc
	s_waitcnt lgkmcnt(2)
	global_store_short v[5:6], v4, off offset:2560
	s_or_b64 exec, exec, s[0:1]
	s_and_saveexec_b64 s[0:1], s[48:49]
	s_cbranch_execz .LBB11_77
.LBB11_101:
	s_waitcnt lgkmcnt(2)
	v_add_co_u32_e32 v4, vcc, 0x2000, v0
	v_addc_co_u32_e32 v5, vcc, 0, v1, vcc
	s_waitcnt lgkmcnt(1)
	global_store_short v[4:5], v3, off offset:3072
	s_or_b64 exec, exec, s[0:1]
	s_and_saveexec_b64 s[0:1], s[50:51]
	s_cbranch_execz .LBB11_78
.LBB11_102:
	v_add_co_u32_e32 v0, vcc, 0x2000, v0
	v_addc_co_u32_e32 v1, vcc, 0, v1, vcc
	s_waitcnt lgkmcnt(0)
	global_store_short v[0:1], v2, off offset:3584
	s_endpgm
	.section	.rodata,"a",@progbits
	.p2align	6, 0x0
	.amdhsa_kernel _ZN7rocprim6detail18single_scan_kernelILb0ENS0_19wrapped_scan_configINS_14default_configE6__halfEEPS4_S6_N6hipcub3MaxES4_S4_EEvT1_mT4_T2_T3_
		.amdhsa_group_segment_fixed_size 12288
		.amdhsa_private_segment_fixed_size 0
		.amdhsa_kernarg_size 36
		.amdhsa_user_sgpr_count 6
		.amdhsa_user_sgpr_private_segment_buffer 1
		.amdhsa_user_sgpr_dispatch_ptr 0
		.amdhsa_user_sgpr_queue_ptr 0
		.amdhsa_user_sgpr_kernarg_segment_ptr 1
		.amdhsa_user_sgpr_dispatch_id 0
		.amdhsa_user_sgpr_flat_scratch_init 0
		.amdhsa_user_sgpr_private_segment_size 0
		.amdhsa_uses_dynamic_stack 0
		.amdhsa_system_sgpr_private_segment_wavefront_offset 0
		.amdhsa_system_sgpr_workgroup_id_x 1
		.amdhsa_system_sgpr_workgroup_id_y 0
		.amdhsa_system_sgpr_workgroup_id_z 0
		.amdhsa_system_sgpr_workgroup_info 0
		.amdhsa_system_vgpr_workitem_id 0
		.amdhsa_next_free_vgpr 41
		.amdhsa_next_free_sgpr 98
		.amdhsa_reserve_vcc 1
		.amdhsa_reserve_flat_scratch 0
		.amdhsa_float_round_mode_32 0
		.amdhsa_float_round_mode_16_64 0
		.amdhsa_float_denorm_mode_32 3
		.amdhsa_float_denorm_mode_16_64 3
		.amdhsa_dx10_clamp 1
		.amdhsa_ieee_mode 1
		.amdhsa_fp16_overflow 0
		.amdhsa_exception_fp_ieee_invalid_op 0
		.amdhsa_exception_fp_denorm_src 0
		.amdhsa_exception_fp_ieee_div_zero 0
		.amdhsa_exception_fp_ieee_overflow 0
		.amdhsa_exception_fp_ieee_underflow 0
		.amdhsa_exception_fp_ieee_inexact 0
		.amdhsa_exception_int_div_zero 0
	.end_amdhsa_kernel
	.section	.text._ZN7rocprim6detail18single_scan_kernelILb0ENS0_19wrapped_scan_configINS_14default_configE6__halfEEPS4_S6_N6hipcub3MaxES4_S4_EEvT1_mT4_T2_T3_,"axG",@progbits,_ZN7rocprim6detail18single_scan_kernelILb0ENS0_19wrapped_scan_configINS_14default_configE6__halfEEPS4_S6_N6hipcub3MaxES4_S4_EEvT1_mT4_T2_T3_,comdat
.Lfunc_end11:
	.size	_ZN7rocprim6detail18single_scan_kernelILb0ENS0_19wrapped_scan_configINS_14default_configE6__halfEEPS4_S6_N6hipcub3MaxES4_S4_EEvT1_mT4_T2_T3_, .Lfunc_end11-_ZN7rocprim6detail18single_scan_kernelILb0ENS0_19wrapped_scan_configINS_14default_configE6__halfEEPS4_S6_N6hipcub3MaxES4_S4_EEvT1_mT4_T2_T3_
                                        ; -- End function
	.set _ZN7rocprim6detail18single_scan_kernelILb0ENS0_19wrapped_scan_configINS_14default_configE6__halfEEPS4_S6_N6hipcub3MaxES4_S4_EEvT1_mT4_T2_T3_.num_vgpr, 32
	.set _ZN7rocprim6detail18single_scan_kernelILb0ENS0_19wrapped_scan_configINS_14default_configE6__halfEEPS4_S6_N6hipcub3MaxES4_S4_EEvT1_mT4_T2_T3_.num_agpr, 0
	.set _ZN7rocprim6detail18single_scan_kernelILb0ENS0_19wrapped_scan_configINS_14default_configE6__halfEEPS4_S6_N6hipcub3MaxES4_S4_EEvT1_mT4_T2_T3_.numbered_sgpr, 56
	.set _ZN7rocprim6detail18single_scan_kernelILb0ENS0_19wrapped_scan_configINS_14default_configE6__halfEEPS4_S6_N6hipcub3MaxES4_S4_EEvT1_mT4_T2_T3_.num_named_barrier, 0
	.set _ZN7rocprim6detail18single_scan_kernelILb0ENS0_19wrapped_scan_configINS_14default_configE6__halfEEPS4_S6_N6hipcub3MaxES4_S4_EEvT1_mT4_T2_T3_.private_seg_size, 0
	.set _ZN7rocprim6detail18single_scan_kernelILb0ENS0_19wrapped_scan_configINS_14default_configE6__halfEEPS4_S6_N6hipcub3MaxES4_S4_EEvT1_mT4_T2_T3_.uses_vcc, 1
	.set _ZN7rocprim6detail18single_scan_kernelILb0ENS0_19wrapped_scan_configINS_14default_configE6__halfEEPS4_S6_N6hipcub3MaxES4_S4_EEvT1_mT4_T2_T3_.uses_flat_scratch, 0
	.set _ZN7rocprim6detail18single_scan_kernelILb0ENS0_19wrapped_scan_configINS_14default_configE6__halfEEPS4_S6_N6hipcub3MaxES4_S4_EEvT1_mT4_T2_T3_.has_dyn_sized_stack, 0
	.set _ZN7rocprim6detail18single_scan_kernelILb0ENS0_19wrapped_scan_configINS_14default_configE6__halfEEPS4_S6_N6hipcub3MaxES4_S4_EEvT1_mT4_T2_T3_.has_recursion, 0
	.set _ZN7rocprim6detail18single_scan_kernelILb0ENS0_19wrapped_scan_configINS_14default_configE6__halfEEPS4_S6_N6hipcub3MaxES4_S4_EEvT1_mT4_T2_T3_.has_indirect_call, 0
	.section	.AMDGPU.csdata,"",@progbits
; Kernel info:
; codeLenInByte = 3824
; TotalNumSgprs: 60
; NumVgprs: 32
; ScratchSize: 0
; MemoryBound: 0
; FloatMode: 240
; IeeeMode: 1
; LDSByteSize: 12288 bytes/workgroup (compile time only)
; SGPRBlocks: 12
; VGPRBlocks: 10
; NumSGPRsForWavesPerEU: 102
; NumVGPRsForWavesPerEU: 41
; Occupancy: 5
; WaveLimiterHint : 0
; COMPUTE_PGM_RSRC2:SCRATCH_EN: 0
; COMPUTE_PGM_RSRC2:USER_SGPR: 6
; COMPUTE_PGM_RSRC2:TRAP_HANDLER: 0
; COMPUTE_PGM_RSRC2:TGID_X_EN: 1
; COMPUTE_PGM_RSRC2:TGID_Y_EN: 0
; COMPUTE_PGM_RSRC2:TGID_Z_EN: 0
; COMPUTE_PGM_RSRC2:TIDIG_COMP_CNT: 0
	.section	.text._ZN7rocprim6detail31init_lookback_scan_state_kernelINS0_19lookback_scan_stateI12hip_bfloat16Lb1ELb1EEEEEvT_jjPNS5_10value_typeE,"axG",@progbits,_ZN7rocprim6detail31init_lookback_scan_state_kernelINS0_19lookback_scan_stateI12hip_bfloat16Lb1ELb1EEEEEvT_jjPNS5_10value_typeE,comdat
	.protected	_ZN7rocprim6detail31init_lookback_scan_state_kernelINS0_19lookback_scan_stateI12hip_bfloat16Lb1ELb1EEEEEvT_jjPNS5_10value_typeE ; -- Begin function _ZN7rocprim6detail31init_lookback_scan_state_kernelINS0_19lookback_scan_stateI12hip_bfloat16Lb1ELb1EEEEEvT_jjPNS5_10value_typeE
	.globl	_ZN7rocprim6detail31init_lookback_scan_state_kernelINS0_19lookback_scan_stateI12hip_bfloat16Lb1ELb1EEEEEvT_jjPNS5_10value_typeE
	.p2align	8
	.type	_ZN7rocprim6detail31init_lookback_scan_state_kernelINS0_19lookback_scan_stateI12hip_bfloat16Lb1ELb1EEEEEvT_jjPNS5_10value_typeE,@function
_ZN7rocprim6detail31init_lookback_scan_state_kernelINS0_19lookback_scan_stateI12hip_bfloat16Lb1ELb1EEEEEvT_jjPNS5_10value_typeE: ; @_ZN7rocprim6detail31init_lookback_scan_state_kernelINS0_19lookback_scan_stateI12hip_bfloat16Lb1ELb1EEEEEvT_jjPNS5_10value_typeE
; %bb.0:
	s_load_dword s7, s[4:5], 0x24
	s_load_dwordx2 s[8:9], s[4:5], 0x10
	s_load_dwordx4 s[0:3], s[4:5], 0x0
	s_waitcnt lgkmcnt(0)
	s_and_b32 s4, s7, 0xffff
	s_mul_i32 s6, s6, s4
	s_cmp_eq_u64 s[8:9], 0
	v_add_u32_e32 v0, s6, v0
	s_cbranch_scc1 .LBB12_9
; %bb.1:
	s_cmp_lt_u32 s3, s2
	s_cselect_b32 s4, s3, 0
	s_mov_b32 s7, 0
	v_cmp_eq_u32_e32 vcc, s4, v0
	s_and_saveexec_b64 s[4:5], vcc
	s_cbranch_execz .LBB12_8
; %bb.2:
	s_add_i32 s6, s3, 64
	s_lshl_b64 s[6:7], s[6:7], 2
	s_add_u32 s6, s0, s6
	s_addc_u32 s7, s1, s7
	v_mov_b32_e32 v1, 0
	global_load_dword v2, v1, s[6:7] glc
	s_waitcnt vmcnt(0)
	v_and_b32_e32 v3, 0xff0000, v2
	v_cmp_ne_u32_e32 vcc, 0, v3
	s_cbranch_vccnz .LBB12_7
; %bb.3:
	s_mov_b32 s3, 1
.LBB12_4:                               ; =>This Loop Header: Depth=1
                                        ;     Child Loop BB12_5 Depth 2
	s_mov_b32 s10, s3
.LBB12_5:                               ;   Parent Loop BB12_4 Depth=1
                                        ; =>  This Inner Loop Header: Depth=2
	s_add_i32 s10, s10, -1
	s_cmp_eq_u32 s10, 0
	s_sleep 1
	s_cbranch_scc0 .LBB12_5
; %bb.6:                                ;   in Loop: Header=BB12_4 Depth=1
	global_load_dword v2, v1, s[6:7] glc
	s_cmp_lt_u32 s3, 32
	s_cselect_b64 s[10:11], -1, 0
	s_cmp_lg_u64 s[10:11], 0
	s_addc_u32 s3, s3, 0
	s_waitcnt vmcnt(0)
	v_and_b32_e32 v3, 0xff0000, v2
	v_cmp_ne_u32_e32 vcc, 0, v3
	s_cbranch_vccz .LBB12_4
.LBB12_7:
	v_mov_b32_e32 v1, 0
	global_store_short v1, v2, s[8:9]
.LBB12_8:
	s_or_b64 exec, exec, s[4:5]
.LBB12_9:
	v_cmp_gt_u32_e32 vcc, s2, v0
	s_and_saveexec_b64 s[2:3], vcc
	s_cbranch_execnz .LBB12_12
; %bb.10:
	s_or_b64 exec, exec, s[2:3]
	v_cmp_gt_u32_e32 vcc, 64, v0
	s_and_saveexec_b64 s[2:3], vcc
	s_cbranch_execnz .LBB12_13
.LBB12_11:
	s_endpgm
.LBB12_12:
	v_add_u32_e32 v1, 64, v0
	v_mov_b32_e32 v2, 0
	v_lshlrev_b64 v[3:4], 2, v[1:2]
	v_mov_b32_e32 v1, s1
	v_add_co_u32_e32 v3, vcc, s0, v3
	v_addc_co_u32_e32 v4, vcc, v1, v4, vcc
	global_store_dword v[3:4], v2, off
	s_or_b64 exec, exec, s[2:3]
	v_cmp_gt_u32_e32 vcc, 64, v0
	s_and_saveexec_b64 s[2:3], vcc
	s_cbranch_execz .LBB12_11
.LBB12_13:
	v_mov_b32_e32 v1, 0
	v_lshlrev_b64 v[0:1], 2, v[0:1]
	v_mov_b32_e32 v2, s1
	v_add_co_u32_e32 v0, vcc, s0, v0
	v_addc_co_u32_e32 v1, vcc, v2, v1, vcc
	v_mov_b32_e32 v2, 0xff0000
	global_store_dword v[0:1], v2, off
	s_endpgm
	.section	.rodata,"a",@progbits
	.p2align	6, 0x0
	.amdhsa_kernel _ZN7rocprim6detail31init_lookback_scan_state_kernelINS0_19lookback_scan_stateI12hip_bfloat16Lb1ELb1EEEEEvT_jjPNS5_10value_typeE
		.amdhsa_group_segment_fixed_size 0
		.amdhsa_private_segment_fixed_size 0
		.amdhsa_kernarg_size 280
		.amdhsa_user_sgpr_count 6
		.amdhsa_user_sgpr_private_segment_buffer 1
		.amdhsa_user_sgpr_dispatch_ptr 0
		.amdhsa_user_sgpr_queue_ptr 0
		.amdhsa_user_sgpr_kernarg_segment_ptr 1
		.amdhsa_user_sgpr_dispatch_id 0
		.amdhsa_user_sgpr_flat_scratch_init 0
		.amdhsa_user_sgpr_private_segment_size 0
		.amdhsa_uses_dynamic_stack 0
		.amdhsa_system_sgpr_private_segment_wavefront_offset 0
		.amdhsa_system_sgpr_workgroup_id_x 1
		.amdhsa_system_sgpr_workgroup_id_y 0
		.amdhsa_system_sgpr_workgroup_id_z 0
		.amdhsa_system_sgpr_workgroup_info 0
		.amdhsa_system_vgpr_workitem_id 0
		.amdhsa_next_free_vgpr 5
		.amdhsa_next_free_sgpr 12
		.amdhsa_reserve_vcc 1
		.amdhsa_reserve_flat_scratch 0
		.amdhsa_float_round_mode_32 0
		.amdhsa_float_round_mode_16_64 0
		.amdhsa_float_denorm_mode_32 3
		.amdhsa_float_denorm_mode_16_64 3
		.amdhsa_dx10_clamp 1
		.amdhsa_ieee_mode 1
		.amdhsa_fp16_overflow 0
		.amdhsa_exception_fp_ieee_invalid_op 0
		.amdhsa_exception_fp_denorm_src 0
		.amdhsa_exception_fp_ieee_div_zero 0
		.amdhsa_exception_fp_ieee_overflow 0
		.amdhsa_exception_fp_ieee_underflow 0
		.amdhsa_exception_fp_ieee_inexact 0
		.amdhsa_exception_int_div_zero 0
	.end_amdhsa_kernel
	.section	.text._ZN7rocprim6detail31init_lookback_scan_state_kernelINS0_19lookback_scan_stateI12hip_bfloat16Lb1ELb1EEEEEvT_jjPNS5_10value_typeE,"axG",@progbits,_ZN7rocprim6detail31init_lookback_scan_state_kernelINS0_19lookback_scan_stateI12hip_bfloat16Lb1ELb1EEEEEvT_jjPNS5_10value_typeE,comdat
.Lfunc_end12:
	.size	_ZN7rocprim6detail31init_lookback_scan_state_kernelINS0_19lookback_scan_stateI12hip_bfloat16Lb1ELb1EEEEEvT_jjPNS5_10value_typeE, .Lfunc_end12-_ZN7rocprim6detail31init_lookback_scan_state_kernelINS0_19lookback_scan_stateI12hip_bfloat16Lb1ELb1EEEEEvT_jjPNS5_10value_typeE
                                        ; -- End function
	.set _ZN7rocprim6detail31init_lookback_scan_state_kernelINS0_19lookback_scan_stateI12hip_bfloat16Lb1ELb1EEEEEvT_jjPNS5_10value_typeE.num_vgpr, 5
	.set _ZN7rocprim6detail31init_lookback_scan_state_kernelINS0_19lookback_scan_stateI12hip_bfloat16Lb1ELb1EEEEEvT_jjPNS5_10value_typeE.num_agpr, 0
	.set _ZN7rocprim6detail31init_lookback_scan_state_kernelINS0_19lookback_scan_stateI12hip_bfloat16Lb1ELb1EEEEEvT_jjPNS5_10value_typeE.numbered_sgpr, 12
	.set _ZN7rocprim6detail31init_lookback_scan_state_kernelINS0_19lookback_scan_stateI12hip_bfloat16Lb1ELb1EEEEEvT_jjPNS5_10value_typeE.num_named_barrier, 0
	.set _ZN7rocprim6detail31init_lookback_scan_state_kernelINS0_19lookback_scan_stateI12hip_bfloat16Lb1ELb1EEEEEvT_jjPNS5_10value_typeE.private_seg_size, 0
	.set _ZN7rocprim6detail31init_lookback_scan_state_kernelINS0_19lookback_scan_stateI12hip_bfloat16Lb1ELb1EEEEEvT_jjPNS5_10value_typeE.uses_vcc, 1
	.set _ZN7rocprim6detail31init_lookback_scan_state_kernelINS0_19lookback_scan_stateI12hip_bfloat16Lb1ELb1EEEEEvT_jjPNS5_10value_typeE.uses_flat_scratch, 0
	.set _ZN7rocprim6detail31init_lookback_scan_state_kernelINS0_19lookback_scan_stateI12hip_bfloat16Lb1ELb1EEEEEvT_jjPNS5_10value_typeE.has_dyn_sized_stack, 0
	.set _ZN7rocprim6detail31init_lookback_scan_state_kernelINS0_19lookback_scan_stateI12hip_bfloat16Lb1ELb1EEEEEvT_jjPNS5_10value_typeE.has_recursion, 0
	.set _ZN7rocprim6detail31init_lookback_scan_state_kernelINS0_19lookback_scan_stateI12hip_bfloat16Lb1ELb1EEEEEvT_jjPNS5_10value_typeE.has_indirect_call, 0
	.section	.AMDGPU.csdata,"",@progbits
; Kernel info:
; codeLenInByte = 336
; TotalNumSgprs: 16
; NumVgprs: 5
; ScratchSize: 0
; MemoryBound: 0
; FloatMode: 240
; IeeeMode: 1
; LDSByteSize: 0 bytes/workgroup (compile time only)
; SGPRBlocks: 1
; VGPRBlocks: 1
; NumSGPRsForWavesPerEU: 16
; NumVGPRsForWavesPerEU: 5
; Occupancy: 10
; WaveLimiterHint : 0
; COMPUTE_PGM_RSRC2:SCRATCH_EN: 0
; COMPUTE_PGM_RSRC2:USER_SGPR: 6
; COMPUTE_PGM_RSRC2:TRAP_HANDLER: 0
; COMPUTE_PGM_RSRC2:TGID_X_EN: 1
; COMPUTE_PGM_RSRC2:TGID_Y_EN: 0
; COMPUTE_PGM_RSRC2:TGID_Z_EN: 0
; COMPUTE_PGM_RSRC2:TIDIG_COMP_CNT: 0
	.section	.text._ZN7rocprim6detail31init_lookback_scan_state_kernelINS0_19lookback_scan_stateI12hip_bfloat16Lb0ELb1EEEEEvT_jjPNS5_10value_typeE,"axG",@progbits,_ZN7rocprim6detail31init_lookback_scan_state_kernelINS0_19lookback_scan_stateI12hip_bfloat16Lb0ELb1EEEEEvT_jjPNS5_10value_typeE,comdat
	.protected	_ZN7rocprim6detail31init_lookback_scan_state_kernelINS0_19lookback_scan_stateI12hip_bfloat16Lb0ELb1EEEEEvT_jjPNS5_10value_typeE ; -- Begin function _ZN7rocprim6detail31init_lookback_scan_state_kernelINS0_19lookback_scan_stateI12hip_bfloat16Lb0ELb1EEEEEvT_jjPNS5_10value_typeE
	.globl	_ZN7rocprim6detail31init_lookback_scan_state_kernelINS0_19lookback_scan_stateI12hip_bfloat16Lb0ELb1EEEEEvT_jjPNS5_10value_typeE
	.p2align	8
	.type	_ZN7rocprim6detail31init_lookback_scan_state_kernelINS0_19lookback_scan_stateI12hip_bfloat16Lb0ELb1EEEEEvT_jjPNS5_10value_typeE,@function
_ZN7rocprim6detail31init_lookback_scan_state_kernelINS0_19lookback_scan_stateI12hip_bfloat16Lb0ELb1EEEEEvT_jjPNS5_10value_typeE: ; @_ZN7rocprim6detail31init_lookback_scan_state_kernelINS0_19lookback_scan_stateI12hip_bfloat16Lb0ELb1EEEEEvT_jjPNS5_10value_typeE
; %bb.0:
	s_load_dword s7, s[4:5], 0x24
	s_load_dwordx2 s[8:9], s[4:5], 0x10
	s_load_dwordx4 s[0:3], s[4:5], 0x0
	s_waitcnt lgkmcnt(0)
	s_and_b32 s4, s7, 0xffff
	s_mul_i32 s6, s6, s4
	s_cmp_eq_u64 s[8:9], 0
	v_add_u32_e32 v0, s6, v0
	s_cbranch_scc1 .LBB13_6
; %bb.1:
	s_cmp_lt_u32 s3, s2
	s_cselect_b32 s4, s3, 0
	s_mov_b32 s7, 0
	v_cmp_eq_u32_e32 vcc, s4, v0
	s_and_saveexec_b64 s[4:5], vcc
	s_cbranch_execz .LBB13_5
; %bb.2:
	s_add_i32 s6, s3, 64
	s_lshl_b64 s[6:7], s[6:7], 2
	s_add_u32 s6, s0, s6
	s_addc_u32 s7, s1, s7
	v_mov_b32_e32 v2, 0
	global_load_dword v1, v2, s[6:7] glc
	s_waitcnt vmcnt(0)
	v_and_b32_e32 v3, 0xff0000, v1
	v_cmp_ne_u32_e32 vcc, 0, v3
	s_cbranch_vccnz .LBB13_4
.LBB13_3:                               ; =>This Inner Loop Header: Depth=1
	global_load_dword v1, v2, s[6:7] glc
	s_waitcnt vmcnt(0)
	v_and_b32_e32 v3, 0xff0000, v1
	v_cmp_eq_u32_e32 vcc, 0, v3
	s_cbranch_vccnz .LBB13_3
.LBB13_4:
	v_mov_b32_e32 v2, 0
	global_store_short v2, v1, s[8:9]
.LBB13_5:
	s_or_b64 exec, exec, s[4:5]
.LBB13_6:
	v_cmp_gt_u32_e32 vcc, s2, v0
	s_and_saveexec_b64 s[2:3], vcc
	s_cbranch_execnz .LBB13_9
; %bb.7:
	s_or_b64 exec, exec, s[2:3]
	v_cmp_gt_u32_e32 vcc, 64, v0
	s_and_saveexec_b64 s[2:3], vcc
	s_cbranch_execnz .LBB13_10
.LBB13_8:
	s_endpgm
.LBB13_9:
	v_add_u32_e32 v1, 64, v0
	v_mov_b32_e32 v2, 0
	v_lshlrev_b64 v[3:4], 2, v[1:2]
	v_mov_b32_e32 v1, s1
	v_add_co_u32_e32 v3, vcc, s0, v3
	v_addc_co_u32_e32 v4, vcc, v1, v4, vcc
	global_store_dword v[3:4], v2, off
	s_or_b64 exec, exec, s[2:3]
	v_cmp_gt_u32_e32 vcc, 64, v0
	s_and_saveexec_b64 s[2:3], vcc
	s_cbranch_execz .LBB13_8
.LBB13_10:
	v_mov_b32_e32 v1, 0
	v_lshlrev_b64 v[0:1], 2, v[0:1]
	v_mov_b32_e32 v2, s1
	v_add_co_u32_e32 v0, vcc, s0, v0
	v_addc_co_u32_e32 v1, vcc, v2, v1, vcc
	v_mov_b32_e32 v2, 0xff0000
	global_store_dword v[0:1], v2, off
	s_endpgm
	.section	.rodata,"a",@progbits
	.p2align	6, 0x0
	.amdhsa_kernel _ZN7rocprim6detail31init_lookback_scan_state_kernelINS0_19lookback_scan_stateI12hip_bfloat16Lb0ELb1EEEEEvT_jjPNS5_10value_typeE
		.amdhsa_group_segment_fixed_size 0
		.amdhsa_private_segment_fixed_size 0
		.amdhsa_kernarg_size 280
		.amdhsa_user_sgpr_count 6
		.amdhsa_user_sgpr_private_segment_buffer 1
		.amdhsa_user_sgpr_dispatch_ptr 0
		.amdhsa_user_sgpr_queue_ptr 0
		.amdhsa_user_sgpr_kernarg_segment_ptr 1
		.amdhsa_user_sgpr_dispatch_id 0
		.amdhsa_user_sgpr_flat_scratch_init 0
		.amdhsa_user_sgpr_private_segment_size 0
		.amdhsa_uses_dynamic_stack 0
		.amdhsa_system_sgpr_private_segment_wavefront_offset 0
		.amdhsa_system_sgpr_workgroup_id_x 1
		.amdhsa_system_sgpr_workgroup_id_y 0
		.amdhsa_system_sgpr_workgroup_id_z 0
		.amdhsa_system_sgpr_workgroup_info 0
		.amdhsa_system_vgpr_workitem_id 0
		.amdhsa_next_free_vgpr 5
		.amdhsa_next_free_sgpr 10
		.amdhsa_reserve_vcc 1
		.amdhsa_reserve_flat_scratch 0
		.amdhsa_float_round_mode_32 0
		.amdhsa_float_round_mode_16_64 0
		.amdhsa_float_denorm_mode_32 3
		.amdhsa_float_denorm_mode_16_64 3
		.amdhsa_dx10_clamp 1
		.amdhsa_ieee_mode 1
		.amdhsa_fp16_overflow 0
		.amdhsa_exception_fp_ieee_invalid_op 0
		.amdhsa_exception_fp_denorm_src 0
		.amdhsa_exception_fp_ieee_div_zero 0
		.amdhsa_exception_fp_ieee_overflow 0
		.amdhsa_exception_fp_ieee_underflow 0
		.amdhsa_exception_fp_ieee_inexact 0
		.amdhsa_exception_int_div_zero 0
	.end_amdhsa_kernel
	.section	.text._ZN7rocprim6detail31init_lookback_scan_state_kernelINS0_19lookback_scan_stateI12hip_bfloat16Lb0ELb1EEEEEvT_jjPNS5_10value_typeE,"axG",@progbits,_ZN7rocprim6detail31init_lookback_scan_state_kernelINS0_19lookback_scan_stateI12hip_bfloat16Lb0ELb1EEEEEvT_jjPNS5_10value_typeE,comdat
.Lfunc_end13:
	.size	_ZN7rocprim6detail31init_lookback_scan_state_kernelINS0_19lookback_scan_stateI12hip_bfloat16Lb0ELb1EEEEEvT_jjPNS5_10value_typeE, .Lfunc_end13-_ZN7rocprim6detail31init_lookback_scan_state_kernelINS0_19lookback_scan_stateI12hip_bfloat16Lb0ELb1EEEEEvT_jjPNS5_10value_typeE
                                        ; -- End function
	.set _ZN7rocprim6detail31init_lookback_scan_state_kernelINS0_19lookback_scan_stateI12hip_bfloat16Lb0ELb1EEEEEvT_jjPNS5_10value_typeE.num_vgpr, 5
	.set _ZN7rocprim6detail31init_lookback_scan_state_kernelINS0_19lookback_scan_stateI12hip_bfloat16Lb0ELb1EEEEEvT_jjPNS5_10value_typeE.num_agpr, 0
	.set _ZN7rocprim6detail31init_lookback_scan_state_kernelINS0_19lookback_scan_stateI12hip_bfloat16Lb0ELb1EEEEEvT_jjPNS5_10value_typeE.numbered_sgpr, 10
	.set _ZN7rocprim6detail31init_lookback_scan_state_kernelINS0_19lookback_scan_stateI12hip_bfloat16Lb0ELb1EEEEEvT_jjPNS5_10value_typeE.num_named_barrier, 0
	.set _ZN7rocprim6detail31init_lookback_scan_state_kernelINS0_19lookback_scan_stateI12hip_bfloat16Lb0ELb1EEEEEvT_jjPNS5_10value_typeE.private_seg_size, 0
	.set _ZN7rocprim6detail31init_lookback_scan_state_kernelINS0_19lookback_scan_stateI12hip_bfloat16Lb0ELb1EEEEEvT_jjPNS5_10value_typeE.uses_vcc, 1
	.set _ZN7rocprim6detail31init_lookback_scan_state_kernelINS0_19lookback_scan_stateI12hip_bfloat16Lb0ELb1EEEEEvT_jjPNS5_10value_typeE.uses_flat_scratch, 0
	.set _ZN7rocprim6detail31init_lookback_scan_state_kernelINS0_19lookback_scan_stateI12hip_bfloat16Lb0ELb1EEEEEvT_jjPNS5_10value_typeE.has_dyn_sized_stack, 0
	.set _ZN7rocprim6detail31init_lookback_scan_state_kernelINS0_19lookback_scan_stateI12hip_bfloat16Lb0ELb1EEEEEvT_jjPNS5_10value_typeE.has_recursion, 0
	.set _ZN7rocprim6detail31init_lookback_scan_state_kernelINS0_19lookback_scan_stateI12hip_bfloat16Lb0ELb1EEEEEvT_jjPNS5_10value_typeE.has_indirect_call, 0
	.section	.AMDGPU.csdata,"",@progbits
; Kernel info:
; codeLenInByte = 296
; TotalNumSgprs: 14
; NumVgprs: 5
; ScratchSize: 0
; MemoryBound: 0
; FloatMode: 240
; IeeeMode: 1
; LDSByteSize: 0 bytes/workgroup (compile time only)
; SGPRBlocks: 1
; VGPRBlocks: 1
; NumSGPRsForWavesPerEU: 14
; NumVGPRsForWavesPerEU: 5
; Occupancy: 10
; WaveLimiterHint : 0
; COMPUTE_PGM_RSRC2:SCRATCH_EN: 0
; COMPUTE_PGM_RSRC2:USER_SGPR: 6
; COMPUTE_PGM_RSRC2:TRAP_HANDLER: 0
; COMPUTE_PGM_RSRC2:TGID_X_EN: 1
; COMPUTE_PGM_RSRC2:TGID_Y_EN: 0
; COMPUTE_PGM_RSRC2:TGID_Z_EN: 0
; COMPUTE_PGM_RSRC2:TIDIG_COMP_CNT: 0
	.section	.text._ZN7rocprim6detail20lookback_scan_kernelILNS0_25lookback_scan_determinismE0ELb0ENS0_19wrapped_scan_configINS_14default_configE12hip_bfloat16EEPS5_S7_N6hipcub3MaxES5_S5_NS0_19lookback_scan_stateIS5_Lb1ELb1EEEEEvT2_T3_mT5_T4_T7_jPT6_SI_bb,"axG",@progbits,_ZN7rocprim6detail20lookback_scan_kernelILNS0_25lookback_scan_determinismE0ELb0ENS0_19wrapped_scan_configINS_14default_configE12hip_bfloat16EEPS5_S7_N6hipcub3MaxES5_S5_NS0_19lookback_scan_stateIS5_Lb1ELb1EEEEEvT2_T3_mT5_T4_T7_jPT6_SI_bb,comdat
	.protected	_ZN7rocprim6detail20lookback_scan_kernelILNS0_25lookback_scan_determinismE0ELb0ENS0_19wrapped_scan_configINS_14default_configE12hip_bfloat16EEPS5_S7_N6hipcub3MaxES5_S5_NS0_19lookback_scan_stateIS5_Lb1ELb1EEEEEvT2_T3_mT5_T4_T7_jPT6_SI_bb ; -- Begin function _ZN7rocprim6detail20lookback_scan_kernelILNS0_25lookback_scan_determinismE0ELb0ENS0_19wrapped_scan_configINS_14default_configE12hip_bfloat16EEPS5_S7_N6hipcub3MaxES5_S5_NS0_19lookback_scan_stateIS5_Lb1ELb1EEEEEvT2_T3_mT5_T4_T7_jPT6_SI_bb
	.globl	_ZN7rocprim6detail20lookback_scan_kernelILNS0_25lookback_scan_determinismE0ELb0ENS0_19wrapped_scan_configINS_14default_configE12hip_bfloat16EEPS5_S7_N6hipcub3MaxES5_S5_NS0_19lookback_scan_stateIS5_Lb1ELb1EEEEEvT2_T3_mT5_T4_T7_jPT6_SI_bb
	.p2align	8
	.type	_ZN7rocprim6detail20lookback_scan_kernelILNS0_25lookback_scan_determinismE0ELb0ENS0_19wrapped_scan_configINS_14default_configE12hip_bfloat16EEPS5_S7_N6hipcub3MaxES5_S5_NS0_19lookback_scan_stateIS5_Lb1ELb1EEEEEvT2_T3_mT5_T4_T7_jPT6_SI_bb,@function
_ZN7rocprim6detail20lookback_scan_kernelILNS0_25lookback_scan_determinismE0ELb0ENS0_19wrapped_scan_configINS_14default_configE12hip_bfloat16EEPS5_S7_N6hipcub3MaxES5_S5_NS0_19lookback_scan_stateIS5_Lb1ELb1EEEEEvT2_T3_mT5_T4_T7_jPT6_SI_bb: ; @_ZN7rocprim6detail20lookback_scan_kernelILNS0_25lookback_scan_determinismE0ELb0ENS0_19wrapped_scan_configINS_14default_configE12hip_bfloat16EEPS5_S7_N6hipcub3MaxES5_S5_NS0_19lookback_scan_stateIS5_Lb1ELb1EEEEEvT2_T3_mT5_T4_T7_jPT6_SI_bb
; %bb.0:
	s_endpgm
	.section	.rodata,"a",@progbits
	.p2align	6, 0x0
	.amdhsa_kernel _ZN7rocprim6detail20lookback_scan_kernelILNS0_25lookback_scan_determinismE0ELb0ENS0_19wrapped_scan_configINS_14default_configE12hip_bfloat16EEPS5_S7_N6hipcub3MaxES5_S5_NS0_19lookback_scan_stateIS5_Lb1ELb1EEEEEvT2_T3_mT5_T4_T7_jPT6_SI_bb
		.amdhsa_group_segment_fixed_size 0
		.amdhsa_private_segment_fixed_size 0
		.amdhsa_kernarg_size 68
		.amdhsa_user_sgpr_count 6
		.amdhsa_user_sgpr_private_segment_buffer 1
		.amdhsa_user_sgpr_dispatch_ptr 0
		.amdhsa_user_sgpr_queue_ptr 0
		.amdhsa_user_sgpr_kernarg_segment_ptr 1
		.amdhsa_user_sgpr_dispatch_id 0
		.amdhsa_user_sgpr_flat_scratch_init 0
		.amdhsa_user_sgpr_private_segment_size 0
		.amdhsa_uses_dynamic_stack 0
		.amdhsa_system_sgpr_private_segment_wavefront_offset 0
		.amdhsa_system_sgpr_workgroup_id_x 1
		.amdhsa_system_sgpr_workgroup_id_y 0
		.amdhsa_system_sgpr_workgroup_id_z 0
		.amdhsa_system_sgpr_workgroup_info 0
		.amdhsa_system_vgpr_workitem_id 0
		.amdhsa_next_free_vgpr 1
		.amdhsa_next_free_sgpr 0
		.amdhsa_reserve_vcc 0
		.amdhsa_reserve_flat_scratch 0
		.amdhsa_float_round_mode_32 0
		.amdhsa_float_round_mode_16_64 0
		.amdhsa_float_denorm_mode_32 3
		.amdhsa_float_denorm_mode_16_64 3
		.amdhsa_dx10_clamp 1
		.amdhsa_ieee_mode 1
		.amdhsa_fp16_overflow 0
		.amdhsa_exception_fp_ieee_invalid_op 0
		.amdhsa_exception_fp_denorm_src 0
		.amdhsa_exception_fp_ieee_div_zero 0
		.amdhsa_exception_fp_ieee_overflow 0
		.amdhsa_exception_fp_ieee_underflow 0
		.amdhsa_exception_fp_ieee_inexact 0
		.amdhsa_exception_int_div_zero 0
	.end_amdhsa_kernel
	.section	.text._ZN7rocprim6detail20lookback_scan_kernelILNS0_25lookback_scan_determinismE0ELb0ENS0_19wrapped_scan_configINS_14default_configE12hip_bfloat16EEPS5_S7_N6hipcub3MaxES5_S5_NS0_19lookback_scan_stateIS5_Lb1ELb1EEEEEvT2_T3_mT5_T4_T7_jPT6_SI_bb,"axG",@progbits,_ZN7rocprim6detail20lookback_scan_kernelILNS0_25lookback_scan_determinismE0ELb0ENS0_19wrapped_scan_configINS_14default_configE12hip_bfloat16EEPS5_S7_N6hipcub3MaxES5_S5_NS0_19lookback_scan_stateIS5_Lb1ELb1EEEEEvT2_T3_mT5_T4_T7_jPT6_SI_bb,comdat
.Lfunc_end14:
	.size	_ZN7rocprim6detail20lookback_scan_kernelILNS0_25lookback_scan_determinismE0ELb0ENS0_19wrapped_scan_configINS_14default_configE12hip_bfloat16EEPS5_S7_N6hipcub3MaxES5_S5_NS0_19lookback_scan_stateIS5_Lb1ELb1EEEEEvT2_T3_mT5_T4_T7_jPT6_SI_bb, .Lfunc_end14-_ZN7rocprim6detail20lookback_scan_kernelILNS0_25lookback_scan_determinismE0ELb0ENS0_19wrapped_scan_configINS_14default_configE12hip_bfloat16EEPS5_S7_N6hipcub3MaxES5_S5_NS0_19lookback_scan_stateIS5_Lb1ELb1EEEEEvT2_T3_mT5_T4_T7_jPT6_SI_bb
                                        ; -- End function
	.set _ZN7rocprim6detail20lookback_scan_kernelILNS0_25lookback_scan_determinismE0ELb0ENS0_19wrapped_scan_configINS_14default_configE12hip_bfloat16EEPS5_S7_N6hipcub3MaxES5_S5_NS0_19lookback_scan_stateIS5_Lb1ELb1EEEEEvT2_T3_mT5_T4_T7_jPT6_SI_bb.num_vgpr, 0
	.set _ZN7rocprim6detail20lookback_scan_kernelILNS0_25lookback_scan_determinismE0ELb0ENS0_19wrapped_scan_configINS_14default_configE12hip_bfloat16EEPS5_S7_N6hipcub3MaxES5_S5_NS0_19lookback_scan_stateIS5_Lb1ELb1EEEEEvT2_T3_mT5_T4_T7_jPT6_SI_bb.num_agpr, 0
	.set _ZN7rocprim6detail20lookback_scan_kernelILNS0_25lookback_scan_determinismE0ELb0ENS0_19wrapped_scan_configINS_14default_configE12hip_bfloat16EEPS5_S7_N6hipcub3MaxES5_S5_NS0_19lookback_scan_stateIS5_Lb1ELb1EEEEEvT2_T3_mT5_T4_T7_jPT6_SI_bb.numbered_sgpr, 0
	.set _ZN7rocprim6detail20lookback_scan_kernelILNS0_25lookback_scan_determinismE0ELb0ENS0_19wrapped_scan_configINS_14default_configE12hip_bfloat16EEPS5_S7_N6hipcub3MaxES5_S5_NS0_19lookback_scan_stateIS5_Lb1ELb1EEEEEvT2_T3_mT5_T4_T7_jPT6_SI_bb.num_named_barrier, 0
	.set _ZN7rocprim6detail20lookback_scan_kernelILNS0_25lookback_scan_determinismE0ELb0ENS0_19wrapped_scan_configINS_14default_configE12hip_bfloat16EEPS5_S7_N6hipcub3MaxES5_S5_NS0_19lookback_scan_stateIS5_Lb1ELb1EEEEEvT2_T3_mT5_T4_T7_jPT6_SI_bb.private_seg_size, 0
	.set _ZN7rocprim6detail20lookback_scan_kernelILNS0_25lookback_scan_determinismE0ELb0ENS0_19wrapped_scan_configINS_14default_configE12hip_bfloat16EEPS5_S7_N6hipcub3MaxES5_S5_NS0_19lookback_scan_stateIS5_Lb1ELb1EEEEEvT2_T3_mT5_T4_T7_jPT6_SI_bb.uses_vcc, 0
	.set _ZN7rocprim6detail20lookback_scan_kernelILNS0_25lookback_scan_determinismE0ELb0ENS0_19wrapped_scan_configINS_14default_configE12hip_bfloat16EEPS5_S7_N6hipcub3MaxES5_S5_NS0_19lookback_scan_stateIS5_Lb1ELb1EEEEEvT2_T3_mT5_T4_T7_jPT6_SI_bb.uses_flat_scratch, 0
	.set _ZN7rocprim6detail20lookback_scan_kernelILNS0_25lookback_scan_determinismE0ELb0ENS0_19wrapped_scan_configINS_14default_configE12hip_bfloat16EEPS5_S7_N6hipcub3MaxES5_S5_NS0_19lookback_scan_stateIS5_Lb1ELb1EEEEEvT2_T3_mT5_T4_T7_jPT6_SI_bb.has_dyn_sized_stack, 0
	.set _ZN7rocprim6detail20lookback_scan_kernelILNS0_25lookback_scan_determinismE0ELb0ENS0_19wrapped_scan_configINS_14default_configE12hip_bfloat16EEPS5_S7_N6hipcub3MaxES5_S5_NS0_19lookback_scan_stateIS5_Lb1ELb1EEEEEvT2_T3_mT5_T4_T7_jPT6_SI_bb.has_recursion, 0
	.set _ZN7rocprim6detail20lookback_scan_kernelILNS0_25lookback_scan_determinismE0ELb0ENS0_19wrapped_scan_configINS_14default_configE12hip_bfloat16EEPS5_S7_N6hipcub3MaxES5_S5_NS0_19lookback_scan_stateIS5_Lb1ELb1EEEEEvT2_T3_mT5_T4_T7_jPT6_SI_bb.has_indirect_call, 0
	.section	.AMDGPU.csdata,"",@progbits
; Kernel info:
; codeLenInByte = 4
; TotalNumSgprs: 4
; NumVgprs: 0
; ScratchSize: 0
; MemoryBound: 0
; FloatMode: 240
; IeeeMode: 1
; LDSByteSize: 0 bytes/workgroup (compile time only)
; SGPRBlocks: 0
; VGPRBlocks: 0
; NumSGPRsForWavesPerEU: 4
; NumVGPRsForWavesPerEU: 1
; Occupancy: 10
; WaveLimiterHint : 0
; COMPUTE_PGM_RSRC2:SCRATCH_EN: 0
; COMPUTE_PGM_RSRC2:USER_SGPR: 6
; COMPUTE_PGM_RSRC2:TRAP_HANDLER: 0
; COMPUTE_PGM_RSRC2:TGID_X_EN: 1
; COMPUTE_PGM_RSRC2:TGID_Y_EN: 0
; COMPUTE_PGM_RSRC2:TGID_Z_EN: 0
; COMPUTE_PGM_RSRC2:TIDIG_COMP_CNT: 0
	.section	.text._ZN7rocprim6detail20lookback_scan_kernelILNS0_25lookback_scan_determinismE0ELb0ENS0_19wrapped_scan_configINS_14default_configE12hip_bfloat16EEPS5_S7_N6hipcub3MaxES5_S5_NS0_19lookback_scan_stateIS5_Lb0ELb1EEEEEvT2_T3_mT5_T4_T7_jPT6_SI_bb,"axG",@progbits,_ZN7rocprim6detail20lookback_scan_kernelILNS0_25lookback_scan_determinismE0ELb0ENS0_19wrapped_scan_configINS_14default_configE12hip_bfloat16EEPS5_S7_N6hipcub3MaxES5_S5_NS0_19lookback_scan_stateIS5_Lb0ELb1EEEEEvT2_T3_mT5_T4_T7_jPT6_SI_bb,comdat
	.protected	_ZN7rocprim6detail20lookback_scan_kernelILNS0_25lookback_scan_determinismE0ELb0ENS0_19wrapped_scan_configINS_14default_configE12hip_bfloat16EEPS5_S7_N6hipcub3MaxES5_S5_NS0_19lookback_scan_stateIS5_Lb0ELb1EEEEEvT2_T3_mT5_T4_T7_jPT6_SI_bb ; -- Begin function _ZN7rocprim6detail20lookback_scan_kernelILNS0_25lookback_scan_determinismE0ELb0ENS0_19wrapped_scan_configINS_14default_configE12hip_bfloat16EEPS5_S7_N6hipcub3MaxES5_S5_NS0_19lookback_scan_stateIS5_Lb0ELb1EEEEEvT2_T3_mT5_T4_T7_jPT6_SI_bb
	.globl	_ZN7rocprim6detail20lookback_scan_kernelILNS0_25lookback_scan_determinismE0ELb0ENS0_19wrapped_scan_configINS_14default_configE12hip_bfloat16EEPS5_S7_N6hipcub3MaxES5_S5_NS0_19lookback_scan_stateIS5_Lb0ELb1EEEEEvT2_T3_mT5_T4_T7_jPT6_SI_bb
	.p2align	8
	.type	_ZN7rocprim6detail20lookback_scan_kernelILNS0_25lookback_scan_determinismE0ELb0ENS0_19wrapped_scan_configINS_14default_configE12hip_bfloat16EEPS5_S7_N6hipcub3MaxES5_S5_NS0_19lookback_scan_stateIS5_Lb0ELb1EEEEEvT2_T3_mT5_T4_T7_jPT6_SI_bb,@function
_ZN7rocprim6detail20lookback_scan_kernelILNS0_25lookback_scan_determinismE0ELb0ENS0_19wrapped_scan_configINS_14default_configE12hip_bfloat16EEPS5_S7_N6hipcub3MaxES5_S5_NS0_19lookback_scan_stateIS5_Lb0ELb1EEEEEvT2_T3_mT5_T4_T7_jPT6_SI_bb: ; @_ZN7rocprim6detail20lookback_scan_kernelILNS0_25lookback_scan_determinismE0ELb0ENS0_19wrapped_scan_configINS_14default_configE12hip_bfloat16EEPS5_S7_N6hipcub3MaxES5_S5_NS0_19lookback_scan_stateIS5_Lb0ELb1EEEEEvT2_T3_mT5_T4_T7_jPT6_SI_bb
; %bb.0:
	s_load_dword s3, s[4:5], 0x28
	s_load_dwordx4 s[12:15], s[4:5], 0x0
	s_load_dwordx2 s[0:1], s[4:5], 0x10
	s_mul_i32 s2, s6, 0x1800
	v_lshlrev_b32_e32 v19, 1, v0
	s_waitcnt lgkmcnt(0)
	s_add_i32 s8, s3, -1
	s_mul_i32 s7, s8, 0x1800
	s_sub_u32 s7, s0, s7
	s_subb_u32 s22, s1, 0
	s_mov_b32 s3, 0
	s_cmp_lg_u32 s6, s8
	s_cselect_b64 s[16:17], -1, 0
	s_lshl_b64 s[18:19], s[2:3], 1
	s_add_u32 s2, s12, s18
	s_addc_u32 s3, s13, s19
	s_mov_b64 s[0:1], -1
	s_and_b64 vcc, exec, s[16:17]
	s_cbranch_vccz .LBB15_2
; %bb.1:
	v_mov_b32_e32 v1, s3
	v_add_co_u32_e32 v3, vcc, s2, v19
	v_addc_co_u32_e32 v4, vcc, 0, v1, vcc
	v_add_co_u32_e32 v1, vcc, 0x1000, v3
	v_addc_co_u32_e32 v2, vcc, 0, v4, vcc
	global_load_ushort v5, v19, s[2:3]
	global_load_ushort v6, v19, s[2:3] offset:512
	global_load_ushort v7, v19, s[2:3] offset:1024
	;; [unrolled: 1-line block ×7, first 2 shown]
	global_load_ushort v13, v[1:2], off
	global_load_ushort v14, v[1:2], off offset:512
	global_load_ushort v15, v[1:2], off offset:1024
	;; [unrolled: 1-line block ×7, first 2 shown]
	v_add_co_u32_e32 v1, vcc, 0x2000, v3
	v_addc_co_u32_e32 v2, vcc, 0, v4, vcc
	global_load_ushort v3, v[1:2], off
	global_load_ushort v4, v[1:2], off offset:512
	global_load_ushort v22, v[1:2], off offset:1024
	;; [unrolled: 1-line block ×7, first 2 shown]
	s_mov_b64 s[0:1], 0
	s_waitcnt vmcnt(23)
	ds_write_b16 v19, v5
	s_waitcnt vmcnt(22)
	ds_write_b16 v19, v6 offset:512
	s_waitcnt vmcnt(21)
	ds_write_b16 v19, v7 offset:1024
	;; [unrolled: 2-line block ×23, first 2 shown]
	s_waitcnt lgkmcnt(0)
	s_barrier
.LBB15_2:
	s_andn2_b64 vcc, exec, s[0:1]
	v_cmp_gt_u32_e64 s[0:1], s7, v0
	s_cbranch_vccnz .LBB15_52
; %bb.3:
	v_mov_b32_e32 v1, 0
	global_load_ushort v3, v1, s[2:3]
	v_mov_b32_e32 v2, s3
	v_add_co_u32_e32 v1, vcc, s2, v19
	v_addc_co_u32_e32 v2, vcc, 0, v2, vcc
	s_waitcnt vmcnt(0)
	v_mov_b32_e32 v4, v3
	s_and_saveexec_b64 s[2:3], s[0:1]
	s_cbranch_execz .LBB15_5
; %bb.4:
	global_load_ushort v4, v[1:2], off
.LBB15_5:
	s_or_b64 exec, exec, s[2:3]
	v_or_b32_e32 v5, 0x100, v0
	v_cmp_gt_u32_e32 vcc, s7, v5
	v_mov_b32_e32 v5, v3
	s_and_saveexec_b64 s[0:1], vcc
	s_cbranch_execz .LBB15_7
; %bb.6:
	global_load_ushort v5, v[1:2], off offset:512
.LBB15_7:
	s_or_b64 exec, exec, s[0:1]
	v_or_b32_e32 v6, 0x200, v0
	v_cmp_gt_u32_e32 vcc, s7, v6
	v_mov_b32_e32 v6, v3
	s_and_saveexec_b64 s[0:1], vcc
	s_cbranch_execz .LBB15_9
; %bb.8:
	global_load_ushort v6, v[1:2], off offset:1024
.LBB15_9:
	;; [unrolled: 9-line block ×7, first 2 shown]
	s_or_b64 exec, exec, s[0:1]
	v_or_b32_e32 v12, 0x800, v0
	v_cmp_gt_u32_e32 vcc, s7, v12
	v_mov_b32_e32 v12, v3
	s_and_saveexec_b64 s[0:1], vcc
	s_cbranch_execz .LBB15_21
; %bb.20:
	v_add_co_u32_e32 v12, vcc, 0x1000, v1
	v_addc_co_u32_e32 v13, vcc, 0, v2, vcc
	global_load_ushort v12, v[12:13], off
.LBB15_21:
	s_or_b64 exec, exec, s[0:1]
	v_or_b32_e32 v13, 0x900, v0
	v_cmp_gt_u32_e32 vcc, s7, v13
	v_mov_b32_e32 v13, v3
	s_and_saveexec_b64 s[0:1], vcc
	s_cbranch_execz .LBB15_23
; %bb.22:
	v_add_co_u32_e32 v13, vcc, 0x1000, v1
	v_addc_co_u32_e32 v14, vcc, 0, v2, vcc
	global_load_ushort v13, v[13:14], off offset:512
.LBB15_23:
	s_or_b64 exec, exec, s[0:1]
	v_or_b32_e32 v14, 0xa00, v0
	v_cmp_gt_u32_e32 vcc, s7, v14
	v_mov_b32_e32 v14, v3
	s_and_saveexec_b64 s[0:1], vcc
	s_cbranch_execz .LBB15_25
; %bb.24:
	v_add_co_u32_e32 v14, vcc, 0x1000, v1
	v_addc_co_u32_e32 v15, vcc, 0, v2, vcc
	global_load_ushort v14, v[14:15], off offset:1024
.LBB15_25:
	;; [unrolled: 11-line block ×7, first 2 shown]
	s_or_b64 exec, exec, s[0:1]
	v_or_b32_e32 v21, 0x1000, v0
	v_cmp_gt_u32_e32 vcc, s7, v21
	v_mov_b32_e32 v21, v3
	s_and_saveexec_b64 s[0:1], vcc
	s_cbranch_execz .LBB15_37
; %bb.36:
	v_add_co_u32_e32 v21, vcc, 0x2000, v1
	v_addc_co_u32_e32 v22, vcc, 0, v2, vcc
	global_load_ushort v21, v[21:22], off
.LBB15_37:
	s_or_b64 exec, exec, s[0:1]
	v_or_b32_e32 v22, 0x1100, v0
	v_cmp_gt_u32_e32 vcc, s7, v22
	v_mov_b32_e32 v22, v3
	s_and_saveexec_b64 s[0:1], vcc
	s_cbranch_execz .LBB15_39
; %bb.38:
	v_add_co_u32_e32 v22, vcc, 0x2000, v1
	v_addc_co_u32_e32 v23, vcc, 0, v2, vcc
	global_load_ushort v22, v[22:23], off offset:512
.LBB15_39:
	s_or_b64 exec, exec, s[0:1]
	v_or_b32_e32 v23, 0x1200, v0
	v_cmp_gt_u32_e32 vcc, s7, v23
	v_mov_b32_e32 v23, v3
	s_and_saveexec_b64 s[0:1], vcc
	s_cbranch_execz .LBB15_41
; %bb.40:
	v_add_co_u32_e32 v23, vcc, 0x2000, v1
	v_addc_co_u32_e32 v24, vcc, 0, v2, vcc
	global_load_ushort v23, v[23:24], off offset:1024
.LBB15_41:
	;; [unrolled: 11-line block ×6, first 2 shown]
	s_or_b64 exec, exec, s[0:1]
	v_or_b32_e32 v28, 0x1700, v0
	v_cmp_gt_u32_e32 vcc, s7, v28
	s_and_saveexec_b64 s[0:1], vcc
	s_cbranch_execz .LBB15_51
; %bb.50:
	v_add_co_u32_e32 v1, vcc, 0x2000, v1
	v_addc_co_u32_e32 v2, vcc, 0, v2, vcc
	global_load_ushort v3, v[1:2], off offset:3584
.LBB15_51:
	s_or_b64 exec, exec, s[0:1]
	s_waitcnt vmcnt(0)
	ds_write_b16 v19, v4
	ds_write_b16 v19, v5 offset:512
	ds_write_b16 v19, v6 offset:1024
	;; [unrolled: 1-line block ×23, first 2 shown]
	s_waitcnt lgkmcnt(0)
	s_barrier
.LBB15_52:
	v_mul_u32_u24_e32 v20, 48, v0
	ds_read_b128 v[9:12], v20
	ds_read_b128 v[5:8], v20 offset:16
	ds_read_b128 v[1:4], v20 offset:32
	s_load_dwordx2 s[12:13], s[4:5], 0x20
	s_cmp_lg_u32 s6, 0
	v_mbcnt_lo_u32_b32 v58, -1, 0
	s_waitcnt lgkmcnt(0)
	v_lshrrev_b32_e32 v47, 16, v9
	v_lshrrev_b32_e32 v45, 16, v10
	;; [unrolled: 1-line block ×4, first 2 shown]
	v_and_b32_e32 v49, 0xffff, v10
	v_lshrrev_b32_e32 v35, 16, v5
	v_lshrrev_b32_e32 v32, 16, v6
	v_lshrrev_b32_e32 v28, 16, v7
	v_lshrrev_b32_e32 v25, 16, v8
	v_lshrrev_b32_e32 v23, 16, v1
	v_lshrrev_b32_e32 v22, 16, v2
	v_lshrrev_b32_e32 v21, 16, v3
	v_lshrrev_b32_e32 v10, 16, v4
	v_lshlrev_b32_e32 v52, 16, v11
	v_lshlrev_b32_e32 v51, 16, v41
	;; [unrolled: 1-line block ×23, first 2 shown]
	v_lshrrev_b32_e32 v56, 6, v0
	v_or_b32_e32 v57, 63, v0
	s_barrier
	s_cbranch_scc0 .LBB15_78
; %bb.53:
	v_lshlrev_b32_e32 v59, 16, v9
	v_cmp_lt_f32_e32 vcc, v59, v55
	v_cndmask_b32_e32 v13, v9, v47, vcc
	v_lshlrev_b32_e32 v14, 16, v13
	v_cmp_lt_f32_e32 vcc, v14, v54
	v_cndmask_b32_e32 v13, v13, v49, vcc
	;; [unrolled: 3-line block ×23, first 2 shown]
	v_and_b32_e32 v15, 0xffff, v13
	v_lshlrev_b32_e32 v60, 16, v13
	v_mbcnt_hi_u32_b32 v18, -1, v58
	v_mov_b32_dpp v16, v15 row_shr:1 row_mask:0xf bank_mask:0xf
	v_lshlrev_b32_e32 v17, 16, v16
	v_cmp_lt_f32_e32 vcc, v17, v60
	v_and_b32_e32 v14, 15, v18
	v_cndmask_b32_e32 v16, v16, v13, vcc
	v_and_b32_e32 v17, 0xffff, v16
	v_cmp_eq_u32_e32 vcc, 0, v14
	v_cndmask_b32_e32 v15, v17, v15, vcc
	v_cndmask_b32_e32 v13, v16, v13, vcc
	v_lshlrev_b32_e32 v60, 16, v15
	v_mov_b32_dpp v16, v15 row_shr:2 row_mask:0xf bank_mask:0xf
	v_lshlrev_b32_e32 v17, 16, v16
	v_cmp_lt_f32_e32 vcc, v17, v60
	v_cndmask_b32_e32 v16, v16, v13, vcc
	v_and_b32_e32 v17, 0xffff, v16
	v_cmp_lt_u32_e32 vcc, 1, v14
	v_cndmask_b32_e32 v15, v15, v17, vcc
	v_cndmask_b32_e32 v13, v13, v16, vcc
	v_lshlrev_b32_e32 v60, 16, v15
	v_mov_b32_dpp v16, v15 row_shr:4 row_mask:0xf bank_mask:0xf
	v_lshlrev_b32_e32 v17, 16, v16
	v_cmp_lt_f32_e32 vcc, v17, v60
	v_cndmask_b32_e32 v16, v16, v13, vcc
	v_and_b32_e32 v17, 0xffff, v16
	v_cmp_lt_u32_e32 vcc, 3, v14
	;; [unrolled: 9-line block ×3, first 2 shown]
	v_cndmask_b32_e32 v14, v15, v17, vcc
	v_lshlrev_b32_e32 v60, 16, v14
	v_cndmask_b32_e32 v13, v13, v16, vcc
	v_mov_b32_dpp v15, v14 row_bcast:15 row_mask:0xf bank_mask:0xf
	v_lshlrev_b32_e32 v17, 16, v15
	v_cmp_lt_f32_e32 vcc, v17, v60
	v_and_b32_e32 v16, 16, v18
	v_cndmask_b32_e32 v15, v15, v13, vcc
	v_and_b32_e32 v17, 0xffff, v15
	v_cmp_eq_u32_e32 vcc, 0, v16
	v_cndmask_b32_e32 v14, v17, v14, vcc
	v_cndmask_b32_e32 v13, v15, v13, vcc
	s_nop 0
	v_mov_b32_dpp v15, v14 row_bcast:31 row_mask:0xf bank_mask:0xf
	v_lshlrev_b32_e32 v16, 16, v15
	v_lshlrev_b32_e32 v14, 16, v14
	v_cmp_lt_f32_e32 vcc, v16, v14
	v_cndmask_b32_e32 v14, v15, v13, vcc
	v_cmp_lt_u32_e32 vcc, 31, v18
	v_cndmask_b32_e32 v13, v13, v14, vcc
	v_cmp_eq_u32_e32 vcc, v0, v57
	s_and_saveexec_b64 s[0:1], vcc
; %bb.54:
	v_lshlrev_b32_e32 v14, 1, v56
	ds_write_b16 v14, v13
; %bb.55:
	s_or_b64 exec, exec, s[0:1]
	v_cmp_gt_u32_e32 vcc, 4, v0
	s_waitcnt lgkmcnt(0)
	s_barrier
	s_and_saveexec_b64 s[0:1], vcc
	s_cbranch_execz .LBB15_57
; %bb.56:
	ds_read_u16 v14, v19
	v_and_b32_e32 v15, 3, v18
	s_waitcnt lgkmcnt(0)
	v_and_b32_e32 v16, 0xffff, v14
	s_nop 1
	v_mov_b32_dpp v60, v16 row_shr:1 row_mask:0xf bank_mask:0xf
	v_lshlrev_b32_e32 v17, 16, v14
	v_lshlrev_b32_e32 v61, 16, v60
	v_cmp_lt_f32_e32 vcc, v61, v17
	v_cndmask_b32_e32 v17, v60, v14, vcc
	v_and_b32_e32 v60, 0xffff, v17
	v_cmp_eq_u32_e32 vcc, 0, v15
	v_cndmask_b32_e32 v16, v60, v16, vcc
	v_cndmask_b32_e32 v14, v17, v14, vcc
	s_nop 0
	v_mov_b32_dpp v17, v16 row_shr:2 row_mask:0xf bank_mask:0xf
	v_lshlrev_b32_e32 v60, 16, v17
	v_lshlrev_b32_e32 v16, 16, v16
	v_cmp_lt_f32_e32 vcc, v60, v16
	v_cndmask_b32_e32 v16, v17, v14, vcc
	v_cmp_lt_u32_e32 vcc, 1, v15
	v_cndmask_b32_e32 v14, v14, v16, vcc
	ds_write_b16 v19, v14
.LBB15_57:
	s_or_b64 exec, exec, s[0:1]
	v_cmp_gt_u32_e32 vcc, 64, v0
	v_cmp_lt_u32_e64 s[0:1], 63, v0
	s_waitcnt lgkmcnt(0)
	s_barrier
                                        ; implicit-def: $vgpr60
	s_and_saveexec_b64 s[2:3], s[0:1]
	s_cbranch_execz .LBB15_59
; %bb.58:
	v_lshl_add_u32 v14, v56, 1, -2
	ds_read_u16 v60, v14
	v_lshlrev_b32_e32 v14, 16, v13
	s_waitcnt lgkmcnt(0)
	v_lshlrev_b32_e32 v15, 16, v60
	v_cmp_lt_f32_e64 s[0:1], v15, v14
	v_cndmask_b32_e64 v13, v60, v13, s[0:1]
.LBB15_59:
	s_or_b64 exec, exec, s[2:3]
	v_subrev_co_u32_e64 v14, s[0:1], 1, v18
	v_and_b32_e32 v15, 64, v18
	v_cmp_lt_i32_e64 s[2:3], v14, v15
	v_cndmask_b32_e64 v14, v14, v18, s[2:3]
	v_lshlrev_b32_e32 v14, 2, v14
	v_and_b32_e32 v13, 0xffff, v13
	ds_bpermute_b32 v61, v14, v13
	s_and_saveexec_b64 s[20:21], vcc
	s_cbranch_execz .LBB15_83
; %bb.60:
	v_mov_b32_e32 v15, 0
	ds_read_u16 v63, v15 offset:6
	s_waitcnt lgkmcnt(0)
	v_and_b32_e32 v62, 0xffff, v63
	s_and_saveexec_b64 s[2:3], s[0:1]
	s_cbranch_execz .LBB15_62
; %bb.61:
	s_add_i32 s8, s6, 64
	s_mov_b32 s9, 0
	s_lshl_b64 s[8:9], s[8:9], 2
	s_add_u32 s8, s12, s8
	v_or_b32_e32 v13, 0x10000, v62
	s_addc_u32 s9, s13, s9
	global_store_dword v15, v13, s[8:9]
.LBB15_62:
	s_or_b64 exec, exec, s[2:3]
	v_xad_u32 v13, v18, -1, s6
	v_add_u32_e32 v14, 64, v13
	v_lshlrev_b64 v[16:17], 2, v[14:15]
	v_mov_b32_e32 v14, s13
	v_add_co_u32_e32 v16, vcc, s12, v16
	v_addc_co_u32_e32 v17, vcc, v14, v17, vcc
	global_load_dword v79, v[16:17], off glc
	s_waitcnt vmcnt(0)
	v_lshrrev_b32_e32 v64, 16, v79
	v_cmp_eq_u16_sdwa s[8:9], v64, v15 src0_sel:BYTE_0 src1_sel:DWORD
	s_and_saveexec_b64 s[2:3], s[8:9]
	s_cbranch_execz .LBB15_66
; %bb.63:
	s_mov_b64 s[8:9], 0
	v_mov_b32_e32 v14, 0
.LBB15_64:                              ; =>This Inner Loop Header: Depth=1
	global_load_dword v79, v[16:17], off glc
	s_waitcnt vmcnt(0)
	v_lshrrev_b32_e32 v64, 16, v79
	v_cmp_ne_u16_sdwa s[10:11], v64, v14 src0_sel:BYTE_0 src1_sel:DWORD
	s_or_b64 s[8:9], s[10:11], s[8:9]
	s_andn2_b64 exec, exec, s[8:9]
	s_cbranch_execnz .LBB15_64
; %bb.65:
	s_or_b64 exec, exec, s[8:9]
.LBB15_66:
	s_or_b64 exec, exec, s[2:3]
	v_and_b32_e32 v74, 63, v18
	v_cmp_ne_u32_e32 vcc, 63, v74
	v_addc_co_u32_e32 v66, vcc, 0, v18, vcc
	v_mov_b32_e32 v65, 2
	v_lshlrev_b64 v[15:16], v18, -1
	v_lshlrev_b32_e32 v66, 2, v66
	v_and_b32_e32 v68, 0xffff, v79
	v_cmp_eq_u16_sdwa s[2:3], v64, v65 src0_sel:BYTE_0 src1_sel:DWORD
	ds_bpermute_b32 v69, v66, v68
	v_and_b32_e32 v14, s3, v16
	v_or_b32_e32 v14, 0x80000000, v14
	v_and_b32_e32 v17, s2, v15
	v_ffbl_b32_e32 v14, v14
	v_add_u32_e32 v14, 32, v14
	v_ffbl_b32_e32 v17, v17
	v_min_u32_e32 v81, v17, v14
	s_waitcnt lgkmcnt(0)
	v_lshlrev_b32_e32 v14, 16, v69
	v_lshlrev_b32_e32 v17, 16, v79
	v_cmp_lt_f32_e32 vcc, v14, v17
	v_add_u32_e32 v67, 1, v18
	v_cndmask_b32_e32 v14, v69, v79, vcc
	v_and_b32_e32 v17, 0xffff, v14
	v_cmp_le_u32_e32 vcc, v67, v81
	v_cmp_gt_u32_e64 s[2:3], 62, v74
	v_cndmask_b32_e32 v17, v68, v17, vcc
	v_cndmask_b32_e64 v68, 0, 2, s[2:3]
	v_add_lshl_u32 v68, v68, v18, 2
	ds_bpermute_b32 v70, v68, v17
	v_lshlrev_b32_e32 v72, 16, v17
	v_cndmask_b32_e32 v14, v79, v14, vcc
	v_add_u32_e32 v69, 2, v18
	v_cmp_gt_u32_e64 s[8:9], 60, v74
	s_waitcnt lgkmcnt(0)
	v_lshlrev_b32_e32 v71, 16, v70
	v_cmp_lt_f32_e64 s[2:3], v71, v72
	v_cndmask_b32_e64 v71, v70, v14, s[2:3]
	v_and_b32_e32 v70, 0xffff, v71
	v_cmp_le_u32_e64 s[2:3], v69, v81
	v_cndmask_b32_e64 v17, v17, v70, s[2:3]
	v_cndmask_b32_e64 v70, 0, 4, s[8:9]
	v_add_lshl_u32 v70, v70, v18, 2
	ds_bpermute_b32 v72, v70, v17
	v_lshlrev_b32_e32 v75, 16, v17
	v_cndmask_b32_e64 v14, v14, v71, s[2:3]
	v_add_u32_e32 v71, 4, v18
	v_cmp_gt_u32_e64 s[10:11], 56, v74
	s_waitcnt lgkmcnt(0)
	v_lshlrev_b32_e32 v73, 16, v72
	v_cmp_lt_f32_e64 s[8:9], v73, v75
	v_cndmask_b32_e64 v73, v72, v14, s[8:9]
	v_and_b32_e32 v72, 0xffff, v73
	v_cmp_le_u32_e64 s[8:9], v71, v81
	v_cndmask_b32_e64 v17, v17, v72, s[8:9]
	v_cndmask_b32_e64 v72, 0, 8, s[10:11]
	v_add_lshl_u32 v72, v72, v18, 2
	ds_bpermute_b32 v75, v72, v17
	v_lshlrev_b32_e32 v77, 16, v17
	s_or_b64 s[2:3], vcc, s[2:3]
	v_cndmask_b32_e64 v14, v14, v73, s[8:9]
	v_add_u32_e32 v73, 8, v18
	s_waitcnt lgkmcnt(0)
	v_lshlrev_b32_e32 v76, 16, v75
	v_cmp_lt_f32_e32 vcc, v76, v77
	v_cndmask_b32_e32 v75, v75, v14, vcc
	s_or_b64 s[8:9], s[8:9], s[2:3]
	v_and_b32_e32 v76, 0xffff, v75
	v_cmp_le_u32_e32 vcc, v73, v81
	v_cmp_gt_u32_e64 s[2:3], 48, v74
	v_cndmask_b32_e32 v76, v17, v76, vcc
	v_cndmask_b32_e64 v17, 0, 16, s[2:3]
	v_add_lshl_u32 v74, v17, v18, 2
	ds_bpermute_b32 v17, v74, v76
	v_lshlrev_b32_e32 v78, 16, v76
	v_cndmask_b32_e32 v14, v14, v75, vcc
	v_add_u32_e32 v75, 16, v18
	s_or_b64 s[8:9], vcc, s[8:9]
	s_waitcnt lgkmcnt(0)
	v_lshlrev_b32_e32 v77, 16, v17
	v_cmp_lt_f32_e64 s[2:3], v77, v78
	v_cmp_le_u32_e32 vcc, v75, v81
	v_cndmask_b32_e64 v17, v17, v14, s[2:3]
	v_mov_b32_e32 v77, 0x80
	v_cndmask_b32_sdwa v76, v76, v17, vcc dst_sel:DWORD dst_unused:UNUSED_PAD src0_sel:DWORD src1_sel:WORD_0
	v_lshl_or_b32 v77, v18, 2, v77
	ds_bpermute_b32 v80, v77, v76
	v_add_u32_e32 v78, 32, v18
	s_or_b64 s[8:9], vcc, s[8:9]
	v_cmp_le_u32_e64 s[2:3], v78, v81
	s_or_b64 s[10:11], s[2:3], s[8:9]
	s_and_saveexec_b64 s[8:9], s[10:11]
	s_cbranch_execz .LBB15_68
; %bb.67:
	s_waitcnt lgkmcnt(0)
	v_lshlrev_b32_e32 v18, 16, v80
	v_lshlrev_b32_e32 v76, 16, v76
	v_cndmask_b32_e32 v14, v14, v17, vcc
	v_cmp_lt_f32_e32 vcc, v18, v76
	v_cndmask_b32_e32 v17, v80, v14, vcc
	v_cndmask_b32_e64 v79, v14, v17, s[2:3]
.LBB15_68:
	s_or_b64 exec, exec, s[8:9]
	v_mov_b32_e32 v14, 0
	s_branch .LBB15_71
.LBB15_69:                              ;   in Loop: Header=BB15_71 Depth=1
	s_or_b64 exec, exec, s[8:9]
	v_lshlrev_b32_e32 v17, 16, v79
	v_lshlrev_b32_e32 v18, 16, v76
	v_cmp_lt_f32_e32 vcc, v17, v18
	v_subrev_u32_e32 v13, 64, v13
	v_cndmask_b32_e32 v79, v79, v76, vcc
	s_mov_b64 s[2:3], 0
.LBB15_70:                              ;   in Loop: Header=BB15_71 Depth=1
	s_and_b64 vcc, exec, s[2:3]
	s_cbranch_vccnz .LBB15_79
.LBB15_71:                              ; =>This Loop Header: Depth=1
                                        ;     Child Loop BB15_74 Depth 2
	v_cmp_ne_u16_sdwa s[2:3], v64, v65 src0_sel:BYTE_0 src1_sel:DWORD
	v_mov_b32_e32 v76, v79
	s_cmp_lg_u64 s[2:3], exec
	s_mov_b64 s[2:3], -1
                                        ; implicit-def: $vgpr79
                                        ; implicit-def: $vgpr64
	s_cbranch_scc1 .LBB15_70
; %bb.72:                               ;   in Loop: Header=BB15_71 Depth=1
	v_lshlrev_b64 v[17:18], 2, v[13:14]
	v_mov_b32_e32 v64, s13
	v_add_co_u32_e32 v17, vcc, s12, v17
	v_addc_co_u32_e32 v18, vcc, v64, v18, vcc
	global_load_dword v79, v[17:18], off glc
	s_waitcnt vmcnt(0)
	v_lshrrev_b32_e32 v64, 16, v79
	v_cmp_eq_u16_sdwa s[8:9], v64, v14 src0_sel:BYTE_0 src1_sel:DWORD
	s_and_saveexec_b64 s[2:3], s[8:9]
	s_cbranch_execz .LBB15_76
; %bb.73:                               ;   in Loop: Header=BB15_71 Depth=1
	s_mov_b64 s[8:9], 0
.LBB15_74:                              ;   Parent Loop BB15_71 Depth=1
                                        ; =>  This Inner Loop Header: Depth=2
	global_load_dword v79, v[17:18], off glc
	s_waitcnt vmcnt(0)
	v_lshrrev_b32_e32 v64, 16, v79
	v_cmp_ne_u16_sdwa s[10:11], v64, v14 src0_sel:BYTE_0 src1_sel:DWORD
	s_or_b64 s[8:9], s[10:11], s[8:9]
	s_andn2_b64 exec, exec, s[8:9]
	s_cbranch_execnz .LBB15_74
; %bb.75:                               ;   in Loop: Header=BB15_71 Depth=1
	s_or_b64 exec, exec, s[8:9]
.LBB15_76:                              ;   in Loop: Header=BB15_71 Depth=1
	s_or_b64 exec, exec, s[2:3]
	s_waitcnt lgkmcnt(0)
	v_and_b32_e32 v80, 0xffff, v79
	v_cmp_eq_u16_sdwa s[2:3], v64, v65 src0_sel:BYTE_0 src1_sel:DWORD
	ds_bpermute_b32 v81, v66, v80
	v_and_b32_e32 v17, s3, v16
	v_or_b32_e32 v17, 0x80000000, v17
	v_and_b32_e32 v18, s2, v15
	v_ffbl_b32_e32 v17, v17
	v_add_u32_e32 v17, 32, v17
	v_ffbl_b32_e32 v18, v18
	v_min_u32_e32 v82, v18, v17
	s_waitcnt lgkmcnt(0)
	v_lshlrev_b32_e32 v17, 16, v81
	v_lshlrev_b32_e32 v18, 16, v79
	v_cmp_lt_f32_e32 vcc, v17, v18
	v_cndmask_b32_e32 v17, v81, v79, vcc
	v_and_b32_e32 v18, 0xffff, v17
	v_cmp_le_u32_e32 vcc, v67, v82
	v_cndmask_b32_e32 v18, v80, v18, vcc
	ds_bpermute_b32 v80, v68, v18
	v_lshlrev_b32_e32 v83, 16, v18
	v_cndmask_b32_e32 v17, v79, v17, vcc
	s_waitcnt lgkmcnt(0)
	v_lshlrev_b32_e32 v81, 16, v80
	v_cmp_lt_f32_e64 s[2:3], v81, v83
	v_cndmask_b32_e64 v80, v80, v17, s[2:3]
	v_and_b32_e32 v81, 0xffff, v80
	v_cmp_le_u32_e64 s[2:3], v69, v82
	v_cndmask_b32_e64 v18, v18, v81, s[2:3]
	ds_bpermute_b32 v81, v70, v18
	v_cndmask_b32_e64 v17, v17, v80, s[2:3]
	v_lshlrev_b32_e32 v83, 16, v18
	s_or_b64 s[2:3], vcc, s[2:3]
	v_cmp_le_u32_e32 vcc, v75, v82
	s_waitcnt lgkmcnt(0)
	v_lshlrev_b32_e32 v80, 16, v81
	v_cmp_lt_f32_e64 s[8:9], v80, v83
	v_cndmask_b32_e64 v80, v81, v17, s[8:9]
	v_and_b32_e32 v81, 0xffff, v80
	v_cmp_le_u32_e64 s[8:9], v71, v82
	v_cndmask_b32_e64 v18, v18, v81, s[8:9]
	ds_bpermute_b32 v81, v72, v18
	v_cndmask_b32_e64 v17, v17, v80, s[8:9]
	v_lshlrev_b32_e32 v83, 16, v18
	s_or_b64 s[8:9], s[8:9], s[2:3]
	s_waitcnt lgkmcnt(0)
	v_lshlrev_b32_e32 v80, 16, v81
	v_cmp_lt_f32_e64 s[10:11], v80, v83
	v_cndmask_b32_e64 v80, v81, v17, s[10:11]
	v_and_b32_e32 v81, 0xffff, v80
	v_cmp_le_u32_e64 s[10:11], v73, v82
	v_cndmask_b32_e64 v81, v18, v81, s[10:11]
	ds_bpermute_b32 v18, v74, v81
	v_cndmask_b32_e64 v17, v17, v80, s[10:11]
	v_lshlrev_b32_e32 v83, 16, v81
	s_waitcnt lgkmcnt(0)
	v_lshlrev_b32_e32 v80, 16, v18
	v_cmp_lt_f32_e64 s[2:3], v80, v83
	v_cndmask_b32_e64 v18, v18, v17, s[2:3]
	v_cndmask_b32_sdwa v81, v81, v18, vcc dst_sel:DWORD dst_unused:UNUSED_PAD src0_sel:DWORD src1_sel:WORD_0
	ds_bpermute_b32 v80, v77, v81
	s_or_b64 s[2:3], s[10:11], s[8:9]
	s_or_b64 s[8:9], vcc, s[2:3]
	v_cmp_le_u32_e64 s[2:3], v78, v82
	s_or_b64 s[10:11], s[2:3], s[8:9]
	s_and_saveexec_b64 s[8:9], s[10:11]
	s_cbranch_execz .LBB15_69
; %bb.77:                               ;   in Loop: Header=BB15_71 Depth=1
	s_waitcnt lgkmcnt(0)
	v_lshlrev_b32_e32 v79, 16, v80
	v_lshlrev_b32_e32 v81, 16, v81
	v_cndmask_b32_e32 v17, v17, v18, vcc
	v_cmp_lt_f32_e32 vcc, v79, v81
	v_cndmask_b32_e32 v18, v80, v17, vcc
	v_cndmask_b32_e64 v79, v17, v18, s[2:3]
	s_branch .LBB15_69
.LBB15_78:
                                        ; implicit-def: $vgpr13
                                        ; implicit-def: $vgpr14
                                        ; implicit-def: $vgpr15
                                        ; implicit-def: $vgpr16
                                        ; implicit-def: $vgpr17
                                        ; implicit-def: $vgpr18
                                        ; implicit-def: $vgpr59
                                        ; implicit-def: $vgpr61
                                        ; implicit-def: $vgpr60
                                        ; implicit-def: $vgpr62
                                        ; implicit-def: $vgpr63
                                        ; implicit-def: $vgpr64
                                        ; implicit-def: $vgpr65
                                        ; implicit-def: $vgpr66
                                        ; implicit-def: $vgpr67
                                        ; implicit-def: $vgpr69
                                        ; implicit-def: $vgpr68
                                        ; implicit-def: $vgpr70
                                        ; implicit-def: $vgpr71
                                        ; implicit-def: $vgpr72
                                        ; implicit-def: $vgpr73
                                        ; implicit-def: $vgpr74
                                        ; implicit-def: $vgpr75
                                        ; implicit-def: $vgpr76
	s_load_dwordx4 s[8:11], s[4:5], 0x30
	s_cbranch_execnz .LBB15_84
	s_branch .LBB15_95
.LBB15_79:
	s_and_saveexec_b64 s[2:3], s[0:1]
	s_cbranch_execz .LBB15_81
; %bb.80:
	v_lshlrev_b32_e32 v13, 16, v76
	v_lshlrev_b32_e32 v14, 16, v63
	s_add_i32 s8, s6, 64
	s_mov_b32 s9, 0
	v_cmp_lt_f32_e32 vcc, v13, v14
	s_lshl_b64 s[8:9], s[8:9], 2
	v_cndmask_b32_e32 v13, v76, v62, vcc
	s_add_u32 s8, s12, s8
	s_mov_b32 s6, 0x20000
	s_addc_u32 s9, s13, s9
	v_mov_b32_e32 v14, 0
	v_or_b32_sdwa v13, v13, s6 dst_sel:DWORD dst_unused:UNUSED_PAD src0_sel:WORD_0 src1_sel:DWORD
	global_store_dword v14, v13, s[8:9]
.LBB15_81:
	s_or_b64 exec, exec, s[2:3]
	v_cmp_eq_u32_e32 vcc, 0, v0
	s_and_b64 exec, exec, vcc
; %bb.82:
	v_mov_b32_e32 v13, 0
	ds_write_b16 v13, v76 offset:6
.LBB15_83:
	s_or_b64 exec, exec, s[20:21]
	v_mov_b32_e32 v14, 0
	s_waitcnt lgkmcnt(0)
	v_cndmask_b32_e64 v13, v61, v60, s[0:1]
	s_waitcnt vmcnt(0)
	s_barrier
	ds_read_u16 v14, v14 offset:6
	v_lshlrev_b32_e32 v15, 16, v13
	v_cmp_eq_u32_e32 vcc, 0, v0
	v_cmp_lt_f32_e64 s[0:1], v15, v59
	s_or_b64 vcc, vcc, s[0:1]
	v_cndmask_b32_e32 v13, v13, v9, vcc
	v_lshlrev_b32_e32 v15, 16, v13
	s_waitcnt lgkmcnt(0)
	v_lshlrev_b32_e32 v16, 16, v14
	v_cmp_lt_f32_e32 vcc, v16, v15
	v_cndmask_b32_e32 v13, v14, v13, vcc
	v_lshlrev_b32_e32 v14, 16, v13
	v_cmp_lt_f32_e32 vcc, v14, v55
	v_cndmask_b32_e32 v14, v13, v47, vcc
	;; [unrolled: 3-line block ×4, first 2 shown]
	v_lshlrev_b32_e32 v17, 16, v16
	v_cmp_lt_f32_e32 vcc, v17, v52
	v_cndmask_b32_sdwa v17, v16, v11, vcc dst_sel:DWORD dst_unused:UNUSED_PAD src0_sel:DWORD src1_sel:WORD_0
	v_lshlrev_b32_e32 v18, 16, v17
	v_cmp_lt_f32_e32 vcc, v18, v51
	v_cndmask_b32_sdwa v18, v17, v41, vcc dst_sel:DWORD dst_unused:UNUSED_PAD src0_sel:DWORD src1_sel:WORD_0
	;; [unrolled: 3-line block ×20, first 2 shown]
	s_load_dwordx4 s[8:11], s[4:5], 0x30
	s_branch .LBB15_95
.LBB15_84:
	s_load_dword s0, s[4:5], 0x40
	s_waitcnt lgkmcnt(0)
	s_bitcmp1_b32 s0, 0
	s_cselect_b64 s[2:3], -1, 0
	v_cmp_eq_u32_e64 s[0:1], 0, v0
	s_and_b64 s[20:21], s[0:1], s[2:3]
	s_and_saveexec_b64 s[2:3], s[20:21]
	s_cbranch_execz .LBB15_86
; %bb.85:
	v_mov_b32_e32 v13, 0
	global_load_ushort v13, v13, s[8:9]
	v_lshlrev_b32_e32 v14, 16, v9
	s_waitcnt vmcnt(0)
	v_lshlrev_b32_e32 v15, 16, v13
	v_cmp_lt_f32_e32 vcc, v15, v14
	v_cndmask_b32_e32 v9, v13, v9, vcc
.LBB15_86:
	s_or_b64 exec, exec, s[2:3]
	v_lshlrev_b32_e32 v13, 16, v9
	v_cmp_lt_f32_e32 vcc, v13, v55
	v_cndmask_b32_e32 v14, v9, v47, vcc
	v_lshlrev_b32_e32 v15, 16, v14
	v_cmp_lt_f32_e32 vcc, v15, v54
	v_cndmask_b32_e32 v14, v14, v49, vcc
	;; [unrolled: 3-line block ×23, first 2 shown]
	v_and_b32_e32 v17, 0xffff, v15
	v_mbcnt_hi_u32_b32 v14, -1, v58
	v_lshlrev_b32_e32 v59, 16, v15
	v_mov_b32_dpp v18, v17 row_shr:1 row_mask:0xf bank_mask:0xf
	v_lshlrev_b32_e32 v58, 16, v18
	v_cmp_lt_f32_e32 vcc, v58, v59
	v_and_b32_e32 v16, 15, v14
	v_cndmask_b32_e32 v18, v18, v15, vcc
	v_and_b32_e32 v58, 0xffff, v18
	v_cmp_eq_u32_e32 vcc, 0, v16
	v_cndmask_b32_e32 v17, v58, v17, vcc
	v_cndmask_b32_e32 v15, v18, v15, vcc
	v_lshlrev_b32_e32 v59, 16, v17
	v_mov_b32_dpp v18, v17 row_shr:2 row_mask:0xf bank_mask:0xf
	v_lshlrev_b32_e32 v58, 16, v18
	v_cmp_lt_f32_e32 vcc, v58, v59
	v_cndmask_b32_e32 v18, v18, v15, vcc
	v_and_b32_e32 v58, 0xffff, v18
	v_cmp_lt_u32_e32 vcc, 1, v16
	v_cndmask_b32_e32 v17, v17, v58, vcc
	v_cndmask_b32_e32 v15, v15, v18, vcc
	v_lshlrev_b32_e32 v59, 16, v17
	v_mov_b32_dpp v18, v17 row_shr:4 row_mask:0xf bank_mask:0xf
	v_lshlrev_b32_e32 v58, 16, v18
	v_cmp_lt_f32_e32 vcc, v58, v59
	v_cndmask_b32_e32 v18, v18, v15, vcc
	v_and_b32_e32 v58, 0xffff, v18
	v_cmp_lt_u32_e32 vcc, 3, v16
	;; [unrolled: 9-line block ×3, first 2 shown]
	v_cndmask_b32_e32 v16, v17, v58, vcc
	v_lshlrev_b32_e32 v59, 16, v16
	v_cndmask_b32_e32 v15, v15, v18, vcc
	v_mov_b32_dpp v17, v16 row_bcast:15 row_mask:0xf bank_mask:0xf
	v_lshlrev_b32_e32 v58, 16, v17
	v_cmp_lt_f32_e32 vcc, v58, v59
	v_and_b32_e32 v18, 16, v14
	v_cndmask_b32_e32 v17, v17, v15, vcc
	v_and_b32_e32 v58, 0xffff, v17
	v_cmp_eq_u32_e32 vcc, 0, v18
	v_cndmask_b32_e32 v16, v58, v16, vcc
	v_cndmask_b32_e32 v15, v17, v15, vcc
	s_nop 0
	v_mov_b32_dpp v17, v16 row_bcast:31 row_mask:0xf bank_mask:0xf
	v_lshlrev_b32_e32 v18, 16, v17
	v_lshlrev_b32_e32 v16, 16, v16
	v_cmp_lt_f32_e32 vcc, v18, v16
	v_cndmask_b32_e32 v16, v17, v15, vcc
	v_cmp_lt_u32_e32 vcc, 31, v14
	v_cndmask_b32_e32 v15, v15, v16, vcc
	v_cmp_eq_u32_e32 vcc, v0, v57
	s_and_saveexec_b64 s[2:3], vcc
; %bb.87:
	v_lshlrev_b32_e32 v16, 1, v56
	ds_write_b16 v16, v15
; %bb.88:
	s_or_b64 exec, exec, s[2:3]
	v_cmp_gt_u32_e32 vcc, 4, v0
	s_waitcnt lgkmcnt(0)
	s_barrier
	s_and_saveexec_b64 s[2:3], vcc
	s_cbranch_execz .LBB15_90
; %bb.89:
	s_movk_i32 s6, 0xffd2
	v_mad_i32_i24 v16, v0, s6, v20
	ds_read_u16 v17, v16
	v_and_b32_e32 v18, 3, v14
	s_waitcnt lgkmcnt(0)
	v_and_b32_e32 v57, 0xffff, v17
	s_nop 1
	v_mov_b32_dpp v59, v57 row_shr:1 row_mask:0xf bank_mask:0xf
	v_lshlrev_b32_e32 v58, 16, v17
	v_lshlrev_b32_e32 v60, 16, v59
	v_cmp_lt_f32_e32 vcc, v60, v58
	v_cndmask_b32_e32 v58, v59, v17, vcc
	v_and_b32_e32 v59, 0xffff, v58
	v_cmp_eq_u32_e32 vcc, 0, v18
	v_cndmask_b32_e32 v57, v59, v57, vcc
	v_cndmask_b32_e32 v17, v58, v17, vcc
	s_nop 0
	v_mov_b32_dpp v58, v57 row_shr:2 row_mask:0xf bank_mask:0xf
	v_lshlrev_b32_e32 v59, 16, v58
	v_lshlrev_b32_e32 v57, 16, v57
	v_cmp_lt_f32_e32 vcc, v59, v57
	v_cndmask_b32_e32 v57, v58, v17, vcc
	v_cmp_lt_u32_e32 vcc, 1, v18
	v_cndmask_b32_e32 v17, v17, v57, vcc
	ds_write_b16 v16, v17
.LBB15_90:
	s_or_b64 exec, exec, s[2:3]
	v_cmp_lt_u32_e32 vcc, 63, v0
	s_waitcnt lgkmcnt(0)
	s_barrier
                                        ; implicit-def: $vgpr16
	s_and_saveexec_b64 s[2:3], vcc
	s_cbranch_execz .LBB15_92
; %bb.91:
	v_lshl_add_u32 v16, v56, 1, -2
	ds_read_u16 v16, v16
	v_lshlrev_b32_e32 v17, 16, v15
	s_waitcnt lgkmcnt(0)
	v_lshlrev_b32_e32 v18, 16, v16
	v_cmp_lt_f32_e32 vcc, v18, v17
	v_cndmask_b32_e32 v15, v16, v15, vcc
.LBB15_92:
	s_or_b64 exec, exec, s[2:3]
	v_subrev_co_u32_e32 v17, vcc, 1, v14
	v_and_b32_e32 v18, 64, v14
	v_cmp_lt_i32_e64 s[2:3], v17, v18
	v_cndmask_b32_e64 v14, v17, v14, s[2:3]
	v_lshlrev_b32_e32 v14, 2, v14
	v_and_b32_e32 v15, 0xffff, v15
	ds_bpermute_b32 v14, v14, v15
	s_waitcnt lgkmcnt(0)
	v_cndmask_b32_e32 v14, v14, v16, vcc
	v_lshlrev_b32_e32 v15, 16, v14
	v_cmp_gt_f32_e32 vcc, v13, v15
	s_or_b64 vcc, s[0:1], vcc
	v_cndmask_b32_e32 v13, v14, v9, vcc
	v_lshlrev_b32_e32 v9, 16, v13
	v_cmp_gt_f32_e32 vcc, v55, v9
	v_cndmask_b32_e32 v14, v13, v47, vcc
	v_lshlrev_b32_e32 v9, 16, v14
	v_cmp_gt_f32_e32 vcc, v54, v9
	;; [unrolled: 3-line block ×3, first 2 shown]
	v_cndmask_b32_e32 v16, v15, v45, vcc
	v_lshlrev_b32_e32 v9, 16, v16
	v_cmp_lt_f32_e32 vcc, v9, v52
	v_cndmask_b32_sdwa v17, v16, v11, vcc dst_sel:DWORD dst_unused:UNUSED_PAD src0_sel:DWORD src1_sel:WORD_0
	v_lshlrev_b32_e32 v9, 16, v17
	v_cmp_lt_f32_e32 vcc, v9, v51
	v_cndmask_b32_sdwa v18, v17, v41, vcc dst_sel:DWORD dst_unused:UNUSED_PAD src0_sel:DWORD src1_sel:WORD_0
	;; [unrolled: 3-line block ×19, first 2 shown]
	v_lshlrev_b32_e32 v1, 16, v75
	v_cmp_lt_f32_e32 vcc, v1, v24
	s_and_saveexec_b64 s[2:3], s[0:1]
	s_cbranch_execz .LBB15_94
; %bb.93:
	v_mov_b32_e32 v1, 0
	ds_read_u16 v2, v1 offset:6
	s_waitcnt lgkmcnt(0)
	v_or_b32_e32 v2, 0x20000, v2
	global_store_dword v1, v2, s[12:13] offset:256
.LBB15_94:
	s_or_b64 exec, exec, s[2:3]
	v_cndmask_b32_sdwa v76, v75, v10, vcc dst_sel:DWORD dst_unused:UNUSED_PAD src0_sel:DWORD src1_sel:WORD_0
.LBB15_95:
	s_add_u32 s0, s14, s18
	s_addc_u32 s1, s15, s19
	s_mov_b64 s[2:3], -1
	s_and_b64 vcc, exec, s[16:17]
	s_waitcnt vmcnt(0) lgkmcnt(0)
	s_barrier
	s_cbranch_vccz .LBB15_97
; %bb.96:
	s_mov_b32 s2, 0x5040100
	v_perm_b32 v4, v61, v59, s2
	v_perm_b32 v3, v18, v17, s2
	;; [unrolled: 1-line block ×4, first 2 shown]
	ds_write_b128 v20, v[1:4]
	v_perm_b32 v4, v69, v67, s2
	v_perm_b32 v3, v66, v65, s2
	;; [unrolled: 1-line block ×4, first 2 shown]
	ds_write_b128 v20, v[1:4] offset:16
	v_perm_b32 v4, v76, v75, s2
	v_perm_b32 v3, v74, v73, s2
	;; [unrolled: 1-line block ×4, first 2 shown]
	v_mov_b32_e32 v33, s1
	v_add_co_u32_e32 v34, vcc, s0, v19
	ds_write_b128 v20, v[1:4] offset:32
	s_waitcnt lgkmcnt(0)
	s_barrier
	ds_read_u16 v1, v19
	ds_read_u16 v2, v19 offset:512
	ds_read_u16 v3, v19 offset:1024
	;; [unrolled: 1-line block ×23, first 2 shown]
	v_addc_co_u32_e32 v33, vcc, 0, v33, vcc
	s_movk_i32 s2, 0x1000
	s_waitcnt lgkmcnt(14)
	global_store_short v19, v1, s[0:1]
	global_store_short v19, v2, s[0:1] offset:512
	global_store_short v19, v3, s[0:1] offset:1024
	;; [unrolled: 1-line block ×7, first 2 shown]
	v_add_co_u32_e32 v1, vcc, s2, v34
	v_addc_co_u32_e32 v2, vcc, 0, v33, vcc
	global_store_short v[1:2], v9, off
	global_store_short v[1:2], v10, off offset:512
	s_waitcnt lgkmcnt(13)
	global_store_short v[1:2], v11, off offset:1024
	s_waitcnt lgkmcnt(12)
	;; [unrolled: 2-line block ×6, first 2 shown]
	global_store_short v[1:2], v24, off offset:3584
	v_add_co_u32_e32 v1, vcc, 0x2000, v34
	v_addc_co_u32_e32 v2, vcc, 0, v33, vcc
	s_waitcnt lgkmcnt(7)
	global_store_short v[1:2], v25, off
	s_waitcnt lgkmcnt(6)
	global_store_short v[1:2], v26, off offset:512
	s_waitcnt lgkmcnt(5)
	global_store_short v[1:2], v27, off offset:1024
	;; [unrolled: 2-line block ×7, first 2 shown]
	s_mov_b64 s[2:3], 0
.LBB15_97:
	s_andn2_b64 vcc, exec, s[2:3]
	s_cbranch_vccnz .LBB15_154
; %bb.98:
	s_mov_b32 s2, 0x5040100
	v_perm_b32 v4, v61, v59, s2
	v_perm_b32 v3, v18, v17, s2
	;; [unrolled: 1-line block ×4, first 2 shown]
	ds_write_b128 v20, v[1:4]
	v_perm_b32 v4, v69, v67, s2
	v_perm_b32 v3, v66, v65, s2
	;; [unrolled: 1-line block ×4, first 2 shown]
	ds_write_b128 v20, v[1:4] offset:16
	v_perm_b32 v4, v76, v75, s2
	v_perm_b32 v3, v74, v73, s2
	;; [unrolled: 1-line block ×4, first 2 shown]
	s_movk_i32 s2, 0xffd2
	ds_write_b128 v20, v[1:4] offset:32
	v_mad_i32_i24 v2, v0, s2, v20
	s_waitcnt vmcnt(0) lgkmcnt(0)
	s_barrier
	ds_read_u16 v5, v2
	ds_read_u16 v4, v2 offset:512
	ds_read_u16 v7, v2 offset:1024
	;; [unrolled: 1-line block ×23, first 2 shown]
	v_mov_b32_e32 v3, s1
	v_add_co_u32_e32 v2, vcc, s0, v19
	v_addc_co_u32_e32 v3, vcc, 0, v3, vcc
	v_mov_b32_e32 v1, 0
	v_cmp_gt_u32_e32 vcc, s7, v0
	s_and_saveexec_b64 s[0:1], vcc
	s_cbranch_execz .LBB15_100
; %bb.99:
	s_waitcnt lgkmcnt(14)
	global_store_short v[2:3], v5, off
.LBB15_100:
	s_or_b64 exec, exec, s[0:1]
	v_or_b32_e32 v19, 0x100, v0
	v_cmp_gt_u32_e32 vcc, s7, v19
	s_and_saveexec_b64 s[0:1], vcc
	s_cbranch_execz .LBB15_102
; %bb.101:
	s_waitcnt lgkmcnt(14)
	global_store_short v[2:3], v4, off offset:512
.LBB15_102:
	s_or_b64 exec, exec, s[0:1]
	v_or_b32_e32 v19, 0x200, v0
	v_cmp_gt_u32_e32 vcc, s7, v19
	s_and_saveexec_b64 s[0:1], vcc
	s_cbranch_execz .LBB15_104
; %bb.103:
	s_waitcnt lgkmcnt(14)
	global_store_short v[2:3], v7, off offset:1024
.LBB15_104:
	;; [unrolled: 9-line block ×7, first 2 shown]
	s_or_b64 exec, exec, s[0:1]
	v_or_b32_e32 v19, 0x800, v0
	v_cmp_gt_u32_e32 vcc, s7, v19
	s_and_saveexec_b64 s[0:1], vcc
	s_cbranch_execz .LBB15_116
; %bb.115:
	v_add_co_u32_e32 v29, vcc, 0x1000, v2
	v_addc_co_u32_e32 v30, vcc, 0, v3, vcc
	s_waitcnt lgkmcnt(14)
	global_store_short v[29:30], v18, off
.LBB15_116:
	s_or_b64 exec, exec, s[0:1]
	v_or_b32_e32 v19, 0x900, v0
	v_cmp_gt_u32_e32 vcc, s7, v19
	s_and_saveexec_b64 s[0:1], vcc
	s_cbranch_execz .LBB15_118
; %bb.117:
	v_add_co_u32_e32 v29, vcc, 0x1000, v2
	v_addc_co_u32_e32 v30, vcc, 0, v3, vcc
	s_waitcnt lgkmcnt(14)
	global_store_short v[29:30], v23, off offset:512
.LBB15_118:
	s_or_b64 exec, exec, s[0:1]
	v_or_b32_e32 v19, 0xa00, v0
	v_cmp_gt_u32_e32 vcc, s7, v19
	s_and_saveexec_b64 s[0:1], vcc
	s_cbranch_execz .LBB15_120
; %bb.119:
	v_add_co_u32_e32 v29, vcc, 0x1000, v2
	v_addc_co_u32_e32 v30, vcc, 0, v3, vcc
	s_waitcnt lgkmcnt(13)
	global_store_short v[29:30], v22, off offset:1024
.LBB15_120:
	;; [unrolled: 11-line block ×7, first 2 shown]
	s_or_b64 exec, exec, s[0:1]
	v_or_b32_e32 v19, 0x1000, v0
	v_cmp_gt_u32_e32 vcc, s7, v19
	s_and_saveexec_b64 s[0:1], vcc
	s_cbranch_execz .LBB15_132
; %bb.131:
	v_add_co_u32_e32 v29, vcc, 0x2000, v2
	v_addc_co_u32_e32 v30, vcc, 0, v3, vcc
	s_waitcnt lgkmcnt(7)
	global_store_short v[29:30], v24, off
.LBB15_132:
	s_or_b64 exec, exec, s[0:1]
	v_or_b32_e32 v19, 0x1100, v0
	v_cmp_gt_u32_e32 vcc, s7, v19
	s_and_saveexec_b64 s[0:1], vcc
	s_cbranch_execz .LBB15_134
; %bb.133:
	v_add_co_u32_e32 v29, vcc, 0x2000, v2
	v_addc_co_u32_e32 v30, vcc, 0, v3, vcc
	s_waitcnt lgkmcnt(6)
	global_store_short v[29:30], v26, off offset:512
.LBB15_134:
	s_or_b64 exec, exec, s[0:1]
	v_or_b32_e32 v19, 0x1200, v0
	v_cmp_gt_u32_e32 vcc, s7, v19
	s_and_saveexec_b64 s[0:1], vcc
	s_cbranch_execz .LBB15_136
; %bb.135:
	v_add_co_u32_e32 v29, vcc, 0x2000, v2
	v_addc_co_u32_e32 v30, vcc, 0, v3, vcc
	s_waitcnt lgkmcnt(5)
	global_store_short v[29:30], v27, off offset:1024
.LBB15_136:
	;; [unrolled: 11-line block ×7, first 2 shown]
	s_or_b64 exec, exec, s[0:1]
	s_load_dword s0, s[4:5], 0x40
	s_waitcnt lgkmcnt(0)
	s_bfe_u32 s0, s0, 0x10008
	s_cmp_eq_u32 s0, 0
	s_cbranch_scc1 .LBB15_154
; %bb.147:
	s_add_u32 s0, s7, -1
	s_addc_u32 s1, s22, -1
	s_mul_i32 s5, s1, 0xaaaaaaab
	s_mul_hi_u32 s6, s0, 0xaaaaaaab
	s_mul_hi_u32 s4, s1, 0xaaaaaaab
	s_add_u32 s5, s5, s6
	s_mul_i32 s3, s0, 0xaaaaaaaa
	s_addc_u32 s4, s4, 0
	s_mul_hi_u32 s2, s0, 0xaaaaaaaa
	s_add_u32 s3, s3, s5
	s_addc_u32 s2, s2, 0
	s_add_u32 s2, s4, s2
	s_addc_u32 s3, 0, 0
	s_mul_i32 s5, s1, 0xaaaaaaaa
	s_mul_hi_u32 s4, s1, 0xaaaaaaaa
	s_add_u32 s2, s5, s2
	s_addc_u32 s3, s4, s3
	s_lshr_b64 s[2:3], s[2:3], 4
	v_cmp_eq_u64_e32 vcc, s[2:3], v[0:1]
	s_and_saveexec_b64 s[2:3], vcc
	s_cbranch_execz .LBB15_154
; %bb.148:
	v_mul_hi_u32_u24_e32 v1, 24, v0
	v_mul_u32_u24_e32 v0, 24, v0
	v_mov_b32_e32 v2, s1
	v_sub_co_u32_e32 v0, vcc, s0, v0
	v_subb_co_u32_e32 v1, vcc, v2, v1, vcc
	v_cmp_lt_i64_e32 vcc, 11, v[0:1]
	s_mov_b64 s[0:1], 0
	s_mov_b64 s[8:9], 0
	;; [unrolled: 1-line block ×4, first 2 shown]
	s_and_saveexec_b64 s[2:3], vcc
	s_xor_b64 s[2:3], exec, s[2:3]
	s_cbranch_execnz .LBB15_155
; %bb.149:
	s_andn2_saveexec_b64 s[2:3], s[2:3]
	s_cbranch_execnz .LBB15_200
.LBB15_150:
	s_or_b64 exec, exec, s[2:3]
	s_and_saveexec_b64 s[2:3], s[8:9]
	s_cbranch_execnz .LBB15_217
.LBB15_151:
	s_or_b64 exec, exec, s[2:3]
	s_and_saveexec_b64 s[2:3], s[6:7]
	s_cbranch_execnz .LBB15_218
.LBB15_152:
	s_or_b64 exec, exec, s[2:3]
	s_and_saveexec_b64 s[2:3], s[4:5]
	s_xor_b64 s[2:3], exec, s[2:3]
	s_cbranch_execnz .LBB15_219
.LBB15_153:
	s_or_b64 exec, exec, s[2:3]
	s_and_b64 exec, exec, s[0:1]
	s_cbranch_execnz .LBB15_220
.LBB15_154:
	s_endpgm
.LBB15_155:
	v_cmp_lt_i64_e32 vcc, 17, v[0:1]
	s_and_saveexec_b64 s[12:13], vcc
	s_xor_b64 s[12:13], exec, s[12:13]
	s_cbranch_execz .LBB15_177
; %bb.156:
	v_cmp_lt_i64_e32 vcc, 20, v[0:1]
	s_and_saveexec_b64 s[14:15], vcc
	s_xor_b64 s[14:15], exec, s[14:15]
	s_cbranch_execz .LBB15_166
; %bb.157:
	v_cmp_lt_i64_e32 vcc, 21, v[0:1]
	s_mov_b64 s[16:17], 0
	s_and_saveexec_b64 s[4:5], vcc
	s_xor_b64 s[4:5], exec, s[4:5]
	s_cbranch_execz .LBB15_163
; %bb.158:
	v_cmp_lt_i64_e32 vcc, 22, v[0:1]
	s_and_saveexec_b64 s[16:17], vcc
	s_xor_b64 s[16:17], exec, s[16:17]
	s_cbranch_execz .LBB15_160
; %bb.159:
	v_mov_b32_e32 v2, 0
	global_store_short v2, v28, s[10:11]
.LBB15_160:
	s_or_saveexec_b64 s[16:17], s[16:17]
	s_mov_b64 s[18:19], 0
	s_xor_b64 exec, exec, s[16:17]
; %bb.161:
	s_mov_b64 s[18:19], exec
; %bb.162:
	s_or_b64 exec, exec, s[16:17]
	s_and_b64 s[16:17], s[18:19], exec
.LBB15_163:
	s_andn2_saveexec_b64 s[4:5], s[4:5]
; %bb.164:
	s_mov_b64 s[6:7], exec
; %bb.165:
	s_or_b64 exec, exec, s[4:5]
	s_and_b64 s[4:5], s[16:17], exec
	s_and_b64 s[6:7], s[6:7], exec
                                        ; implicit-def: $vgpr27
                                        ; implicit-def: $vgpr25
.LBB15_166:
	s_andn2_saveexec_b64 s[14:15], s[14:15]
	s_cbranch_execz .LBB15_176
; %bb.167:
	v_cmp_lt_i64_e32 vcc, 18, v[0:1]
	s_mov_b64 s[16:17], 0
	s_and_saveexec_b64 s[8:9], vcc
	s_xor_b64 s[8:9], exec, s[8:9]
	s_cbranch_execz .LBB15_173
; %bb.168:
	v_cmp_lt_i64_e32 vcc, 19, v[0:1]
	s_and_saveexec_b64 s[18:19], vcc
	s_xor_b64 s[18:19], exec, s[18:19]
; %bb.169:
	s_mov_b64 s[16:17], exec
                                        ; implicit-def: $vgpr25
; %bb.170:
	s_andn2_saveexec_b64 s[18:19], s[18:19]
	s_cbranch_execz .LBB15_172
; %bb.171:
	v_mov_b32_e32 v2, 0
	global_store_short v2, v25, s[10:11]
.LBB15_172:
	s_or_b64 exec, exec, s[18:19]
	s_and_b64 s[16:17], s[16:17], exec
                                        ; implicit-def: $vgpr27
.LBB15_173:
	s_andn2_saveexec_b64 s[8:9], s[8:9]
	s_cbranch_execz .LBB15_175
; %bb.174:
	v_mov_b32_e32 v2, 0
	global_store_short v2, v27, s[10:11]
.LBB15_175:
	s_or_b64 exec, exec, s[8:9]
	s_and_b64 s[8:9], s[16:17], exec
.LBB15_176:
	s_or_b64 exec, exec, s[14:15]
	s_and_b64 s[4:5], s[4:5], exec
	s_and_b64 s[6:7], s[6:7], exec
	;; [unrolled: 1-line block ×3, first 2 shown]
                                        ; implicit-def: $vgpr17
                                        ; implicit-def: $vgpr15
                                        ; implicit-def: $vgpr16
                                        ; implicit-def: $vgpr21
                                        ; implicit-def: $vgpr24
                                        ; implicit-def: $vgpr26
.LBB15_177:
	s_andn2_saveexec_b64 s[12:13], s[12:13]
	s_cbranch_execz .LBB15_199
; %bb.178:
	v_cmp_lt_i64_e32 vcc, 14, v[0:1]
	s_mov_b64 s[14:15], s[4:5]
	s_and_saveexec_b64 s[16:17], vcc
	s_xor_b64 s[16:17], exec, s[16:17]
	s_cbranch_execz .LBB15_188
; %bb.179:
	v_cmp_lt_i64_e32 vcc, 15, v[0:1]
	s_and_saveexec_b64 s[14:15], vcc
	s_xor_b64 s[14:15], exec, s[14:15]
	s_cbranch_execz .LBB15_185
; %bb.180:
	v_cmp_lt_i64_e32 vcc, 16, v[0:1]
	s_and_saveexec_b64 s[18:19], vcc
	s_xor_b64 s[18:19], exec, s[18:19]
	s_cbranch_execz .LBB15_182
; %bb.181:
	v_mov_b32_e32 v2, 0
	global_store_short v2, v26, s[10:11]
                                        ; implicit-def: $vgpr24
.LBB15_182:
	s_andn2_saveexec_b64 s[18:19], s[18:19]
	s_cbranch_execz .LBB15_184
; %bb.183:
	v_mov_b32_e32 v2, 0
	global_store_short v2, v24, s[10:11]
.LBB15_184:
	s_or_b64 exec, exec, s[18:19]
.LBB15_185:
	s_or_saveexec_b64 s[14:15], s[14:15]
	s_mov_b64 s[18:19], s[4:5]
	s_xor_b64 exec, exec, s[14:15]
; %bb.186:
	s_or_b64 s[18:19], s[4:5], exec
; %bb.187:
	s_or_b64 exec, exec, s[14:15]
	s_andn2_b64 s[14:15], s[4:5], exec
	s_and_b64 s[18:19], s[18:19], exec
	s_or_b64 s[14:15], s[14:15], s[18:19]
                                        ; implicit-def: $vgpr16
                                        ; implicit-def: $vgpr21
                                        ; implicit-def: $vgpr15
.LBB15_188:
	s_or_saveexec_b64 s[16:17], s[16:17]
	s_mov_b64 s[18:19], s[6:7]
                                        ; implicit-def: $vgpr11
	s_xor_b64 exec, exec, s[16:17]
	s_cbranch_execz .LBB15_198
; %bb.189:
	v_cmp_lt_i64_e32 vcc, 12, v[0:1]
	s_mov_b64 s[20:21], s[6:7]
	s_mov_b64 s[22:23], s[14:15]
	s_and_saveexec_b64 s[18:19], vcc
	s_xor_b64 s[18:19], exec, s[18:19]
	s_cbranch_execz .LBB15_195
; %bb.190:
	v_cmp_lt_i64_e32 vcc, 13, v[0:1]
	s_mov_b64 s[20:21], s[14:15]
	s_and_saveexec_b64 s[22:23], vcc
	s_xor_b64 s[22:23], exec, s[22:23]
; %bb.191:
	s_or_b64 s[20:21], s[14:15], exec
; %bb.192:
	s_or_saveexec_b64 s[22:23], s[22:23]
	s_mov_b64 s[24:25], s[6:7]
	s_xor_b64 exec, exec, s[22:23]
; %bb.193:
	s_or_b64 s[24:25], s[6:7], exec
; %bb.194:
	s_or_b64 exec, exec, s[22:23]
	s_andn2_b64 s[22:23], s[14:15], exec
	s_and_b64 s[20:21], s[20:21], exec
	s_or_b64 s[22:23], s[22:23], s[20:21]
	s_andn2_b64 s[20:21], s[6:7], exec
	s_and_b64 s[24:25], s[24:25], exec
	s_or_b64 s[20:21], s[20:21], s[24:25]
                                        ; implicit-def: $vgpr21
.LBB15_195:
	s_andn2_saveexec_b64 s[18:19], s[18:19]
; %bb.196:
	s_or_b64 s[20:21], s[20:21], exec
	v_mov_b32_e32 v16, v21
; %bb.197:
	s_or_b64 exec, exec, s[18:19]
	s_andn2_b64 s[14:15], s[14:15], exec
	s_and_b64 s[18:19], s[22:23], exec
	s_or_b64 s[14:15], s[14:15], s[18:19]
	s_andn2_b64 s[18:19], s[6:7], exec
	s_and_b64 s[20:21], s[20:21], exec
	s_or_b64 s[18:19], s[18:19], s[20:21]
	v_mov_b32_e32 v17, v15
	v_mov_b32_e32 v11, v16
.LBB15_198:
	s_or_b64 exec, exec, s[16:17]
	s_andn2_b64 s[4:5], s[4:5], exec
	s_and_b64 s[14:15], s[14:15], exec
	s_or_b64 s[4:5], s[4:5], s[14:15]
	s_andn2_b64 s[6:7], s[6:7], exec
	s_and_b64 s[14:15], s[18:19], exec
	s_or_b64 s[6:7], s[6:7], s[14:15]
	v_mov_b32_e32 v12, v17
.LBB15_199:
	s_or_b64 exec, exec, s[12:13]
	s_and_b64 s[4:5], s[4:5], exec
	s_and_b64 s[6:7], s[6:7], exec
	;; [unrolled: 1-line block ×3, first 2 shown]
                                        ; implicit-def: $vgpr18
                                        ; implicit-def: $vgpr23
                                        ; implicit-def: $vgpr20
                                        ; implicit-def: $vgpr22
                                        ; implicit-def: $vgpr13
                                        ; implicit-def: $vgpr14
	s_andn2_saveexec_b64 s[2:3], s[2:3]
	s_cbranch_execz .LBB15_150
.LBB15_200:
	v_cmp_lt_i64_e32 vcc, 5, v[0:1]
	s_mov_b64 s[14:15], -1
	s_mov_b64 s[12:13], s[8:9]
	s_mov_b64 s[16:17], s[6:7]
	;; [unrolled: 1-line block ×3, first 2 shown]
                                        ; implicit-def: $vgpr10
	s_and_saveexec_b64 s[0:1], vcc
	s_cbranch_execz .LBB15_216
; %bb.201:
	v_cmp_lt_i64_e32 vcc, 8, v[0:1]
	s_mov_b64 s[12:13], s[8:9]
                                        ; implicit-def: $vgpr10
	s_and_saveexec_b64 s[14:15], vcc
	s_xor_b64 s[14:15], exec, s[14:15]
	s_cbranch_execz .LBB15_211
; %bb.202:
	v_cmp_lt_i64_e32 vcc, 9, v[0:1]
	s_and_saveexec_b64 s[12:13], vcc
	s_xor_b64 s[12:13], exec, s[12:13]
	s_cbranch_execz .LBB15_208
; %bb.203:
	v_cmp_lt_i64_e32 vcc, 10, v[0:1]
	s_and_saveexec_b64 s[16:17], vcc
	s_xor_b64 s[16:17], exec, s[16:17]
; %bb.204:
                                        ; implicit-def: $vgpr22
; %bb.205:
	s_andn2_saveexec_b64 s[16:17], s[16:17]
; %bb.206:
	v_mov_b32_e32 v20, v22
; %bb.207:
	s_or_b64 exec, exec, s[16:17]
                                        ; implicit-def: $vgpr23
.LBB15_208:
	s_andn2_saveexec_b64 s[12:13], s[12:13]
; %bb.209:
	v_mov_b32_e32 v20, v23
; %bb.210:
	s_or_b64 exec, exec, s[12:13]
	s_or_b64 s[12:13], s[8:9], exec
	v_mov_b32_e32 v10, v20
                                        ; implicit-def: $vgpr18
.LBB15_211:
	s_or_saveexec_b64 s[14:15], s[14:15]
	s_mov_b64 s[16:17], s[6:7]
	s_mov_b64 s[20:21], s[4:5]
	s_xor_b64 exec, exec, s[14:15]
	s_cbranch_execz .LBB15_215
; %bb.212:
	v_cmp_lt_i64_e32 vcc, 6, v[0:1]
	s_mov_b64 s[20:21], -1
	s_mov_b64 s[18:19], s[12:13]
	s_mov_b64 s[16:17], s[6:7]
	s_and_saveexec_b64 s[22:23], vcc
; %bb.213:
	v_cmp_lt_i64_e32 vcc, 7, v[0:1]
	s_andn2_b64 s[18:19], s[12:13], exec
	s_and_b64 s[24:25], vcc, exec
	s_xor_b64 s[20:21], exec, -1
	s_or_b64 s[16:17], s[6:7], exec
	s_or_b64 s[18:19], s[18:19], s[24:25]
; %bb.214:
	s_or_b64 exec, exec, s[22:23]
	s_andn2_b64 s[22:23], s[4:5], exec
	s_and_b64 s[20:21], s[20:21], exec
	s_or_b64 s[20:21], s[22:23], s[20:21]
	s_andn2_b64 s[22:23], s[6:7], exec
	s_and_b64 s[16:17], s[16:17], exec
	s_andn2_b64 s[12:13], s[12:13], exec
	s_and_b64 s[18:19], s[18:19], exec
	s_or_b64 s[16:17], s[22:23], s[16:17]
	s_or_b64 s[12:13], s[12:13], s[18:19]
	v_mov_b32_e32 v10, v18
.LBB15_215:
	s_or_b64 exec, exec, s[14:15]
	s_andn2_b64 s[18:19], s[4:5], exec
	s_and_b64 s[20:21], s[20:21], exec
	s_or_b64 s[18:19], s[18:19], s[20:21]
	s_andn2_b64 s[20:21], s[6:7], exec
	s_and_b64 s[16:17], s[16:17], exec
	s_or_b64 s[16:17], s[20:21], s[16:17]
	s_andn2_b64 s[20:21], s[8:9], exec
	s_and_b64 s[12:13], s[12:13], exec
	s_xor_b64 s[14:15], exec, -1
	s_or_b64 s[12:13], s[20:21], s[12:13]
.LBB15_216:
	s_or_b64 exec, exec, s[0:1]
	s_and_b64 s[0:1], s[14:15], exec
	s_andn2_b64 s[4:5], s[4:5], exec
	s_and_b64 s[14:15], s[18:19], exec
	s_or_b64 s[4:5], s[4:5], s[14:15]
	s_andn2_b64 s[6:7], s[6:7], exec
	s_and_b64 s[14:15], s[16:17], exec
	s_andn2_b64 s[8:9], s[8:9], exec
	s_and_b64 s[12:13], s[12:13], exec
	s_or_b64 s[6:7], s[6:7], s[14:15]
	s_or_b64 s[8:9], s[8:9], s[12:13]
	v_mov_b32_e32 v12, v13
	v_mov_b32_e32 v11, v14
	s_or_b64 exec, exec, s[2:3]
	s_and_saveexec_b64 s[2:3], s[8:9]
	s_cbranch_execz .LBB15_151
.LBB15_217:
	v_mov_b32_e32 v2, 0
	s_andn2_b64 s[6:7], s[6:7], exec
	global_store_short v2, v10, s[10:11]
	s_or_b64 exec, exec, s[2:3]
	s_and_saveexec_b64 s[2:3], s[6:7]
	s_cbranch_execz .LBB15_152
.LBB15_218:
	v_mov_b32_e32 v2, 0
	global_store_short v2, v11, s[10:11]
	s_or_b64 exec, exec, s[2:3]
	s_and_saveexec_b64 s[2:3], s[4:5]
	s_xor_b64 s[2:3], exec, s[2:3]
	s_cbranch_execz .LBB15_153
.LBB15_219:
	v_mov_b32_e32 v2, 0
	global_store_short v2, v12, s[10:11]
	s_or_b64 exec, exec, s[2:3]
	s_and_b64 exec, exec, s[0:1]
	s_cbranch_execz .LBB15_154
.LBB15_220:
	v_cmp_lt_i64_e32 vcc, 2, v[0:1]
	s_and_saveexec_b64 s[0:1], vcc
	s_xor_b64 s[0:1], exec, s[0:1]
	s_cbranch_execz .LBB15_230
; %bb.221:
	v_cmp_lt_i64_e32 vcc, 3, v[0:1]
	s_and_saveexec_b64 s[2:3], vcc
	s_xor_b64 s[2:3], exec, s[2:3]
	s_cbranch_execz .LBB15_227
; %bb.222:
	;; [unrolled: 5-line block ×3, first 2 shown]
	v_mov_b32_e32 v0, 0
	global_store_short v0, v9, s[10:11]
                                        ; implicit-def: $vgpr6
.LBB15_224:
	s_andn2_saveexec_b64 s[4:5], s[4:5]
	s_cbranch_execz .LBB15_226
; %bb.225:
	v_mov_b32_e32 v0, 0
	global_store_short v0, v6, s[10:11]
.LBB15_226:
	s_or_b64 exec, exec, s[4:5]
                                        ; implicit-def: $vgpr8
.LBB15_227:
	s_andn2_saveexec_b64 s[2:3], s[2:3]
	s_cbranch_execz .LBB15_229
; %bb.228:
	v_mov_b32_e32 v0, 0
	global_store_short v0, v8, s[10:11]
.LBB15_229:
	s_or_b64 exec, exec, s[2:3]
                                        ; implicit-def: $vgpr0_vgpr1
                                        ; implicit-def: $vgpr7
                                        ; implicit-def: $vgpr4
                                        ; implicit-def: $vgpr5
.LBB15_230:
	s_andn2_saveexec_b64 s[0:1], s[0:1]
	s_cbranch_execz .LBB15_154
; %bb.231:
	v_cmp_lt_i64_e32 vcc, 1, v[0:1]
	s_and_saveexec_b64 s[0:1], vcc
	s_xor_b64 s[0:1], exec, s[0:1]
	s_cbranch_execz .LBB15_233
; %bb.232:
	v_mov_b32_e32 v0, 0
	global_store_short v0, v7, s[10:11]
                                        ; implicit-def: $vgpr4
                                        ; implicit-def: $vgpr0_vgpr1
                                        ; implicit-def: $vgpr5
.LBB15_233:
	s_andn2_saveexec_b64 s[0:1], s[0:1]
	s_cbranch_execz .LBB15_154
; %bb.234:
	v_cmp_ne_u64_e32 vcc, 1, v[0:1]
	s_and_saveexec_b64 s[0:1], vcc
	s_xor_b64 s[0:1], exec, s[0:1]
	s_cbranch_execz .LBB15_236
; %bb.235:
	v_mov_b32_e32 v0, 0
	global_store_short v0, v5, s[10:11]
                                        ; implicit-def: $vgpr4
.LBB15_236:
	s_andn2_saveexec_b64 s[0:1], s[0:1]
	s_cbranch_execz .LBB15_154
; %bb.237:
	v_mov_b32_e32 v0, 0
	global_store_short v0, v4, s[10:11]
	s_endpgm
	.section	.rodata,"a",@progbits
	.p2align	6, 0x0
	.amdhsa_kernel _ZN7rocprim6detail20lookback_scan_kernelILNS0_25lookback_scan_determinismE0ELb0ENS0_19wrapped_scan_configINS_14default_configE12hip_bfloat16EEPS5_S7_N6hipcub3MaxES5_S5_NS0_19lookback_scan_stateIS5_Lb0ELb1EEEEEvT2_T3_mT5_T4_T7_jPT6_SI_bb
		.amdhsa_group_segment_fixed_size 12288
		.amdhsa_private_segment_fixed_size 0
		.amdhsa_kernarg_size 68
		.amdhsa_user_sgpr_count 6
		.amdhsa_user_sgpr_private_segment_buffer 1
		.amdhsa_user_sgpr_dispatch_ptr 0
		.amdhsa_user_sgpr_queue_ptr 0
		.amdhsa_user_sgpr_kernarg_segment_ptr 1
		.amdhsa_user_sgpr_dispatch_id 0
		.amdhsa_user_sgpr_flat_scratch_init 0
		.amdhsa_user_sgpr_private_segment_size 0
		.amdhsa_uses_dynamic_stack 0
		.amdhsa_system_sgpr_private_segment_wavefront_offset 0
		.amdhsa_system_sgpr_workgroup_id_x 1
		.amdhsa_system_sgpr_workgroup_id_y 0
		.amdhsa_system_sgpr_workgroup_id_z 0
		.amdhsa_system_sgpr_workgroup_info 0
		.amdhsa_system_vgpr_workitem_id 0
		.amdhsa_next_free_vgpr 84
		.amdhsa_next_free_sgpr 98
		.amdhsa_reserve_vcc 1
		.amdhsa_reserve_flat_scratch 0
		.amdhsa_float_round_mode_32 0
		.amdhsa_float_round_mode_16_64 0
		.amdhsa_float_denorm_mode_32 3
		.amdhsa_float_denorm_mode_16_64 3
		.amdhsa_dx10_clamp 1
		.amdhsa_ieee_mode 1
		.amdhsa_fp16_overflow 0
		.amdhsa_exception_fp_ieee_invalid_op 0
		.amdhsa_exception_fp_denorm_src 0
		.amdhsa_exception_fp_ieee_div_zero 0
		.amdhsa_exception_fp_ieee_overflow 0
		.amdhsa_exception_fp_ieee_underflow 0
		.amdhsa_exception_fp_ieee_inexact 0
		.amdhsa_exception_int_div_zero 0
	.end_amdhsa_kernel
	.section	.text._ZN7rocprim6detail20lookback_scan_kernelILNS0_25lookback_scan_determinismE0ELb0ENS0_19wrapped_scan_configINS_14default_configE12hip_bfloat16EEPS5_S7_N6hipcub3MaxES5_S5_NS0_19lookback_scan_stateIS5_Lb0ELb1EEEEEvT2_T3_mT5_T4_T7_jPT6_SI_bb,"axG",@progbits,_ZN7rocprim6detail20lookback_scan_kernelILNS0_25lookback_scan_determinismE0ELb0ENS0_19wrapped_scan_configINS_14default_configE12hip_bfloat16EEPS5_S7_N6hipcub3MaxES5_S5_NS0_19lookback_scan_stateIS5_Lb0ELb1EEEEEvT2_T3_mT5_T4_T7_jPT6_SI_bb,comdat
.Lfunc_end15:
	.size	_ZN7rocprim6detail20lookback_scan_kernelILNS0_25lookback_scan_determinismE0ELb0ENS0_19wrapped_scan_configINS_14default_configE12hip_bfloat16EEPS5_S7_N6hipcub3MaxES5_S5_NS0_19lookback_scan_stateIS5_Lb0ELb1EEEEEvT2_T3_mT5_T4_T7_jPT6_SI_bb, .Lfunc_end15-_ZN7rocprim6detail20lookback_scan_kernelILNS0_25lookback_scan_determinismE0ELb0ENS0_19wrapped_scan_configINS_14default_configE12hip_bfloat16EEPS5_S7_N6hipcub3MaxES5_S5_NS0_19lookback_scan_stateIS5_Lb0ELb1EEEEEvT2_T3_mT5_T4_T7_jPT6_SI_bb
                                        ; -- End function
	.set _ZN7rocprim6detail20lookback_scan_kernelILNS0_25lookback_scan_determinismE0ELb0ENS0_19wrapped_scan_configINS_14default_configE12hip_bfloat16EEPS5_S7_N6hipcub3MaxES5_S5_NS0_19lookback_scan_stateIS5_Lb0ELb1EEEEEvT2_T3_mT5_T4_T7_jPT6_SI_bb.num_vgpr, 84
	.set _ZN7rocprim6detail20lookback_scan_kernelILNS0_25lookback_scan_determinismE0ELb0ENS0_19wrapped_scan_configINS_14default_configE12hip_bfloat16EEPS5_S7_N6hipcub3MaxES5_S5_NS0_19lookback_scan_stateIS5_Lb0ELb1EEEEEvT2_T3_mT5_T4_T7_jPT6_SI_bb.num_agpr, 0
	.set _ZN7rocprim6detail20lookback_scan_kernelILNS0_25lookback_scan_determinismE0ELb0ENS0_19wrapped_scan_configINS_14default_configE12hip_bfloat16EEPS5_S7_N6hipcub3MaxES5_S5_NS0_19lookback_scan_stateIS5_Lb0ELb1EEEEEvT2_T3_mT5_T4_T7_jPT6_SI_bb.numbered_sgpr, 26
	.set _ZN7rocprim6detail20lookback_scan_kernelILNS0_25lookback_scan_determinismE0ELb0ENS0_19wrapped_scan_configINS_14default_configE12hip_bfloat16EEPS5_S7_N6hipcub3MaxES5_S5_NS0_19lookback_scan_stateIS5_Lb0ELb1EEEEEvT2_T3_mT5_T4_T7_jPT6_SI_bb.num_named_barrier, 0
	.set _ZN7rocprim6detail20lookback_scan_kernelILNS0_25lookback_scan_determinismE0ELb0ENS0_19wrapped_scan_configINS_14default_configE12hip_bfloat16EEPS5_S7_N6hipcub3MaxES5_S5_NS0_19lookback_scan_stateIS5_Lb0ELb1EEEEEvT2_T3_mT5_T4_T7_jPT6_SI_bb.private_seg_size, 0
	.set _ZN7rocprim6detail20lookback_scan_kernelILNS0_25lookback_scan_determinismE0ELb0ENS0_19wrapped_scan_configINS_14default_configE12hip_bfloat16EEPS5_S7_N6hipcub3MaxES5_S5_NS0_19lookback_scan_stateIS5_Lb0ELb1EEEEEvT2_T3_mT5_T4_T7_jPT6_SI_bb.uses_vcc, 1
	.set _ZN7rocprim6detail20lookback_scan_kernelILNS0_25lookback_scan_determinismE0ELb0ENS0_19wrapped_scan_configINS_14default_configE12hip_bfloat16EEPS5_S7_N6hipcub3MaxES5_S5_NS0_19lookback_scan_stateIS5_Lb0ELb1EEEEEvT2_T3_mT5_T4_T7_jPT6_SI_bb.uses_flat_scratch, 0
	.set _ZN7rocprim6detail20lookback_scan_kernelILNS0_25lookback_scan_determinismE0ELb0ENS0_19wrapped_scan_configINS_14default_configE12hip_bfloat16EEPS5_S7_N6hipcub3MaxES5_S5_NS0_19lookback_scan_stateIS5_Lb0ELb1EEEEEvT2_T3_mT5_T4_T7_jPT6_SI_bb.has_dyn_sized_stack, 0
	.set _ZN7rocprim6detail20lookback_scan_kernelILNS0_25lookback_scan_determinismE0ELb0ENS0_19wrapped_scan_configINS_14default_configE12hip_bfloat16EEPS5_S7_N6hipcub3MaxES5_S5_NS0_19lookback_scan_stateIS5_Lb0ELb1EEEEEvT2_T3_mT5_T4_T7_jPT6_SI_bb.has_recursion, 0
	.set _ZN7rocprim6detail20lookback_scan_kernelILNS0_25lookback_scan_determinismE0ELb0ENS0_19wrapped_scan_configINS_14default_configE12hip_bfloat16EEPS5_S7_N6hipcub3MaxES5_S5_NS0_19lookback_scan_stateIS5_Lb0ELb1EEEEEvT2_T3_mT5_T4_T7_jPT6_SI_bb.has_indirect_call, 0
	.section	.AMDGPU.csdata,"",@progbits
; Kernel info:
; codeLenInByte = 9736
; TotalNumSgprs: 30
; NumVgprs: 84
; ScratchSize: 0
; MemoryBound: 0
; FloatMode: 240
; IeeeMode: 1
; LDSByteSize: 12288 bytes/workgroup (compile time only)
; SGPRBlocks: 12
; VGPRBlocks: 20
; NumSGPRsForWavesPerEU: 102
; NumVGPRsForWavesPerEU: 84
; Occupancy: 3
; WaveLimiterHint : 1
; COMPUTE_PGM_RSRC2:SCRATCH_EN: 0
; COMPUTE_PGM_RSRC2:USER_SGPR: 6
; COMPUTE_PGM_RSRC2:TRAP_HANDLER: 0
; COMPUTE_PGM_RSRC2:TGID_X_EN: 1
; COMPUTE_PGM_RSRC2:TGID_Y_EN: 0
; COMPUTE_PGM_RSRC2:TGID_Z_EN: 0
; COMPUTE_PGM_RSRC2:TIDIG_COMP_CNT: 0
	.section	.text._ZN7rocprim6detail16transform_kernelINS0_24wrapped_transform_configINS_14default_configE12hip_bfloat16EES4_PS4_S6_NS_8identityIS4_EEEEvT1_mT2_T3_,"axG",@progbits,_ZN7rocprim6detail16transform_kernelINS0_24wrapped_transform_configINS_14default_configE12hip_bfloat16EES4_PS4_S6_NS_8identityIS4_EEEEvT1_mT2_T3_,comdat
	.protected	_ZN7rocprim6detail16transform_kernelINS0_24wrapped_transform_configINS_14default_configE12hip_bfloat16EES4_PS4_S6_NS_8identityIS4_EEEEvT1_mT2_T3_ ; -- Begin function _ZN7rocprim6detail16transform_kernelINS0_24wrapped_transform_configINS_14default_configE12hip_bfloat16EES4_PS4_S6_NS_8identityIS4_EEEEvT1_mT2_T3_
	.globl	_ZN7rocprim6detail16transform_kernelINS0_24wrapped_transform_configINS_14default_configE12hip_bfloat16EES4_PS4_S6_NS_8identityIS4_EEEEvT1_mT2_T3_
	.p2align	8
	.type	_ZN7rocprim6detail16transform_kernelINS0_24wrapped_transform_configINS_14default_configE12hip_bfloat16EES4_PS4_S6_NS_8identityIS4_EEEEvT1_mT2_T3_,@function
_ZN7rocprim6detail16transform_kernelINS0_24wrapped_transform_configINS_14default_configE12hip_bfloat16EES4_PS4_S6_NS_8identityIS4_EEEEvT1_mT2_T3_: ; @_ZN7rocprim6detail16transform_kernelINS0_24wrapped_transform_configINS_14default_configE12hip_bfloat16EES4_PS4_S6_NS_8identityIS4_EEEEvT1_mT2_T3_
; %bb.0:
	s_load_dword s7, s[4:5], 0x20
	s_load_dwordx4 s[0:3], s[4:5], 0x0
	s_load_dwordx2 s[8:9], s[4:5], 0x10
	s_lshl_b32 s4, s6, 11
	s_mov_b32 s5, 0
	s_waitcnt lgkmcnt(0)
	s_add_i32 s7, s7, -1
	s_lshl_b64 s[10:11], s[4:5], 1
	s_add_u32 s0, s0, s10
	s_addc_u32 s1, s1, s11
	v_lshlrev_b32_e32 v3, 1, v0
	v_mov_b32_e32 v2, s1
	v_add_co_u32_e32 v1, vcc, s0, v3
	s_cmp_lg_u32 s6, s7
	v_addc_co_u32_e32 v2, vcc, 0, v2, vcc
	s_cbranch_scc0 .LBB16_2
; %bb.1:
	global_load_ushort v5, v[1:2], off
	global_load_ushort v6, v[1:2], off offset:1024
	global_load_ushort v7, v[1:2], off offset:2048
	global_load_ushort v4, v[1:2], off offset:3072
	s_add_u32 s6, s8, s10
	s_addc_u32 s7, s9, s11
	s_waitcnt vmcnt(3)
	global_store_short v3, v5, s[6:7]
	s_waitcnt vmcnt(3)
	global_store_short v3, v6, s[6:7] offset:1024
	s_waitcnt vmcnt(3)
	global_store_short v3, v7, s[6:7] offset:2048
	s_mov_b64 s[6:7], -1
	s_cbranch_execz .LBB16_3
	s_branch .LBB16_16
.LBB16_2:
	s_mov_b64 s[6:7], 0
                                        ; implicit-def: $vgpr4
.LBB16_3:
	s_sub_i32 s6, s2, s4
	v_cmp_gt_u32_e32 vcc, s6, v0
                                        ; implicit-def: $vgpr5
	s_and_saveexec_b64 s[0:1], vcc
	s_cbranch_execz .LBB16_5
; %bb.4:
	global_load_ushort v5, v[1:2], off
.LBB16_5:
	s_or_b64 exec, exec, s[0:1]
	s_waitcnt vmcnt(3)
	v_or_b32_e32 v4, 0x200, v0
	v_cmp_gt_u32_e64 s[0:1], s6, v4
                                        ; implicit-def: $vgpr6
	s_and_saveexec_b64 s[2:3], s[0:1]
	s_cbranch_execz .LBB16_7
; %bb.6:
	global_load_ushort v6, v[1:2], off offset:1024
.LBB16_7:
	s_or_b64 exec, exec, s[2:3]
	v_or_b32_e32 v4, 0x400, v0
	v_cmp_gt_u32_e64 s[2:3], s6, v4
                                        ; implicit-def: $vgpr7
	s_and_saveexec_b64 s[4:5], s[2:3]
	s_cbranch_execz .LBB16_9
; %bb.8:
	global_load_ushort v7, v[1:2], off offset:2048
.LBB16_9:
	s_or_b64 exec, exec, s[4:5]
	v_or_b32_e32 v0, 0x600, v0
	v_cmp_gt_u32_e64 s[6:7], s6, v0
                                        ; implicit-def: $vgpr4
	s_and_saveexec_b64 s[4:5], s[6:7]
	s_cbranch_execz .LBB16_11
; %bb.10:
	global_load_ushort v4, v[1:2], off offset:3072
.LBB16_11:
	s_or_b64 exec, exec, s[4:5]
	s_add_u32 s4, s8, s10
	s_addc_u32 s5, s9, s11
	v_mov_b32_e32 v1, s5
	v_add_co_u32_e64 v0, s[4:5], s4, v3
	v_addc_co_u32_e64 v1, s[4:5], 0, v1, s[4:5]
	s_and_saveexec_b64 s[4:5], vcc
	s_cbranch_execnz .LBB16_19
; %bb.12:
	s_or_b64 exec, exec, s[4:5]
	s_and_saveexec_b64 s[4:5], s[0:1]
	s_cbranch_execnz .LBB16_20
.LBB16_13:
	s_or_b64 exec, exec, s[4:5]
	s_and_saveexec_b64 s[0:1], s[2:3]
	s_cbranch_execz .LBB16_15
.LBB16_14:
	s_waitcnt vmcnt(0)
	global_store_short v[0:1], v7, off offset:2048
.LBB16_15:
	s_or_b64 exec, exec, s[0:1]
.LBB16_16:
	s_and_saveexec_b64 s[0:1], s[6:7]
	s_cbranch_execnz .LBB16_18
; %bb.17:
	s_endpgm
.LBB16_18:
	s_add_u32 s0, s8, s10
	s_addc_u32 s1, s9, s11
	s_waitcnt vmcnt(0)
	global_store_short v3, v4, s[0:1] offset:3072
	s_endpgm
.LBB16_19:
	s_waitcnt vmcnt(0)
	global_store_short v[0:1], v5, off
	s_or_b64 exec, exec, s[4:5]
	s_and_saveexec_b64 s[4:5], s[0:1]
	s_cbranch_execz .LBB16_13
.LBB16_20:
	s_waitcnt vmcnt(0)
	global_store_short v[0:1], v6, off offset:1024
	s_or_b64 exec, exec, s[4:5]
	s_and_saveexec_b64 s[0:1], s[2:3]
	s_cbranch_execnz .LBB16_14
	s_branch .LBB16_15
	.section	.rodata,"a",@progbits
	.p2align	6, 0x0
	.amdhsa_kernel _ZN7rocprim6detail16transform_kernelINS0_24wrapped_transform_configINS_14default_configE12hip_bfloat16EES4_PS4_S6_NS_8identityIS4_EEEEvT1_mT2_T3_
		.amdhsa_group_segment_fixed_size 0
		.amdhsa_private_segment_fixed_size 0
		.amdhsa_kernarg_size 288
		.amdhsa_user_sgpr_count 6
		.amdhsa_user_sgpr_private_segment_buffer 1
		.amdhsa_user_sgpr_dispatch_ptr 0
		.amdhsa_user_sgpr_queue_ptr 0
		.amdhsa_user_sgpr_kernarg_segment_ptr 1
		.amdhsa_user_sgpr_dispatch_id 0
		.amdhsa_user_sgpr_flat_scratch_init 0
		.amdhsa_user_sgpr_private_segment_size 0
		.amdhsa_uses_dynamic_stack 0
		.amdhsa_system_sgpr_private_segment_wavefront_offset 0
		.amdhsa_system_sgpr_workgroup_id_x 1
		.amdhsa_system_sgpr_workgroup_id_y 0
		.amdhsa_system_sgpr_workgroup_id_z 0
		.amdhsa_system_sgpr_workgroup_info 0
		.amdhsa_system_vgpr_workitem_id 0
		.amdhsa_next_free_vgpr 8
		.amdhsa_next_free_sgpr 12
		.amdhsa_reserve_vcc 1
		.amdhsa_reserve_flat_scratch 0
		.amdhsa_float_round_mode_32 0
		.amdhsa_float_round_mode_16_64 0
		.amdhsa_float_denorm_mode_32 3
		.amdhsa_float_denorm_mode_16_64 3
		.amdhsa_dx10_clamp 1
		.amdhsa_ieee_mode 1
		.amdhsa_fp16_overflow 0
		.amdhsa_exception_fp_ieee_invalid_op 0
		.amdhsa_exception_fp_denorm_src 0
		.amdhsa_exception_fp_ieee_div_zero 0
		.amdhsa_exception_fp_ieee_overflow 0
		.amdhsa_exception_fp_ieee_underflow 0
		.amdhsa_exception_fp_ieee_inexact 0
		.amdhsa_exception_int_div_zero 0
	.end_amdhsa_kernel
	.section	.text._ZN7rocprim6detail16transform_kernelINS0_24wrapped_transform_configINS_14default_configE12hip_bfloat16EES4_PS4_S6_NS_8identityIS4_EEEEvT1_mT2_T3_,"axG",@progbits,_ZN7rocprim6detail16transform_kernelINS0_24wrapped_transform_configINS_14default_configE12hip_bfloat16EES4_PS4_S6_NS_8identityIS4_EEEEvT1_mT2_T3_,comdat
.Lfunc_end16:
	.size	_ZN7rocprim6detail16transform_kernelINS0_24wrapped_transform_configINS_14default_configE12hip_bfloat16EES4_PS4_S6_NS_8identityIS4_EEEEvT1_mT2_T3_, .Lfunc_end16-_ZN7rocprim6detail16transform_kernelINS0_24wrapped_transform_configINS_14default_configE12hip_bfloat16EES4_PS4_S6_NS_8identityIS4_EEEEvT1_mT2_T3_
                                        ; -- End function
	.set _ZN7rocprim6detail16transform_kernelINS0_24wrapped_transform_configINS_14default_configE12hip_bfloat16EES4_PS4_S6_NS_8identityIS4_EEEEvT1_mT2_T3_.num_vgpr, 8
	.set _ZN7rocprim6detail16transform_kernelINS0_24wrapped_transform_configINS_14default_configE12hip_bfloat16EES4_PS4_S6_NS_8identityIS4_EEEEvT1_mT2_T3_.num_agpr, 0
	.set _ZN7rocprim6detail16transform_kernelINS0_24wrapped_transform_configINS_14default_configE12hip_bfloat16EES4_PS4_S6_NS_8identityIS4_EEEEvT1_mT2_T3_.numbered_sgpr, 12
	.set _ZN7rocprim6detail16transform_kernelINS0_24wrapped_transform_configINS_14default_configE12hip_bfloat16EES4_PS4_S6_NS_8identityIS4_EEEEvT1_mT2_T3_.num_named_barrier, 0
	.set _ZN7rocprim6detail16transform_kernelINS0_24wrapped_transform_configINS_14default_configE12hip_bfloat16EES4_PS4_S6_NS_8identityIS4_EEEEvT1_mT2_T3_.private_seg_size, 0
	.set _ZN7rocprim6detail16transform_kernelINS0_24wrapped_transform_configINS_14default_configE12hip_bfloat16EES4_PS4_S6_NS_8identityIS4_EEEEvT1_mT2_T3_.uses_vcc, 1
	.set _ZN7rocprim6detail16transform_kernelINS0_24wrapped_transform_configINS_14default_configE12hip_bfloat16EES4_PS4_S6_NS_8identityIS4_EEEEvT1_mT2_T3_.uses_flat_scratch, 0
	.set _ZN7rocprim6detail16transform_kernelINS0_24wrapped_transform_configINS_14default_configE12hip_bfloat16EES4_PS4_S6_NS_8identityIS4_EEEEvT1_mT2_T3_.has_dyn_sized_stack, 0
	.set _ZN7rocprim6detail16transform_kernelINS0_24wrapped_transform_configINS_14default_configE12hip_bfloat16EES4_PS4_S6_NS_8identityIS4_EEEEvT1_mT2_T3_.has_recursion, 0
	.set _ZN7rocprim6detail16transform_kernelINS0_24wrapped_transform_configINS_14default_configE12hip_bfloat16EES4_PS4_S6_NS_8identityIS4_EEEEvT1_mT2_T3_.has_indirect_call, 0
	.section	.AMDGPU.csdata,"",@progbits
; Kernel info:
; codeLenInByte = 472
; TotalNumSgprs: 16
; NumVgprs: 8
; ScratchSize: 0
; MemoryBound: 0
; FloatMode: 240
; IeeeMode: 1
; LDSByteSize: 0 bytes/workgroup (compile time only)
; SGPRBlocks: 1
; VGPRBlocks: 1
; NumSGPRsForWavesPerEU: 16
; NumVGPRsForWavesPerEU: 8
; Occupancy: 10
; WaveLimiterHint : 1
; COMPUTE_PGM_RSRC2:SCRATCH_EN: 0
; COMPUTE_PGM_RSRC2:USER_SGPR: 6
; COMPUTE_PGM_RSRC2:TRAP_HANDLER: 0
; COMPUTE_PGM_RSRC2:TGID_X_EN: 1
; COMPUTE_PGM_RSRC2:TGID_Y_EN: 0
; COMPUTE_PGM_RSRC2:TGID_Z_EN: 0
; COMPUTE_PGM_RSRC2:TIDIG_COMP_CNT: 0
	.section	.text._ZN7rocprim6detail18single_scan_kernelILb0ENS0_19wrapped_scan_configINS_14default_configE12hip_bfloat16EEPS4_S6_N6hipcub3MaxES4_S4_EEvT1_mT4_T2_T3_,"axG",@progbits,_ZN7rocprim6detail18single_scan_kernelILb0ENS0_19wrapped_scan_configINS_14default_configE12hip_bfloat16EEPS4_S6_N6hipcub3MaxES4_S4_EEvT1_mT4_T2_T3_,comdat
	.protected	_ZN7rocprim6detail18single_scan_kernelILb0ENS0_19wrapped_scan_configINS_14default_configE12hip_bfloat16EEPS4_S6_N6hipcub3MaxES4_S4_EEvT1_mT4_T2_T3_ ; -- Begin function _ZN7rocprim6detail18single_scan_kernelILb0ENS0_19wrapped_scan_configINS_14default_configE12hip_bfloat16EEPS4_S6_N6hipcub3MaxES4_S4_EEvT1_mT4_T2_T3_
	.globl	_ZN7rocprim6detail18single_scan_kernelILb0ENS0_19wrapped_scan_configINS_14default_configE12hip_bfloat16EEPS4_S6_N6hipcub3MaxES4_S4_EEvT1_mT4_T2_T3_
	.p2align	8
	.type	_ZN7rocprim6detail18single_scan_kernelILb0ENS0_19wrapped_scan_configINS_14default_configE12hip_bfloat16EEPS4_S6_N6hipcub3MaxES4_S4_EEvT1_mT4_T2_T3_,@function
_ZN7rocprim6detail18single_scan_kernelILb0ENS0_19wrapped_scan_configINS_14default_configE12hip_bfloat16EEPS4_S6_N6hipcub3MaxES4_S4_EEvT1_mT4_T2_T3_: ; @_ZN7rocprim6detail18single_scan_kernelILb0ENS0_19wrapped_scan_configINS_14default_configE12hip_bfloat16EEPS4_S6_N6hipcub3MaxES4_S4_EEvT1_mT4_T2_T3_
; %bb.0:
	s_load_dwordx4 s[52:55], s[4:5], 0x0
	v_mov_b32_e32 v1, 0
	v_lshlrev_b32_e32 v13, 1, v0
	s_waitcnt lgkmcnt(0)
	global_load_ushort v3, v1, s[52:53]
	v_mov_b32_e32 v2, s53
	v_add_co_u32_e32 v1, vcc, s52, v13
	v_addc_co_u32_e32 v2, vcc, 0, v2, vcc
	v_cmp_gt_u32_e64 s[0:1], s54, v0
	s_waitcnt vmcnt(0)
	v_mov_b32_e32 v4, v3
	s_and_saveexec_b64 s[2:3], s[0:1]
	s_cbranch_execz .LBB17_2
; %bb.1:
	global_load_ushort v4, v[1:2], off
.LBB17_2:
	s_or_b64 exec, exec, s[2:3]
	v_or_b32_e32 v5, 0x100, v0
	v_cmp_gt_u32_e64 s[2:3], s54, v5
	v_mov_b32_e32 v5, v3
	s_and_saveexec_b64 s[6:7], s[2:3]
	s_cbranch_execz .LBB17_4
; %bb.3:
	global_load_ushort v5, v[1:2], off offset:512
.LBB17_4:
	s_or_b64 exec, exec, s[6:7]
	v_or_b32_e32 v6, 0x200, v0
	v_cmp_gt_u32_e64 s[50:51], s54, v6
	v_mov_b32_e32 v6, v3
	s_and_saveexec_b64 s[6:7], s[50:51]
	s_cbranch_execz .LBB17_6
; %bb.5:
	global_load_ushort v6, v[1:2], off offset:1024
.LBB17_6:
	;; [unrolled: 9-line block ×7, first 2 shown]
	s_or_b64 exec, exec, s[16:17]
	v_or_b32_e32 v12, 0x800, v0
	v_cmp_gt_u32_e64 s[16:17], s54, v12
	v_mov_b32_e32 v12, v3
	s_and_saveexec_b64 s[18:19], s[16:17]
	s_cbranch_execz .LBB17_18
; %bb.17:
	v_add_co_u32_e32 v14, vcc, 0x1000, v1
	v_addc_co_u32_e32 v15, vcc, 0, v2, vcc
	global_load_ushort v12, v[14:15], off
.LBB17_18:
	s_or_b64 exec, exec, s[18:19]
	v_or_b32_e32 v14, 0x900, v0
	v_cmp_gt_u32_e64 s[18:19], s54, v14
	v_mov_b32_e32 v14, v3
	s_and_saveexec_b64 s[20:21], s[18:19]
	s_cbranch_execz .LBB17_20
; %bb.19:
	v_add_co_u32_e32 v14, vcc, 0x1000, v1
	v_addc_co_u32_e32 v15, vcc, 0, v2, vcc
	global_load_ushort v14, v[14:15], off offset:512
.LBB17_20:
	s_or_b64 exec, exec, s[20:21]
	v_or_b32_e32 v15, 0xa00, v0
	v_cmp_gt_u32_e64 s[20:21], s54, v15
	v_mov_b32_e32 v15, v3
	s_and_saveexec_b64 s[22:23], s[20:21]
	s_cbranch_execz .LBB17_22
; %bb.21:
	v_add_co_u32_e32 v15, vcc, 0x1000, v1
	v_addc_co_u32_e32 v16, vcc, 0, v2, vcc
	global_load_ushort v15, v[15:16], off offset:1024
.LBB17_22:
	s_or_b64 exec, exec, s[22:23]
	v_or_b32_e32 v16, 0xb00, v0
	v_cmp_gt_u32_e64 s[22:23], s54, v16
	v_mov_b32_e32 v16, v3
	s_and_saveexec_b64 s[24:25], s[22:23]
	s_cbranch_execz .LBB17_24
; %bb.23:
	v_add_co_u32_e32 v16, vcc, 0x1000, v1
	v_addc_co_u32_e32 v17, vcc, 0, v2, vcc
	global_load_ushort v16, v[16:17], off offset:1536
.LBB17_24:
	s_or_b64 exec, exec, s[24:25]
	v_or_b32_e32 v17, 0xc00, v0
	v_cmp_gt_u32_e64 s[24:25], s54, v17
	v_mov_b32_e32 v17, v3
	s_and_saveexec_b64 s[26:27], s[24:25]
	s_cbranch_execz .LBB17_26
; %bb.25:
	v_add_co_u32_e32 v17, vcc, 0x1000, v1
	v_addc_co_u32_e32 v18, vcc, 0, v2, vcc
	global_load_ushort v17, v[17:18], off offset:2048
.LBB17_26:
	s_or_b64 exec, exec, s[26:27]
	v_or_b32_e32 v18, 0xd00, v0
	v_cmp_gt_u32_e64 s[26:27], s54, v18
	v_mov_b32_e32 v18, v3
	s_and_saveexec_b64 s[28:29], s[26:27]
	s_cbranch_execz .LBB17_28
; %bb.27:
	v_add_co_u32_e32 v18, vcc, 0x1000, v1
	v_addc_co_u32_e32 v19, vcc, 0, v2, vcc
	global_load_ushort v18, v[18:19], off offset:2560
.LBB17_28:
	s_or_b64 exec, exec, s[28:29]
	v_or_b32_e32 v19, 0xe00, v0
	v_cmp_gt_u32_e64 s[28:29], s54, v19
	v_mov_b32_e32 v19, v3
	s_and_saveexec_b64 s[30:31], s[28:29]
	s_cbranch_execz .LBB17_30
; %bb.29:
	v_add_co_u32_e32 v19, vcc, 0x1000, v1
	v_addc_co_u32_e32 v20, vcc, 0, v2, vcc
	global_load_ushort v19, v[19:20], off offset:3072
.LBB17_30:
	s_or_b64 exec, exec, s[30:31]
	v_or_b32_e32 v20, 0xf00, v0
	v_cmp_gt_u32_e64 s[30:31], s54, v20
	v_mov_b32_e32 v20, v3
	s_and_saveexec_b64 s[34:35], s[30:31]
	s_cbranch_execz .LBB17_32
; %bb.31:
	v_add_co_u32_e32 v20, vcc, 0x1000, v1
	v_addc_co_u32_e32 v21, vcc, 0, v2, vcc
	global_load_ushort v20, v[20:21], off offset:3584
.LBB17_32:
	s_or_b64 exec, exec, s[34:35]
	v_or_b32_e32 v21, 0x1000, v0
	v_cmp_gt_u32_e64 s[34:35], s54, v21
	v_mov_b32_e32 v21, v3
	s_and_saveexec_b64 s[36:37], s[34:35]
	s_cbranch_execz .LBB17_34
; %bb.33:
	v_add_co_u32_e32 v21, vcc, 0x2000, v1
	v_addc_co_u32_e32 v22, vcc, 0, v2, vcc
	global_load_ushort v21, v[21:22], off
.LBB17_34:
	s_or_b64 exec, exec, s[36:37]
	v_or_b32_e32 v22, 0x1100, v0
	v_cmp_gt_u32_e64 s[36:37], s54, v22
	v_mov_b32_e32 v22, v3
	s_and_saveexec_b64 s[38:39], s[36:37]
	s_cbranch_execz .LBB17_36
; %bb.35:
	v_add_co_u32_e32 v22, vcc, 0x2000, v1
	v_addc_co_u32_e32 v23, vcc, 0, v2, vcc
	global_load_ushort v22, v[22:23], off offset:512
.LBB17_36:
	s_or_b64 exec, exec, s[38:39]
	v_or_b32_e32 v23, 0x1200, v0
	v_cmp_gt_u32_e64 s[38:39], s54, v23
	v_mov_b32_e32 v23, v3
	s_and_saveexec_b64 s[40:41], s[38:39]
	s_cbranch_execz .LBB17_38
; %bb.37:
	v_add_co_u32_e32 v23, vcc, 0x2000, v1
	v_addc_co_u32_e32 v24, vcc, 0, v2, vcc
	global_load_ushort v23, v[23:24], off offset:1024
.LBB17_38:
	;; [unrolled: 11-line block ×6, first 2 shown]
	s_or_b64 exec, exec, s[48:49]
	v_or_b32_e32 v28, 0x1700, v0
	v_cmp_gt_u32_e64 s[48:49], s54, v28
	s_and_saveexec_b64 s[52:53], s[48:49]
	s_cbranch_execz .LBB17_48
; %bb.47:
	v_add_co_u32_e32 v1, vcc, 0x2000, v1
	v_addc_co_u32_e32 v2, vcc, 0, v2, vcc
	global_load_ushort v3, v[1:2], off offset:3584
.LBB17_48:
	s_or_b64 exec, exec, s[52:53]
	s_waitcnt vmcnt(0)
	ds_write_b16 v13, v4
	ds_write_b16 v13, v5 offset:512
	ds_write_b16 v13, v6 offset:1024
	;; [unrolled: 1-line block ×23, first 2 shown]
	v_mad_u32_u24 v9, v0, 46, v13
	s_waitcnt lgkmcnt(0)
	s_barrier
	ds_read_b128 v[5:8], v9
	ds_read_b128 v[1:4], v9 offset:16
	s_waitcnt lgkmcnt(1)
	v_and_b32_e32 v21, 0xffff0000, v5
	v_lshlrev_b32_e32 v24, 16, v5
	v_lshrrev_b32_e32 v22, 16, v5
	v_cmp_lt_f32_e32 vcc, v24, v21
	v_cndmask_b32_e32 v10, v5, v22, vcc
	v_lshlrev_b32_e32 v11, 16, v10
	v_lshlrev_b32_e32 v23, 16, v6
	v_cmp_lt_f32_e32 vcc, v11, v23
	v_cndmask_b32_e32 v10, v10, v6, vcc
	v_lshlrev_b32_e32 v11, 16, v10
	v_and_b32_e32 v25, 0xffff0000, v6
	v_lshrrev_b32_e32 v20, 16, v6
	v_cmp_lt_f32_e32 vcc, v11, v25
	v_cndmask_b32_e32 v10, v10, v20, vcc
	v_lshlrev_b32_e32 v11, 16, v10
	v_lshlrev_b32_e32 v26, 16, v7
	v_cmp_lt_f32_e32 vcc, v11, v26
	v_cndmask_b32_e32 v10, v10, v7, vcc
	v_lshlrev_b32_e32 v11, 16, v10
	v_and_b32_e32 v27, 0xffff0000, v7
	;; [unrolled: 9-line block ×3, first 2 shown]
	v_lshrrev_b32_e32 v18, 16, v8
	v_cmp_lt_f32_e32 vcc, v11, v29
	v_cndmask_b32_e32 v10, v10, v18, vcc
	v_lshlrev_b32_e32 v11, 16, v10
	s_waitcnt lgkmcnt(0)
	v_lshlrev_b32_e32 v30, 16, v1
	v_cmp_lt_f32_e32 vcc, v11, v30
	v_cndmask_b32_e32 v10, v10, v1, vcc
	v_lshlrev_b32_e32 v11, 16, v10
	v_and_b32_e32 v31, 0xffff0000, v1
	v_lshrrev_b32_e32 v17, 16, v1
	v_cmp_lt_f32_e32 vcc, v11, v31
	v_cndmask_b32_e32 v10, v10, v17, vcc
	v_lshlrev_b32_e32 v11, 16, v10
	v_lshlrev_b32_e32 v32, 16, v2
	v_cmp_lt_f32_e32 vcc, v11, v32
	v_cndmask_b32_e32 v10, v10, v2, vcc
	v_lshlrev_b32_e32 v11, 16, v10
	v_and_b32_e32 v33, 0xffff0000, v2
	v_lshrrev_b32_e32 v16, 16, v2
	v_cmp_lt_f32_e32 vcc, v11, v33
	v_cndmask_b32_e32 v10, v10, v16, vcc
	v_lshlrev_b32_e32 v11, 16, v10
	;; [unrolled: 9-line block ×3, first 2 shown]
	v_lshlrev_b32_e32 v36, 16, v4
	v_cmp_lt_f32_e32 vcc, v11, v36
	v_cndmask_b32_e32 v38, v10, v4, vcc
	ds_read_b128 v[9:12], v9 offset:32
	v_lshlrev_b32_e32 v39, 16, v38
	v_and_b32_e32 v37, 0xffff0000, v4
	v_lshrrev_b32_e32 v14, 16, v4
	v_cmp_lt_f32_e32 vcc, v39, v37
	v_cndmask_b32_e32 v39, v38, v14, vcc
	v_lshlrev_b32_e32 v40, 16, v39
	s_waitcnt lgkmcnt(0)
	v_lshlrev_b32_e32 v38, 16, v9
	v_cmp_lt_f32_e32 vcc, v40, v38
	v_cndmask_b32_e32 v41, v39, v9, vcc
	v_lshlrev_b32_e32 v42, 16, v41
	v_and_b32_e32 v39, 0xffff0000, v9
	v_lshrrev_b32_e32 v40, 16, v9
	v_cmp_lt_f32_e32 vcc, v42, v39
	v_cndmask_b32_e32 v42, v41, v40, vcc
	v_lshlrev_b32_e32 v43, 16, v42
	v_lshlrev_b32_e32 v41, 16, v10
	v_cmp_lt_f32_e32 vcc, v43, v41
	v_cndmask_b32_e32 v44, v42, v10, vcc
	v_lshlrev_b32_e32 v45, 16, v44
	v_and_b32_e32 v42, 0xffff0000, v10
	v_lshrrev_b32_e32 v43, 16, v10
	v_cmp_lt_f32_e32 vcc, v45, v42
	v_cndmask_b32_e32 v45, v44, v43, vcc
	v_lshlrev_b32_e32 v46, 16, v45
	;; [unrolled: 9-line block ×3, first 2 shown]
	v_lshlrev_b32_e32 v47, 16, v12
	v_cmp_lt_f32_e32 vcc, v49, v47
	v_cndmask_b32_e32 v50, v48, v12, vcc
	v_lshlrev_b32_e32 v51, 16, v50
	v_and_b32_e32 v48, 0xffff0000, v12
	v_lshrrev_b32_e32 v49, 16, v12
	v_cmp_lt_f32_e32 vcc, v51, v48
	v_cndmask_b32_e32 v51, v50, v49, vcc
	v_and_b32_e32 v52, 0xffff, v51
	v_lshlrev_b32_e32 v55, 16, v51
	v_mbcnt_lo_u32_b32 v50, -1, 0
	v_mov_b32_dpp v53, v52 row_shr:1 row_mask:0xf bank_mask:0xf
	v_lshlrev_b32_e32 v54, 16, v53
	v_mbcnt_hi_u32_b32 v50, -1, v50
	v_cmp_lt_f32_e32 vcc, v54, v55
	v_cndmask_b32_e32 v53, v53, v51, vcc
	v_and_b32_e32 v54, 15, v50
	v_and_b32_e32 v55, 0xffff, v53
	v_cmp_eq_u32_e32 vcc, 0, v54
	v_cndmask_b32_e32 v52, v55, v52, vcc
	v_lshlrev_b32_e32 v57, 16, v52
	v_cndmask_b32_e32 v51, v53, v51, vcc
	v_mov_b32_dpp v55, v52 row_shr:2 row_mask:0xf bank_mask:0xf
	v_lshlrev_b32_e32 v56, 16, v55
	v_cmp_lt_f32_e32 vcc, v56, v57
	v_cndmask_b32_e32 v53, v55, v51, vcc
	v_and_b32_e32 v55, 0xffff, v53
	v_cmp_lt_u32_e32 vcc, 1, v54
	v_cndmask_b32_e32 v52, v52, v55, vcc
	v_lshlrev_b32_e32 v57, 16, v52
	v_cndmask_b32_e32 v51, v51, v53, vcc
	v_mov_b32_dpp v55, v52 row_shr:4 row_mask:0xf bank_mask:0xf
	v_lshlrev_b32_e32 v56, 16, v55
	v_cmp_lt_f32_e32 vcc, v56, v57
	v_cndmask_b32_e32 v53, v55, v51, vcc
	v_and_b32_e32 v55, 0xffff, v53
	v_cmp_lt_u32_e32 vcc, 3, v54
	;; [unrolled: 9-line block ×3, first 2 shown]
	v_cndmask_b32_e32 v52, v52, v55, vcc
	v_lshlrev_b32_e32 v56, 16, v52
	v_cndmask_b32_e32 v51, v51, v53, vcc
	v_mov_b32_dpp v54, v52 row_bcast:15 row_mask:0xf bank_mask:0xf
	v_lshlrev_b32_e32 v55, 16, v54
	v_cmp_lt_f32_e32 vcc, v55, v56
	v_and_b32_e32 v53, 16, v50
	v_cndmask_b32_e32 v54, v54, v51, vcc
	v_and_b32_e32 v55, 0xffff, v54
	v_cmp_eq_u32_e32 vcc, 0, v53
	v_cndmask_b32_e32 v52, v55, v52, vcc
	v_cndmask_b32_e32 v51, v54, v51, vcc
	s_nop 0
	v_mov_b32_dpp v53, v52 row_bcast:31 row_mask:0xf bank_mask:0xf
	v_lshlrev_b32_e32 v52, 16, v52
	v_lshlrev_b32_e32 v55, 16, v53
	v_cmp_lt_f32_e32 vcc, v55, v52
	v_cndmask_b32_e32 v52, v53, v51, vcc
	v_cmp_lt_u32_e32 vcc, 31, v50
	v_cndmask_b32_e32 v52, v51, v52, vcc
	v_or_b32_e32 v51, 63, v0
	v_cmp_eq_u32_e32 vcc, v0, v51
	v_lshrrev_b32_e32 v53, 6, v0
	s_barrier
	s_and_saveexec_b64 s[52:53], vcc
; %bb.49:
	v_lshlrev_b32_e32 v51, 1, v53
	ds_write_b16 v51, v52
; %bb.50:
	s_or_b64 exec, exec, s[52:53]
	v_cmp_gt_u32_e32 vcc, 4, v0
	s_waitcnt lgkmcnt(0)
	s_barrier
	s_and_saveexec_b64 s[52:53], vcc
	s_cbranch_execz .LBB17_52
; %bb.51:
	ds_read_u16 v51, v13
	v_and_b32_e32 v54, 3, v50
	s_waitcnt lgkmcnt(0)
	v_and_b32_e32 v55, 0xffff, v51
	s_nop 1
	v_mov_b32_dpp v57, v55 row_shr:1 row_mask:0xf bank_mask:0xf
	v_lshlrev_b32_e32 v56, 16, v51
	v_lshlrev_b32_e32 v58, 16, v57
	v_cmp_lt_f32_e32 vcc, v58, v56
	v_cndmask_b32_e32 v56, v57, v51, vcc
	v_and_b32_e32 v57, 0xffff, v56
	v_cmp_eq_u32_e32 vcc, 0, v54
	v_cndmask_b32_e32 v55, v57, v55, vcc
	v_cndmask_b32_e32 v51, v56, v51, vcc
	s_nop 0
	v_mov_b32_dpp v56, v55 row_shr:2 row_mask:0xf bank_mask:0xf
	v_lshlrev_b32_e32 v57, 16, v56
	v_lshlrev_b32_e32 v55, 16, v55
	v_cmp_lt_f32_e32 vcc, v57, v55
	v_cndmask_b32_e32 v55, v56, v51, vcc
	v_cmp_lt_u32_e32 vcc, 1, v54
	v_cndmask_b32_e32 v51, v51, v55, vcc
	ds_write_b16 v13, v51
.LBB17_52:
	s_or_b64 exec, exec, s[52:53]
	v_mul_u32_u24_e32 v51, 46, v0
	v_cmp_lt_u32_e32 vcc, 63, v0
	s_waitcnt lgkmcnt(0)
	s_barrier
                                        ; implicit-def: $vgpr54
	s_and_saveexec_b64 s[52:53], vcc
	s_cbranch_execz .LBB17_54
; %bb.53:
	v_lshl_add_u32 v53, v53, 1, -2
	ds_read_u16 v54, v53
	v_lshlrev_b32_e32 v53, 16, v52
	s_waitcnt lgkmcnt(0)
	v_lshlrev_b32_e32 v55, 16, v54
	v_cmp_lt_f32_e32 vcc, v55, v53
	v_cndmask_b32_e32 v52, v54, v52, vcc
.LBB17_54:
	s_or_b64 exec, exec, s[52:53]
	v_subrev_co_u32_e32 v53, vcc, 1, v50
	v_and_b32_e32 v55, 64, v50
	v_cmp_lt_i32_e64 s[52:53], v53, v55
	v_cndmask_b32_e64 v50, v53, v50, s[52:53]
	v_lshlrev_b32_e32 v50, 2, v50
	v_and_b32_e32 v52, 0xffff, v52
	ds_bpermute_b32 v50, v50, v52
	s_load_dwordx2 s[52:53], s[4:5], 0x18
	v_cmp_eq_u32_e64 s[4:5], 0, v0
	s_waitcnt lgkmcnt(0)
	s_barrier
	v_cndmask_b32_e32 v0, v50, v54, vcc
	v_lshlrev_b32_e32 v50, 16, v0
	v_cmp_gt_f32_e32 vcc, v24, v50
	s_or_b64 vcc, s[4:5], vcc
	v_cndmask_b32_e32 v0, v0, v5, vcc
	v_lshlrev_b32_e32 v5, 16, v0
	v_cmp_gt_f32_e32 vcc, v21, v5
	v_cndmask_b32_e32 v5, v0, v22, vcc
	v_lshlrev_b32_e32 v21, 16, v5
	v_cmp_gt_f32_e32 vcc, v23, v21
	;; [unrolled: 3-line block ×22, first 2 shown]
	v_cndmask_b32_e32 v12, v26, v12, vcc
	v_lshlrev_b32_e32 v1, 16, v12
	s_mov_b32 s4, 0x5040100
	v_cmp_gt_f32_e32 vcc, v48, v1
	v_add_u32_e32 v28, v13, v51
	v_perm_b32 v3, v18, v8, s4
	v_perm_b32 v2, v19, v7, s4
	;; [unrolled: 1-line block ×4, first 2 shown]
	v_cndmask_b32_e32 v27, v12, v49, vcc
	ds_write_b128 v28, v[0:3]
	v_perm_b32 v3, v14, v4, s4
	v_perm_b32 v2, v15, v23, s4
	;; [unrolled: 1-line block ×4, first 2 shown]
	ds_write_b128 v28, v[0:3] offset:16
	v_perm_b32 v3, v27, v12, s4
	v_perm_b32 v2, v26, v11, s4
	v_perm_b32 v1, v25, v10, s4
	v_perm_b32 v0, v24, v9, s4
	ds_write_b128 v28, v[0:3] offset:32
	s_waitcnt lgkmcnt(0)
	s_barrier
	ds_read_u16 v25, v13 offset:512
	ds_read_u16 v24, v13 offset:1024
	;; [unrolled: 1-line block ×23, first 2 shown]
	v_mov_b32_e32 v1, s53
	v_add_co_u32_e32 v0, vcc, s52, v13
	v_addc_co_u32_e32 v1, vcc, 0, v1, vcc
	s_and_saveexec_b64 s[4:5], s[0:1]
	s_cbranch_execnz .LBB17_79
; %bb.55:
	s_or_b64 exec, exec, s[4:5]
	s_and_saveexec_b64 s[0:1], s[2:3]
	s_cbranch_execnz .LBB17_80
.LBB17_56:
	s_or_b64 exec, exec, s[0:1]
	s_and_saveexec_b64 s[0:1], s[50:51]
	s_cbranch_execnz .LBB17_81
.LBB17_57:
	s_or_b64 exec, exec, s[0:1]
	s_and_saveexec_b64 s[0:1], s[6:7]
	s_cbranch_execnz .LBB17_82
.LBB17_58:
	s_or_b64 exec, exec, s[0:1]
	s_and_saveexec_b64 s[0:1], s[8:9]
	s_cbranch_execnz .LBB17_83
.LBB17_59:
	s_or_b64 exec, exec, s[0:1]
	s_and_saveexec_b64 s[0:1], s[10:11]
	s_cbranch_execnz .LBB17_84
.LBB17_60:
	s_or_b64 exec, exec, s[0:1]
	s_and_saveexec_b64 s[0:1], s[12:13]
	s_cbranch_execnz .LBB17_85
.LBB17_61:
	s_or_b64 exec, exec, s[0:1]
	s_and_saveexec_b64 s[0:1], s[14:15]
	s_cbranch_execnz .LBB17_86
.LBB17_62:
	s_or_b64 exec, exec, s[0:1]
	s_and_saveexec_b64 s[0:1], s[16:17]
	s_cbranch_execnz .LBB17_87
.LBB17_63:
	s_or_b64 exec, exec, s[0:1]
	s_and_saveexec_b64 s[0:1], s[18:19]
	s_cbranch_execnz .LBB17_88
.LBB17_64:
	s_or_b64 exec, exec, s[0:1]
	s_and_saveexec_b64 s[0:1], s[20:21]
	s_cbranch_execnz .LBB17_89
.LBB17_65:
	s_or_b64 exec, exec, s[0:1]
	s_and_saveexec_b64 s[0:1], s[22:23]
	s_cbranch_execnz .LBB17_90
.LBB17_66:
	s_or_b64 exec, exec, s[0:1]
	s_and_saveexec_b64 s[0:1], s[24:25]
	s_cbranch_execnz .LBB17_91
.LBB17_67:
	s_or_b64 exec, exec, s[0:1]
	s_and_saveexec_b64 s[0:1], s[26:27]
	s_cbranch_execnz .LBB17_92
.LBB17_68:
	s_or_b64 exec, exec, s[0:1]
	s_and_saveexec_b64 s[0:1], s[28:29]
	s_cbranch_execnz .LBB17_93
.LBB17_69:
	s_or_b64 exec, exec, s[0:1]
	s_and_saveexec_b64 s[0:1], s[30:31]
	s_cbranch_execnz .LBB17_94
.LBB17_70:
	s_or_b64 exec, exec, s[0:1]
	s_and_saveexec_b64 s[0:1], s[34:35]
	s_cbranch_execnz .LBB17_95
.LBB17_71:
	s_or_b64 exec, exec, s[0:1]
	s_and_saveexec_b64 s[0:1], s[36:37]
	s_cbranch_execnz .LBB17_96
.LBB17_72:
	s_or_b64 exec, exec, s[0:1]
	s_and_saveexec_b64 s[0:1], s[38:39]
	s_cbranch_execnz .LBB17_97
.LBB17_73:
	s_or_b64 exec, exec, s[0:1]
	s_and_saveexec_b64 s[0:1], s[40:41]
	s_cbranch_execnz .LBB17_98
.LBB17_74:
	s_or_b64 exec, exec, s[0:1]
	s_and_saveexec_b64 s[0:1], s[42:43]
	s_cbranch_execnz .LBB17_99
.LBB17_75:
	s_or_b64 exec, exec, s[0:1]
	s_and_saveexec_b64 s[0:1], s[44:45]
	s_cbranch_execnz .LBB17_100
.LBB17_76:
	s_or_b64 exec, exec, s[0:1]
	s_and_saveexec_b64 s[0:1], s[46:47]
	s_cbranch_execnz .LBB17_101
.LBB17_77:
	s_or_b64 exec, exec, s[0:1]
	s_and_saveexec_b64 s[0:1], s[48:49]
	s_cbranch_execnz .LBB17_102
.LBB17_78:
	s_endpgm
.LBB17_79:
	ds_read_u16 v13, v13
	s_waitcnt lgkmcnt(0)
	global_store_short v[0:1], v13, off
	s_or_b64 exec, exec, s[4:5]
	s_and_saveexec_b64 s[0:1], s[2:3]
	s_cbranch_execz .LBB17_56
.LBB17_80:
	s_waitcnt lgkmcnt(14)
	global_store_short v[0:1], v25, off offset:512
	s_or_b64 exec, exec, s[0:1]
	s_and_saveexec_b64 s[0:1], s[50:51]
	s_cbranch_execz .LBB17_57
.LBB17_81:
	s_waitcnt lgkmcnt(14)
	global_store_short v[0:1], v24, off offset:1024
	s_or_b64 exec, exec, s[0:1]
	s_and_saveexec_b64 s[0:1], s[6:7]
	s_cbranch_execz .LBB17_58
.LBB17_82:
	s_waitcnt lgkmcnt(14)
	global_store_short v[0:1], v23, off offset:1536
	s_or_b64 exec, exec, s[0:1]
	s_and_saveexec_b64 s[0:1], s[8:9]
	s_cbranch_execz .LBB17_59
.LBB17_83:
	s_waitcnt lgkmcnt(14)
	global_store_short v[0:1], v22, off offset:2048
	s_or_b64 exec, exec, s[0:1]
	s_and_saveexec_b64 s[0:1], s[10:11]
	s_cbranch_execz .LBB17_60
.LBB17_84:
	s_waitcnt lgkmcnt(14)
	global_store_short v[0:1], v21, off offset:2560
	s_or_b64 exec, exec, s[0:1]
	s_and_saveexec_b64 s[0:1], s[12:13]
	s_cbranch_execz .LBB17_61
.LBB17_85:
	s_waitcnt lgkmcnt(14)
	global_store_short v[0:1], v20, off offset:3072
	s_or_b64 exec, exec, s[0:1]
	s_and_saveexec_b64 s[0:1], s[14:15]
	s_cbranch_execz .LBB17_62
.LBB17_86:
	s_waitcnt lgkmcnt(14)
	global_store_short v[0:1], v19, off offset:3584
	s_or_b64 exec, exec, s[0:1]
	s_and_saveexec_b64 s[0:1], s[16:17]
	s_cbranch_execz .LBB17_63
.LBB17_87:
	s_waitcnt lgkmcnt(14)
	v_add_co_u32_e32 v19, vcc, 0x1000, v0
	v_addc_co_u32_e32 v20, vcc, 0, v1, vcc
	global_store_short v[19:20], v18, off
	s_or_b64 exec, exec, s[0:1]
	s_and_saveexec_b64 s[0:1], s[18:19]
	s_cbranch_execz .LBB17_64
.LBB17_88:
	s_waitcnt lgkmcnt(14)
	v_add_co_u32_e32 v18, vcc, 0x1000, v0
	v_addc_co_u32_e32 v19, vcc, 0, v1, vcc
	global_store_short v[18:19], v17, off offset:512
	s_or_b64 exec, exec, s[0:1]
	s_and_saveexec_b64 s[0:1], s[20:21]
	s_cbranch_execz .LBB17_65
.LBB17_89:
	s_waitcnt lgkmcnt(14)
	v_add_co_u32_e32 v17, vcc, 0x1000, v0
	v_addc_co_u32_e32 v18, vcc, 0, v1, vcc
	s_waitcnt lgkmcnt(13)
	global_store_short v[17:18], v16, off offset:1024
	s_or_b64 exec, exec, s[0:1]
	s_and_saveexec_b64 s[0:1], s[22:23]
	s_cbranch_execz .LBB17_66
.LBB17_90:
	s_waitcnt lgkmcnt(13)
	v_add_co_u32_e32 v16, vcc, 0x1000, v0
	v_addc_co_u32_e32 v17, vcc, 0, v1, vcc
	s_waitcnt lgkmcnt(12)
	global_store_short v[16:17], v15, off offset:1536
	s_or_b64 exec, exec, s[0:1]
	s_and_saveexec_b64 s[0:1], s[24:25]
	s_cbranch_execz .LBB17_67
.LBB17_91:
	s_waitcnt lgkmcnt(12)
	v_add_co_u32_e32 v15, vcc, 0x1000, v0
	v_addc_co_u32_e32 v16, vcc, 0, v1, vcc
	s_waitcnt lgkmcnt(11)
	global_store_short v[15:16], v14, off offset:2048
	s_or_b64 exec, exec, s[0:1]
	s_and_saveexec_b64 s[0:1], s[26:27]
	s_cbranch_execz .LBB17_68
.LBB17_92:
	v_add_co_u32_e32 v13, vcc, 0x1000, v0
	s_waitcnt lgkmcnt(11)
	v_addc_co_u32_e32 v14, vcc, 0, v1, vcc
	s_waitcnt lgkmcnt(10)
	global_store_short v[13:14], v12, off offset:2560
	s_or_b64 exec, exec, s[0:1]
	s_and_saveexec_b64 s[0:1], s[28:29]
	s_cbranch_execz .LBB17_69
.LBB17_93:
	s_waitcnt lgkmcnt(10)
	v_add_co_u32_e32 v12, vcc, 0x1000, v0
	v_addc_co_u32_e32 v13, vcc, 0, v1, vcc
	s_waitcnt lgkmcnt(9)
	global_store_short v[12:13], v11, off offset:3072
	s_or_b64 exec, exec, s[0:1]
	s_and_saveexec_b64 s[0:1], s[30:31]
	s_cbranch_execz .LBB17_70
.LBB17_94:
	s_waitcnt lgkmcnt(9)
	v_add_co_u32_e32 v11, vcc, 0x1000, v0
	v_addc_co_u32_e32 v12, vcc, 0, v1, vcc
	s_waitcnt lgkmcnt(8)
	global_store_short v[11:12], v10, off offset:3584
	s_or_b64 exec, exec, s[0:1]
	s_and_saveexec_b64 s[0:1], s[34:35]
	s_cbranch_execz .LBB17_71
.LBB17_95:
	s_waitcnt lgkmcnt(8)
	v_add_co_u32_e32 v10, vcc, 0x2000, v0
	v_addc_co_u32_e32 v11, vcc, 0, v1, vcc
	s_waitcnt lgkmcnt(7)
	global_store_short v[10:11], v9, off
	s_or_b64 exec, exec, s[0:1]
	s_and_saveexec_b64 s[0:1], s[36:37]
	s_cbranch_execz .LBB17_72
.LBB17_96:
	s_waitcnt lgkmcnt(7)
	v_add_co_u32_e32 v9, vcc, 0x2000, v0
	v_addc_co_u32_e32 v10, vcc, 0, v1, vcc
	s_waitcnt lgkmcnt(6)
	global_store_short v[9:10], v8, off offset:512
	s_or_b64 exec, exec, s[0:1]
	s_and_saveexec_b64 s[0:1], s[38:39]
	s_cbranch_execz .LBB17_73
.LBB17_97:
	s_waitcnt lgkmcnt(6)
	v_add_co_u32_e32 v8, vcc, 0x2000, v0
	v_addc_co_u32_e32 v9, vcc, 0, v1, vcc
	s_waitcnt lgkmcnt(5)
	global_store_short v[8:9], v7, off offset:1024
	s_or_b64 exec, exec, s[0:1]
	s_and_saveexec_b64 s[0:1], s[40:41]
	s_cbranch_execz .LBB17_74
.LBB17_98:
	s_waitcnt lgkmcnt(5)
	v_add_co_u32_e32 v7, vcc, 0x2000, v0
	v_addc_co_u32_e32 v8, vcc, 0, v1, vcc
	s_waitcnt lgkmcnt(4)
	global_store_short v[7:8], v6, off offset:1536
	s_or_b64 exec, exec, s[0:1]
	s_and_saveexec_b64 s[0:1], s[42:43]
	s_cbranch_execz .LBB17_75
.LBB17_99:
	s_waitcnt lgkmcnt(4)
	v_add_co_u32_e32 v6, vcc, 0x2000, v0
	v_addc_co_u32_e32 v7, vcc, 0, v1, vcc
	s_waitcnt lgkmcnt(3)
	global_store_short v[6:7], v5, off offset:2048
	s_or_b64 exec, exec, s[0:1]
	s_and_saveexec_b64 s[0:1], s[44:45]
	s_cbranch_execz .LBB17_76
.LBB17_100:
	s_waitcnt lgkmcnt(3)
	v_add_co_u32_e32 v5, vcc, 0x2000, v0
	v_addc_co_u32_e32 v6, vcc, 0, v1, vcc
	s_waitcnt lgkmcnt(2)
	global_store_short v[5:6], v4, off offset:2560
	s_or_b64 exec, exec, s[0:1]
	s_and_saveexec_b64 s[0:1], s[46:47]
	s_cbranch_execz .LBB17_77
.LBB17_101:
	s_waitcnt lgkmcnt(2)
	v_add_co_u32_e32 v4, vcc, 0x2000, v0
	v_addc_co_u32_e32 v5, vcc, 0, v1, vcc
	s_waitcnt lgkmcnt(1)
	global_store_short v[4:5], v3, off offset:3072
	s_or_b64 exec, exec, s[0:1]
	s_and_saveexec_b64 s[0:1], s[48:49]
	s_cbranch_execz .LBB17_78
.LBB17_102:
	v_add_co_u32_e32 v0, vcc, 0x2000, v0
	v_addc_co_u32_e32 v1, vcc, 0, v1, vcc
	s_waitcnt lgkmcnt(0)
	global_store_short v[0:1], v2, off offset:3584
	s_endpgm
	.section	.rodata,"a",@progbits
	.p2align	6, 0x0
	.amdhsa_kernel _ZN7rocprim6detail18single_scan_kernelILb0ENS0_19wrapped_scan_configINS_14default_configE12hip_bfloat16EEPS4_S6_N6hipcub3MaxES4_S4_EEvT1_mT4_T2_T3_
		.amdhsa_group_segment_fixed_size 12288
		.amdhsa_private_segment_fixed_size 0
		.amdhsa_kernarg_size 36
		.amdhsa_user_sgpr_count 6
		.amdhsa_user_sgpr_private_segment_buffer 1
		.amdhsa_user_sgpr_dispatch_ptr 0
		.amdhsa_user_sgpr_queue_ptr 0
		.amdhsa_user_sgpr_kernarg_segment_ptr 1
		.amdhsa_user_sgpr_dispatch_id 0
		.amdhsa_user_sgpr_flat_scratch_init 0
		.amdhsa_user_sgpr_private_segment_size 0
		.amdhsa_uses_dynamic_stack 0
		.amdhsa_system_sgpr_private_segment_wavefront_offset 0
		.amdhsa_system_sgpr_workgroup_id_x 1
		.amdhsa_system_sgpr_workgroup_id_y 0
		.amdhsa_system_sgpr_workgroup_id_z 0
		.amdhsa_system_sgpr_workgroup_info 0
		.amdhsa_system_vgpr_workitem_id 0
		.amdhsa_next_free_vgpr 59
		.amdhsa_next_free_sgpr 98
		.amdhsa_reserve_vcc 1
		.amdhsa_reserve_flat_scratch 0
		.amdhsa_float_round_mode_32 0
		.amdhsa_float_round_mode_16_64 0
		.amdhsa_float_denorm_mode_32 3
		.amdhsa_float_denorm_mode_16_64 3
		.amdhsa_dx10_clamp 1
		.amdhsa_ieee_mode 1
		.amdhsa_fp16_overflow 0
		.amdhsa_exception_fp_ieee_invalid_op 0
		.amdhsa_exception_fp_denorm_src 0
		.amdhsa_exception_fp_ieee_div_zero 0
		.amdhsa_exception_fp_ieee_overflow 0
		.amdhsa_exception_fp_ieee_underflow 0
		.amdhsa_exception_fp_ieee_inexact 0
		.amdhsa_exception_int_div_zero 0
	.end_amdhsa_kernel
	.section	.text._ZN7rocprim6detail18single_scan_kernelILb0ENS0_19wrapped_scan_configINS_14default_configE12hip_bfloat16EEPS4_S6_N6hipcub3MaxES4_S4_EEvT1_mT4_T2_T3_,"axG",@progbits,_ZN7rocprim6detail18single_scan_kernelILb0ENS0_19wrapped_scan_configINS_14default_configE12hip_bfloat16EEPS4_S6_N6hipcub3MaxES4_S4_EEvT1_mT4_T2_T3_,comdat
.Lfunc_end17:
	.size	_ZN7rocprim6detail18single_scan_kernelILb0ENS0_19wrapped_scan_configINS_14default_configE12hip_bfloat16EEPS4_S6_N6hipcub3MaxES4_S4_EEvT1_mT4_T2_T3_, .Lfunc_end17-_ZN7rocprim6detail18single_scan_kernelILb0ENS0_19wrapped_scan_configINS_14default_configE12hip_bfloat16EEPS4_S6_N6hipcub3MaxES4_S4_EEvT1_mT4_T2_T3_
                                        ; -- End function
	.set _ZN7rocprim6detail18single_scan_kernelILb0ENS0_19wrapped_scan_configINS_14default_configE12hip_bfloat16EEPS4_S6_N6hipcub3MaxES4_S4_EEvT1_mT4_T2_T3_.num_vgpr, 59
	.set _ZN7rocprim6detail18single_scan_kernelILb0ENS0_19wrapped_scan_configINS_14default_configE12hip_bfloat16EEPS4_S6_N6hipcub3MaxES4_S4_EEvT1_mT4_T2_T3_.num_agpr, 0
	.set _ZN7rocprim6detail18single_scan_kernelILb0ENS0_19wrapped_scan_configINS_14default_configE12hip_bfloat16EEPS4_S6_N6hipcub3MaxES4_S4_EEvT1_mT4_T2_T3_.numbered_sgpr, 56
	.set _ZN7rocprim6detail18single_scan_kernelILb0ENS0_19wrapped_scan_configINS_14default_configE12hip_bfloat16EEPS4_S6_N6hipcub3MaxES4_S4_EEvT1_mT4_T2_T3_.num_named_barrier, 0
	.set _ZN7rocprim6detail18single_scan_kernelILb0ENS0_19wrapped_scan_configINS_14default_configE12hip_bfloat16EEPS4_S6_N6hipcub3MaxES4_S4_EEvT1_mT4_T2_T3_.private_seg_size, 0
	.set _ZN7rocprim6detail18single_scan_kernelILb0ENS0_19wrapped_scan_configINS_14default_configE12hip_bfloat16EEPS4_S6_N6hipcub3MaxES4_S4_EEvT1_mT4_T2_T3_.uses_vcc, 1
	.set _ZN7rocprim6detail18single_scan_kernelILb0ENS0_19wrapped_scan_configINS_14default_configE12hip_bfloat16EEPS4_S6_N6hipcub3MaxES4_S4_EEvT1_mT4_T2_T3_.uses_flat_scratch, 0
	.set _ZN7rocprim6detail18single_scan_kernelILb0ENS0_19wrapped_scan_configINS_14default_configE12hip_bfloat16EEPS4_S6_N6hipcub3MaxES4_S4_EEvT1_mT4_T2_T3_.has_dyn_sized_stack, 0
	.set _ZN7rocprim6detail18single_scan_kernelILb0ENS0_19wrapped_scan_configINS_14default_configE12hip_bfloat16EEPS4_S6_N6hipcub3MaxES4_S4_EEvT1_mT4_T2_T3_.has_recursion, 0
	.set _ZN7rocprim6detail18single_scan_kernelILb0ENS0_19wrapped_scan_configINS_14default_configE12hip_bfloat16EEPS4_S6_N6hipcub3MaxES4_S4_EEvT1_mT4_T2_T3_.has_indirect_call, 0
	.section	.AMDGPU.csdata,"",@progbits
; Kernel info:
; codeLenInByte = 4232
; TotalNumSgprs: 60
; NumVgprs: 59
; ScratchSize: 0
; MemoryBound: 0
; FloatMode: 240
; IeeeMode: 1
; LDSByteSize: 12288 bytes/workgroup (compile time only)
; SGPRBlocks: 12
; VGPRBlocks: 14
; NumSGPRsForWavesPerEU: 102
; NumVGPRsForWavesPerEU: 59
; Occupancy: 4
; WaveLimiterHint : 0
; COMPUTE_PGM_RSRC2:SCRATCH_EN: 0
; COMPUTE_PGM_RSRC2:USER_SGPR: 6
; COMPUTE_PGM_RSRC2:TRAP_HANDLER: 0
; COMPUTE_PGM_RSRC2:TGID_X_EN: 1
; COMPUTE_PGM_RSRC2:TGID_Y_EN: 0
; COMPUTE_PGM_RSRC2:TGID_Z_EN: 0
; COMPUTE_PGM_RSRC2:TIDIG_COMP_CNT: 0
	.section	.text._ZN7rocprim6detail20lookback_scan_kernelILNS0_25lookback_scan_determinismE0ELb0ENS0_19wrapped_scan_configINS_14default_configEiEEN6hipcub22TransformInputIteratorIiNS6_6CastOpIiEEPilEEPdNS6_3SumEiiNS0_19lookback_scan_stateIiLb1ELb1EEEEEvT2_T3_mT5_T4_T7_jPT6_SM_bb,"axG",@progbits,_ZN7rocprim6detail20lookback_scan_kernelILNS0_25lookback_scan_determinismE0ELb0ENS0_19wrapped_scan_configINS_14default_configEiEEN6hipcub22TransformInputIteratorIiNS6_6CastOpIiEEPilEEPdNS6_3SumEiiNS0_19lookback_scan_stateIiLb1ELb1EEEEEvT2_T3_mT5_T4_T7_jPT6_SM_bb,comdat
	.protected	_ZN7rocprim6detail20lookback_scan_kernelILNS0_25lookback_scan_determinismE0ELb0ENS0_19wrapped_scan_configINS_14default_configEiEEN6hipcub22TransformInputIteratorIiNS6_6CastOpIiEEPilEEPdNS6_3SumEiiNS0_19lookback_scan_stateIiLb1ELb1EEEEEvT2_T3_mT5_T4_T7_jPT6_SM_bb ; -- Begin function _ZN7rocprim6detail20lookback_scan_kernelILNS0_25lookback_scan_determinismE0ELb0ENS0_19wrapped_scan_configINS_14default_configEiEEN6hipcub22TransformInputIteratorIiNS6_6CastOpIiEEPilEEPdNS6_3SumEiiNS0_19lookback_scan_stateIiLb1ELb1EEEEEvT2_T3_mT5_T4_T7_jPT6_SM_bb
	.globl	_ZN7rocprim6detail20lookback_scan_kernelILNS0_25lookback_scan_determinismE0ELb0ENS0_19wrapped_scan_configINS_14default_configEiEEN6hipcub22TransformInputIteratorIiNS6_6CastOpIiEEPilEEPdNS6_3SumEiiNS0_19lookback_scan_stateIiLb1ELb1EEEEEvT2_T3_mT5_T4_T7_jPT6_SM_bb
	.p2align	8
	.type	_ZN7rocprim6detail20lookback_scan_kernelILNS0_25lookback_scan_determinismE0ELb0ENS0_19wrapped_scan_configINS_14default_configEiEEN6hipcub22TransformInputIteratorIiNS6_6CastOpIiEEPilEEPdNS6_3SumEiiNS0_19lookback_scan_stateIiLb1ELb1EEEEEvT2_T3_mT5_T4_T7_jPT6_SM_bb,@function
_ZN7rocprim6detail20lookback_scan_kernelILNS0_25lookback_scan_determinismE0ELb0ENS0_19wrapped_scan_configINS_14default_configEiEEN6hipcub22TransformInputIteratorIiNS6_6CastOpIiEEPilEEPdNS6_3SumEiiNS0_19lookback_scan_stateIiLb1ELb1EEEEEvT2_T3_mT5_T4_T7_jPT6_SM_bb: ; @_ZN7rocprim6detail20lookback_scan_kernelILNS0_25lookback_scan_determinismE0ELb0ENS0_19wrapped_scan_configINS_14default_configEiEEN6hipcub22TransformInputIteratorIiNS6_6CastOpIiEEPilEEPdNS6_3SumEiiNS0_19lookback_scan_stateIiLb1ELb1EEEEEvT2_T3_mT5_T4_T7_jPT6_SM_bb
; %bb.0:
	s_endpgm
	.section	.rodata,"a",@progbits
	.p2align	6, 0x0
	.amdhsa_kernel _ZN7rocprim6detail20lookback_scan_kernelILNS0_25lookback_scan_determinismE0ELb0ENS0_19wrapped_scan_configINS_14default_configEiEEN6hipcub22TransformInputIteratorIiNS6_6CastOpIiEEPilEEPdNS6_3SumEiiNS0_19lookback_scan_stateIiLb1ELb1EEEEEvT2_T3_mT5_T4_T7_jPT6_SM_bb
		.amdhsa_group_segment_fixed_size 0
		.amdhsa_private_segment_fixed_size 0
		.amdhsa_kernarg_size 76
		.amdhsa_user_sgpr_count 6
		.amdhsa_user_sgpr_private_segment_buffer 1
		.amdhsa_user_sgpr_dispatch_ptr 0
		.amdhsa_user_sgpr_queue_ptr 0
		.amdhsa_user_sgpr_kernarg_segment_ptr 1
		.amdhsa_user_sgpr_dispatch_id 0
		.amdhsa_user_sgpr_flat_scratch_init 0
		.amdhsa_user_sgpr_private_segment_size 0
		.amdhsa_uses_dynamic_stack 0
		.amdhsa_system_sgpr_private_segment_wavefront_offset 0
		.amdhsa_system_sgpr_workgroup_id_x 1
		.amdhsa_system_sgpr_workgroup_id_y 0
		.amdhsa_system_sgpr_workgroup_id_z 0
		.amdhsa_system_sgpr_workgroup_info 0
		.amdhsa_system_vgpr_workitem_id 0
		.amdhsa_next_free_vgpr 1
		.amdhsa_next_free_sgpr 0
		.amdhsa_reserve_vcc 0
		.amdhsa_reserve_flat_scratch 0
		.amdhsa_float_round_mode_32 0
		.amdhsa_float_round_mode_16_64 0
		.amdhsa_float_denorm_mode_32 3
		.amdhsa_float_denorm_mode_16_64 3
		.amdhsa_dx10_clamp 1
		.amdhsa_ieee_mode 1
		.amdhsa_fp16_overflow 0
		.amdhsa_exception_fp_ieee_invalid_op 0
		.amdhsa_exception_fp_denorm_src 0
		.amdhsa_exception_fp_ieee_div_zero 0
		.amdhsa_exception_fp_ieee_overflow 0
		.amdhsa_exception_fp_ieee_underflow 0
		.amdhsa_exception_fp_ieee_inexact 0
		.amdhsa_exception_int_div_zero 0
	.end_amdhsa_kernel
	.section	.text._ZN7rocprim6detail20lookback_scan_kernelILNS0_25lookback_scan_determinismE0ELb0ENS0_19wrapped_scan_configINS_14default_configEiEEN6hipcub22TransformInputIteratorIiNS6_6CastOpIiEEPilEEPdNS6_3SumEiiNS0_19lookback_scan_stateIiLb1ELb1EEEEEvT2_T3_mT5_T4_T7_jPT6_SM_bb,"axG",@progbits,_ZN7rocprim6detail20lookback_scan_kernelILNS0_25lookback_scan_determinismE0ELb0ENS0_19wrapped_scan_configINS_14default_configEiEEN6hipcub22TransformInputIteratorIiNS6_6CastOpIiEEPilEEPdNS6_3SumEiiNS0_19lookback_scan_stateIiLb1ELb1EEEEEvT2_T3_mT5_T4_T7_jPT6_SM_bb,comdat
.Lfunc_end18:
	.size	_ZN7rocprim6detail20lookback_scan_kernelILNS0_25lookback_scan_determinismE0ELb0ENS0_19wrapped_scan_configINS_14default_configEiEEN6hipcub22TransformInputIteratorIiNS6_6CastOpIiEEPilEEPdNS6_3SumEiiNS0_19lookback_scan_stateIiLb1ELb1EEEEEvT2_T3_mT5_T4_T7_jPT6_SM_bb, .Lfunc_end18-_ZN7rocprim6detail20lookback_scan_kernelILNS0_25lookback_scan_determinismE0ELb0ENS0_19wrapped_scan_configINS_14default_configEiEEN6hipcub22TransformInputIteratorIiNS6_6CastOpIiEEPilEEPdNS6_3SumEiiNS0_19lookback_scan_stateIiLb1ELb1EEEEEvT2_T3_mT5_T4_T7_jPT6_SM_bb
                                        ; -- End function
	.set _ZN7rocprim6detail20lookback_scan_kernelILNS0_25lookback_scan_determinismE0ELb0ENS0_19wrapped_scan_configINS_14default_configEiEEN6hipcub22TransformInputIteratorIiNS6_6CastOpIiEEPilEEPdNS6_3SumEiiNS0_19lookback_scan_stateIiLb1ELb1EEEEEvT2_T3_mT5_T4_T7_jPT6_SM_bb.num_vgpr, 0
	.set _ZN7rocprim6detail20lookback_scan_kernelILNS0_25lookback_scan_determinismE0ELb0ENS0_19wrapped_scan_configINS_14default_configEiEEN6hipcub22TransformInputIteratorIiNS6_6CastOpIiEEPilEEPdNS6_3SumEiiNS0_19lookback_scan_stateIiLb1ELb1EEEEEvT2_T3_mT5_T4_T7_jPT6_SM_bb.num_agpr, 0
	.set _ZN7rocprim6detail20lookback_scan_kernelILNS0_25lookback_scan_determinismE0ELb0ENS0_19wrapped_scan_configINS_14default_configEiEEN6hipcub22TransformInputIteratorIiNS6_6CastOpIiEEPilEEPdNS6_3SumEiiNS0_19lookback_scan_stateIiLb1ELb1EEEEEvT2_T3_mT5_T4_T7_jPT6_SM_bb.numbered_sgpr, 0
	.set _ZN7rocprim6detail20lookback_scan_kernelILNS0_25lookback_scan_determinismE0ELb0ENS0_19wrapped_scan_configINS_14default_configEiEEN6hipcub22TransformInputIteratorIiNS6_6CastOpIiEEPilEEPdNS6_3SumEiiNS0_19lookback_scan_stateIiLb1ELb1EEEEEvT2_T3_mT5_T4_T7_jPT6_SM_bb.num_named_barrier, 0
	.set _ZN7rocprim6detail20lookback_scan_kernelILNS0_25lookback_scan_determinismE0ELb0ENS0_19wrapped_scan_configINS_14default_configEiEEN6hipcub22TransformInputIteratorIiNS6_6CastOpIiEEPilEEPdNS6_3SumEiiNS0_19lookback_scan_stateIiLb1ELb1EEEEEvT2_T3_mT5_T4_T7_jPT6_SM_bb.private_seg_size, 0
	.set _ZN7rocprim6detail20lookback_scan_kernelILNS0_25lookback_scan_determinismE0ELb0ENS0_19wrapped_scan_configINS_14default_configEiEEN6hipcub22TransformInputIteratorIiNS6_6CastOpIiEEPilEEPdNS6_3SumEiiNS0_19lookback_scan_stateIiLb1ELb1EEEEEvT2_T3_mT5_T4_T7_jPT6_SM_bb.uses_vcc, 0
	.set _ZN7rocprim6detail20lookback_scan_kernelILNS0_25lookback_scan_determinismE0ELb0ENS0_19wrapped_scan_configINS_14default_configEiEEN6hipcub22TransformInputIteratorIiNS6_6CastOpIiEEPilEEPdNS6_3SumEiiNS0_19lookback_scan_stateIiLb1ELb1EEEEEvT2_T3_mT5_T4_T7_jPT6_SM_bb.uses_flat_scratch, 0
	.set _ZN7rocprim6detail20lookback_scan_kernelILNS0_25lookback_scan_determinismE0ELb0ENS0_19wrapped_scan_configINS_14default_configEiEEN6hipcub22TransformInputIteratorIiNS6_6CastOpIiEEPilEEPdNS6_3SumEiiNS0_19lookback_scan_stateIiLb1ELb1EEEEEvT2_T3_mT5_T4_T7_jPT6_SM_bb.has_dyn_sized_stack, 0
	.set _ZN7rocprim6detail20lookback_scan_kernelILNS0_25lookback_scan_determinismE0ELb0ENS0_19wrapped_scan_configINS_14default_configEiEEN6hipcub22TransformInputIteratorIiNS6_6CastOpIiEEPilEEPdNS6_3SumEiiNS0_19lookback_scan_stateIiLb1ELb1EEEEEvT2_T3_mT5_T4_T7_jPT6_SM_bb.has_recursion, 0
	.set _ZN7rocprim6detail20lookback_scan_kernelILNS0_25lookback_scan_determinismE0ELb0ENS0_19wrapped_scan_configINS_14default_configEiEEN6hipcub22TransformInputIteratorIiNS6_6CastOpIiEEPilEEPdNS6_3SumEiiNS0_19lookback_scan_stateIiLb1ELb1EEEEEvT2_T3_mT5_T4_T7_jPT6_SM_bb.has_indirect_call, 0
	.section	.AMDGPU.csdata,"",@progbits
; Kernel info:
; codeLenInByte = 4
; TotalNumSgprs: 4
; NumVgprs: 0
; ScratchSize: 0
; MemoryBound: 0
; FloatMode: 240
; IeeeMode: 1
; LDSByteSize: 0 bytes/workgroup (compile time only)
; SGPRBlocks: 0
; VGPRBlocks: 0
; NumSGPRsForWavesPerEU: 4
; NumVGPRsForWavesPerEU: 1
; Occupancy: 10
; WaveLimiterHint : 0
; COMPUTE_PGM_RSRC2:SCRATCH_EN: 0
; COMPUTE_PGM_RSRC2:USER_SGPR: 6
; COMPUTE_PGM_RSRC2:TRAP_HANDLER: 0
; COMPUTE_PGM_RSRC2:TGID_X_EN: 1
; COMPUTE_PGM_RSRC2:TGID_Y_EN: 0
; COMPUTE_PGM_RSRC2:TGID_Z_EN: 0
; COMPUTE_PGM_RSRC2:TIDIG_COMP_CNT: 0
	.section	.text._ZN7rocprim6detail20lookback_scan_kernelILNS0_25lookback_scan_determinismE0ELb0ENS0_19wrapped_scan_configINS_14default_configEiEEN6hipcub22TransformInputIteratorIiNS6_6CastOpIiEEPilEEPdNS6_3SumEiiNS0_19lookback_scan_stateIiLb0ELb1EEEEEvT2_T3_mT5_T4_T7_jPT6_SM_bb,"axG",@progbits,_ZN7rocprim6detail20lookback_scan_kernelILNS0_25lookback_scan_determinismE0ELb0ENS0_19wrapped_scan_configINS_14default_configEiEEN6hipcub22TransformInputIteratorIiNS6_6CastOpIiEEPilEEPdNS6_3SumEiiNS0_19lookback_scan_stateIiLb0ELb1EEEEEvT2_T3_mT5_T4_T7_jPT6_SM_bb,comdat
	.protected	_ZN7rocprim6detail20lookback_scan_kernelILNS0_25lookback_scan_determinismE0ELb0ENS0_19wrapped_scan_configINS_14default_configEiEEN6hipcub22TransformInputIteratorIiNS6_6CastOpIiEEPilEEPdNS6_3SumEiiNS0_19lookback_scan_stateIiLb0ELb1EEEEEvT2_T3_mT5_T4_T7_jPT6_SM_bb ; -- Begin function _ZN7rocprim6detail20lookback_scan_kernelILNS0_25lookback_scan_determinismE0ELb0ENS0_19wrapped_scan_configINS_14default_configEiEEN6hipcub22TransformInputIteratorIiNS6_6CastOpIiEEPilEEPdNS6_3SumEiiNS0_19lookback_scan_stateIiLb0ELb1EEEEEvT2_T3_mT5_T4_T7_jPT6_SM_bb
	.globl	_ZN7rocprim6detail20lookback_scan_kernelILNS0_25lookback_scan_determinismE0ELb0ENS0_19wrapped_scan_configINS_14default_configEiEEN6hipcub22TransformInputIteratorIiNS6_6CastOpIiEEPilEEPdNS6_3SumEiiNS0_19lookback_scan_stateIiLb0ELb1EEEEEvT2_T3_mT5_T4_T7_jPT6_SM_bb
	.p2align	8
	.type	_ZN7rocprim6detail20lookback_scan_kernelILNS0_25lookback_scan_determinismE0ELb0ENS0_19wrapped_scan_configINS_14default_configEiEEN6hipcub22TransformInputIteratorIiNS6_6CastOpIiEEPilEEPdNS6_3SumEiiNS0_19lookback_scan_stateIiLb0ELb1EEEEEvT2_T3_mT5_T4_T7_jPT6_SM_bb,@function
_ZN7rocprim6detail20lookback_scan_kernelILNS0_25lookback_scan_determinismE0ELb0ENS0_19wrapped_scan_configINS_14default_configEiEEN6hipcub22TransformInputIteratorIiNS6_6CastOpIiEEPilEEPdNS6_3SumEiiNS0_19lookback_scan_stateIiLb0ELb1EEEEEvT2_T3_mT5_T4_T7_jPT6_SM_bb: ; @_ZN7rocprim6detail20lookback_scan_kernelILNS0_25lookback_scan_determinismE0ELb0ENS0_19wrapped_scan_configINS_14default_configEiEEN6hipcub22TransformInputIteratorIiNS6_6CastOpIiEEPilEEPdNS6_3SumEiiNS0_19lookback_scan_stateIiLb0ELb1EEEEEvT2_T3_mT5_T4_T7_jPT6_SM_bb
; %bb.0:
	s_load_dword s2, s[4:5], 0x30
	s_load_dwordx2 s[0:1], s[4:5], 0x0
	s_load_dwordx4 s[24:27], s[4:5], 0x10
	s_mul_i32 s28, s6, 0xf00
	s_mov_b32 s29, 0
	s_waitcnt lgkmcnt(0)
	s_add_i32 s2, s2, -1
	s_mul_i32 s3, s2, 0xf00
	s_sub_u32 s23, s26, s3
	s_subb_u32 s30, s27, 0
	s_cmp_lg_u32 s6, s2
	s_cselect_b64 s[26:27], -1, 0
	s_lshl_b64 s[2:3], s[28:29], 2
	s_add_u32 s2, s0, s2
	s_addc_u32 s3, s1, s3
	s_mov_b64 s[0:1], -1
	s_and_b64 vcc, exec, s[26:27]
	v_lshlrev_b32_e32 v31, 2, v0
	s_cbranch_vccz .LBB19_2
; %bb.1:
	v_mov_b32_e32 v1, s3
	v_add_co_u32_e32 v5, vcc, s2, v31
	v_addc_co_u32_e32 v6, vcc, 0, v1, vcc
	v_add_co_u32_e32 v1, vcc, 0x1000, v5
	v_addc_co_u32_e32 v2, vcc, 0, v6, vcc
	;; [unrolled: 2-line block ×3, first 2 shown]
	global_load_dword v7, v31, s[2:3]
	global_load_dword v8, v31, s[2:3] offset:1024
	global_load_dword v9, v31, s[2:3] offset:2048
	global_load_dword v10, v31, s[2:3] offset:3072
	global_load_dword v11, v[1:2], off
	global_load_dword v12, v[1:2], off offset:1024
	global_load_dword v13, v[1:2], off offset:2048
	;; [unrolled: 1-line block ×3, first 2 shown]
	global_load_dword v15, v[3:4], off
	global_load_dword v16, v[3:4], off offset:1024
	global_load_dword v17, v[3:4], off offset:2048
	global_load_dword v18, v[3:4], off offset:3072
	v_add_co_u32_e32 v1, vcc, 0x3000, v5
	v_addc_co_u32_e32 v2, vcc, 0, v6, vcc
	global_load_dword v3, v[1:2], off
	global_load_dword v4, v[1:2], off offset:1024
	global_load_dword v5, v[1:2], off offset:2048
	s_mov_b64 s[0:1], 0
	s_waitcnt vmcnt(13)
	ds_write2st64_b32 v31, v7, v8 offset1:4
	s_waitcnt vmcnt(11)
	ds_write2st64_b32 v31, v9, v10 offset0:8 offset1:12
	s_waitcnt vmcnt(9)
	ds_write2st64_b32 v31, v11, v12 offset0:16 offset1:20
	;; [unrolled: 2-line block ×6, first 2 shown]
	s_waitcnt vmcnt(0)
	ds_write_b32 v31, v5 offset:14336
	s_waitcnt lgkmcnt(0)
	s_barrier
.LBB19_2:
	s_andn2_b64 vcc, exec, s[0:1]
	v_cmp_gt_u32_e64 s[0:1], s23, v0
	s_cbranch_vccnz .LBB19_34
; %bb.3:
	s_load_dword s8, s[2:3], 0x0
	v_mov_b32_e32 v1, s3
	v_add_co_u32_e32 v17, vcc, s2, v31
	v_addc_co_u32_e32 v18, vcc, 0, v1, vcc
	s_waitcnt lgkmcnt(0)
	s_mov_b32 s9, s8
	s_mov_b32 s10, s8
	;; [unrolled: 1-line block ×14, first 2 shown]
	v_mov_b32_e32 v1, s8
	v_mov_b32_e32 v2, s9
	;; [unrolled: 1-line block ×16, first 2 shown]
	s_and_saveexec_b64 s[2:3], s[0:1]
	s_cbranch_execz .LBB19_5
; %bb.4:
	global_load_dword v1, v[17:18], off
	v_mov_b32_e32 v2, s8
	v_mov_b32_e32 v3, s8
	;; [unrolled: 1-line block ×14, first 2 shown]
.LBB19_5:
	s_or_b64 exec, exec, s[2:3]
	v_or_b32_e32 v16, 0x100, v0
	v_cmp_gt_u32_e32 vcc, s23, v16
	s_and_saveexec_b64 s[0:1], vcc
	s_cbranch_execz .LBB19_7
; %bb.6:
	global_load_dword v2, v[17:18], off offset:1024
.LBB19_7:
	s_or_b64 exec, exec, s[0:1]
	v_or_b32_e32 v16, 0x200, v0
	v_cmp_gt_u32_e32 vcc, s23, v16
	s_and_saveexec_b64 s[0:1], vcc
	s_cbranch_execz .LBB19_9
; %bb.8:
	global_load_dword v3, v[17:18], off offset:2048
.LBB19_9:
	;; [unrolled: 8-line block ×3, first 2 shown]
	s_or_b64 exec, exec, s[0:1]
	v_or_b32_e32 v16, 0x400, v0
	v_cmp_gt_u32_e32 vcc, s23, v16
	s_and_saveexec_b64 s[0:1], vcc
	s_cbranch_execz .LBB19_13
; %bb.12:
	v_add_co_u32_e32 v19, vcc, 0x1000, v17
	v_addc_co_u32_e32 v20, vcc, 0, v18, vcc
	global_load_dword v5, v[19:20], off
.LBB19_13:
	s_or_b64 exec, exec, s[0:1]
	v_or_b32_e32 v16, 0x500, v0
	v_cmp_gt_u32_e32 vcc, s23, v16
	s_and_saveexec_b64 s[0:1], vcc
	s_cbranch_execz .LBB19_15
; %bb.14:
	v_add_co_u32_e32 v19, vcc, 0x1000, v17
	v_addc_co_u32_e32 v20, vcc, 0, v18, vcc
	global_load_dword v6, v[19:20], off offset:1024
.LBB19_15:
	s_or_b64 exec, exec, s[0:1]
	v_or_b32_e32 v16, 0x600, v0
	v_cmp_gt_u32_e32 vcc, s23, v16
	s_and_saveexec_b64 s[0:1], vcc
	s_cbranch_execz .LBB19_17
; %bb.16:
	v_add_co_u32_e32 v19, vcc, 0x1000, v17
	v_addc_co_u32_e32 v20, vcc, 0, v18, vcc
	global_load_dword v7, v[19:20], off offset:2048
.LBB19_17:
	;; [unrolled: 10-line block ×3, first 2 shown]
	s_or_b64 exec, exec, s[0:1]
	v_or_b32_e32 v16, 0x800, v0
	v_cmp_gt_u32_e32 vcc, s23, v16
	s_and_saveexec_b64 s[0:1], vcc
	s_cbranch_execz .LBB19_21
; %bb.20:
	v_add_co_u32_e32 v19, vcc, 0x2000, v17
	v_addc_co_u32_e32 v20, vcc, 0, v18, vcc
	global_load_dword v9, v[19:20], off
.LBB19_21:
	s_or_b64 exec, exec, s[0:1]
	v_or_b32_e32 v16, 0x900, v0
	v_cmp_gt_u32_e32 vcc, s23, v16
	s_and_saveexec_b64 s[0:1], vcc
	s_cbranch_execz .LBB19_23
; %bb.22:
	v_add_co_u32_e32 v19, vcc, 0x2000, v17
	v_addc_co_u32_e32 v20, vcc, 0, v18, vcc
	global_load_dword v10, v[19:20], off offset:1024
.LBB19_23:
	s_or_b64 exec, exec, s[0:1]
	v_or_b32_e32 v16, 0xa00, v0
	v_cmp_gt_u32_e32 vcc, s23, v16
	s_and_saveexec_b64 s[0:1], vcc
	s_cbranch_execz .LBB19_25
; %bb.24:
	v_add_co_u32_e32 v19, vcc, 0x2000, v17
	v_addc_co_u32_e32 v20, vcc, 0, v18, vcc
	global_load_dword v11, v[19:20], off offset:2048
.LBB19_25:
	;; [unrolled: 10-line block ×3, first 2 shown]
	s_or_b64 exec, exec, s[0:1]
	v_or_b32_e32 v16, 0xc00, v0
	v_cmp_gt_u32_e32 vcc, s23, v16
	s_and_saveexec_b64 s[0:1], vcc
	s_cbranch_execz .LBB19_29
; %bb.28:
	v_add_co_u32_e32 v19, vcc, 0x3000, v17
	v_addc_co_u32_e32 v20, vcc, 0, v18, vcc
	global_load_dword v13, v[19:20], off
.LBB19_29:
	s_or_b64 exec, exec, s[0:1]
	v_or_b32_e32 v16, 0xd00, v0
	v_cmp_gt_u32_e32 vcc, s23, v16
	s_and_saveexec_b64 s[0:1], vcc
	s_cbranch_execz .LBB19_31
; %bb.30:
	v_add_co_u32_e32 v19, vcc, 0x3000, v17
	v_addc_co_u32_e32 v20, vcc, 0, v18, vcc
	global_load_dword v14, v[19:20], off offset:1024
.LBB19_31:
	s_or_b64 exec, exec, s[0:1]
	v_or_b32_e32 v16, 0xe00, v0
	v_cmp_gt_u32_e32 vcc, s23, v16
	s_and_saveexec_b64 s[0:1], vcc
	s_cbranch_execz .LBB19_33
; %bb.32:
	v_add_co_u32_e32 v15, vcc, 0x3000, v17
	v_addc_co_u32_e32 v16, vcc, 0, v18, vcc
	global_load_dword v15, v[15:16], off offset:2048
.LBB19_33:
	s_or_b64 exec, exec, s[0:1]
	s_waitcnt vmcnt(0)
	ds_write2st64_b32 v31, v1, v2 offset1:4
	ds_write2st64_b32 v31, v3, v4 offset0:8 offset1:12
	ds_write2st64_b32 v31, v5, v6 offset0:16 offset1:20
	;; [unrolled: 1-line block ×6, first 2 shown]
	ds_write_b32 v31, v15 offset:14336
	s_waitcnt lgkmcnt(0)
	s_barrier
.LBB19_34:
	v_mul_u32_u24_e32 v32, 60, v0
	ds_read2_b32 v[1:2], v32 offset1:1
	ds_read2_b32 v[29:30], v32 offset0:2 offset1:3
	ds_read2_b32 v[27:28], v32 offset0:4 offset1:5
	;; [unrolled: 1-line block ×6, first 2 shown]
	ds_read_b32 v33, v32 offset:56
	s_load_dwordx2 s[12:13], s[4:5], 0x28
	s_cmp_lg_u32 s6, 0
	v_lshrrev_b32_e32 v34, 3, v0
	v_cmp_gt_u32_e32 vcc, 64, v0
	s_waitcnt lgkmcnt(0)
	s_barrier
	s_cbranch_scc0 .LBB19_54
; %bb.35:
	v_add3_u32 v3, v2, v1, v29
	v_add3_u32 v3, v3, v30, v27
	;; [unrolled: 1-line block ×6, first 2 shown]
	v_and_b32_e32 v4, 28, v34
	v_add3_u32 v3, v3, v20, v33
	v_lshl_add_u32 v4, v0, 2, v4
	ds_write_b32 v4, v3
	s_waitcnt lgkmcnt(0)
	s_barrier
	s_and_saveexec_b64 s[2:3], vcc
	s_cbranch_execz .LBB19_37
; %bb.36:
	v_lshrrev_b32_e32 v4, 1, v0
	v_and_b32_e32 v4, 0x7c, v4
	v_lshl_add_u32 v8, v0, 4, v4
	ds_read2_b32 v[4:5], v8 offset1:1
	ds_read2_b32 v[6:7], v8 offset0:2 offset1:3
	v_mbcnt_lo_u32_b32 v9, -1, 0
	v_mbcnt_hi_u32_b32 v9, -1, v9
	v_and_b32_e32 v10, 15, v9
	s_waitcnt lgkmcnt(1)
	v_add_u32_e32 v11, v5, v4
	s_waitcnt lgkmcnt(0)
	v_add3_u32 v11, v11, v6, v7
	v_cmp_ne_u32_e64 s[0:1], 0, v10
	s_nop 0
	v_mov_b32_dpp v12, v11 row_shr:1 row_mask:0xf bank_mask:0xf
	v_cndmask_b32_e64 v12, 0, v12, s[0:1]
	v_add_u32_e32 v11, v12, v11
	v_cmp_lt_u32_e64 s[0:1], 1, v10
	s_nop 0
	v_mov_b32_dpp v12, v11 row_shr:2 row_mask:0xf bank_mask:0xf
	v_cndmask_b32_e64 v12, 0, v12, s[0:1]
	v_add_u32_e32 v11, v11, v12
	v_cmp_lt_u32_e64 s[0:1], 3, v10
	;; [unrolled: 5-line block ×3, first 2 shown]
	s_nop 0
	v_mov_b32_dpp v12, v11 row_shr:8 row_mask:0xf bank_mask:0xf
	v_cndmask_b32_e64 v10, 0, v12, s[0:1]
	v_add_u32_e32 v10, v11, v10
	v_bfe_i32 v12, v9, 4, 1
	v_cmp_lt_u32_e64 s[0:1], 31, v9
	v_mov_b32_dpp v11, v10 row_bcast:15 row_mask:0xf bank_mask:0xf
	v_and_b32_e32 v11, v12, v11
	v_add_u32_e32 v10, v10, v11
	v_and_b32_e32 v12, 64, v9
	s_nop 0
	v_mov_b32_dpp v11, v10 row_bcast:31 row_mask:0xf bank_mask:0xf
	v_cndmask_b32_e64 v11, 0, v11, s[0:1]
	v_add_u32_e32 v10, v10, v11
	v_add_u32_e32 v11, -1, v9
	v_cmp_lt_i32_e64 s[0:1], v11, v12
	v_cndmask_b32_e64 v9, v11, v9, s[0:1]
	v_lshlrev_b32_e32 v9, 2, v9
	ds_bpermute_b32 v9, v9, v10
	v_cmp_eq_u32_e64 s[0:1], 0, v0
	s_waitcnt lgkmcnt(0)
	v_add_u32_e32 v4, v9, v4
	v_cndmask_b32_e64 v3, v4, v3, s[0:1]
	v_add_u32_e32 v4, v3, v5
	ds_write2_b32 v8, v3, v4 offset1:1
	v_add_u32_e32 v3, v4, v6
	v_add_u32_e32 v4, v3, v7
	ds_write2_b32 v8, v3, v4 offset0:2 offset1:3
.LBB19_37:
	s_or_b64 exec, exec, s[2:3]
	v_mov_b32_e32 v12, 0
	v_cmp_eq_u32_e64 s[0:1], 0, v0
	v_cmp_ne_u32_e64 s[2:3], 0, v0
	s_waitcnt lgkmcnt(0)
	s_barrier
	s_and_saveexec_b64 s[8:9], s[2:3]
; %bb.38:
	v_add_u32_e32 v3, -1, v0
	v_lshrrev_b32_e32 v4, 3, v3
	v_and_b32_e32 v4, 0x1ffffffc, v4
	v_lshl_add_u32 v3, v3, 2, v4
	ds_read_b32 v12, v3
; %bb.39:
	s_or_b64 exec, exec, s[8:9]
	s_and_saveexec_b64 s[8:9], vcc
	s_cbranch_execz .LBB19_59
; %bb.40:
	v_mov_b32_e32 v8, 0
	ds_read_b32 v3, v8 offset:1048
	v_mbcnt_lo_u32_b32 v4, -1, 0
	v_mbcnt_hi_u32_b32 v5, -1, v4
	s_mov_b32 s15, 0
	v_cmp_eq_u32_e64 s[2:3], 0, v5
	s_and_saveexec_b64 s[10:11], s[2:3]
	s_cbranch_execz .LBB19_42
; %bb.41:
	s_add_i32 s14, s6, 64
	s_lshl_b64 s[14:15], s[14:15], 3
	s_add_u32 s14, s12, s14
	v_mov_b32_e32 v4, 1
	s_addc_u32 s15, s13, s15
	s_waitcnt lgkmcnt(0)
	global_store_dwordx2 v8, v[3:4], s[14:15]
.LBB19_42:
	s_or_b64 exec, exec, s[10:11]
	v_xad_u32 v4, v5, -1, s6
	v_add_u32_e32 v7, 64, v4
	v_lshlrev_b64 v[6:7], 3, v[7:8]
	v_mov_b32_e32 v10, s13
	v_add_co_u32_e32 v9, vcc, s12, v6
	v_addc_co_u32_e32 v10, vcc, v10, v7, vcc
	global_load_dwordx2 v[6:7], v[9:10], off glc
	s_waitcnt vmcnt(0)
	v_cmp_eq_u16_sdwa s[14:15], v7, v8 src0_sel:BYTE_0 src1_sel:DWORD
	s_and_saveexec_b64 s[10:11], s[14:15]
	s_cbranch_execz .LBB19_46
; %bb.43:
	s_mov_b64 s[14:15], 0
	v_mov_b32_e32 v8, 0
.LBB19_44:                              ; =>This Inner Loop Header: Depth=1
	global_load_dwordx2 v[6:7], v[9:10], off glc
	s_waitcnt vmcnt(0)
	v_cmp_ne_u16_sdwa s[16:17], v7, v8 src0_sel:BYTE_0 src1_sel:DWORD
	s_or_b64 s[14:15], s[16:17], s[14:15]
	s_andn2_b64 exec, exec, s[14:15]
	s_cbranch_execnz .LBB19_44
; %bb.45:
	s_or_b64 exec, exec, s[14:15]
.LBB19_46:
	s_or_b64 exec, exec, s[10:11]
	v_and_b32_e32 v36, 63, v5
	v_mov_b32_e32 v13, 2
	v_lshlrev_b64 v[8:9], v5, -1
	v_cmp_ne_u32_e32 vcc, 63, v36
	v_cmp_eq_u16_sdwa s[10:11], v7, v13 src0_sel:BYTE_0 src1_sel:DWORD
	v_addc_co_u32_e32 v14, vcc, 0, v5, vcc
	v_and_b32_e32 v10, s11, v9
	v_lshlrev_b32_e32 v14, 2, v14
	v_or_b32_e32 v10, 0x80000000, v10
	ds_bpermute_b32 v16, v14, v6
	v_and_b32_e32 v11, s10, v8
	v_ffbl_b32_e32 v10, v10
	v_add_u32_e32 v10, 32, v10
	v_ffbl_b32_e32 v11, v11
	v_min_u32_e32 v10, v11, v10
	v_add_u32_e32 v15, 1, v5
	v_cmp_le_u32_e32 vcc, v15, v10
	s_waitcnt lgkmcnt(0)
	v_cndmask_b32_e32 v11, 0, v16, vcc
	v_cmp_gt_u32_e32 vcc, 62, v36
	v_add_u32_e32 v6, v11, v6
	v_cndmask_b32_e64 v11, 0, 2, vcc
	v_add_lshl_u32 v16, v11, v5, 2
	ds_bpermute_b32 v11, v16, v6
	v_add_u32_e32 v17, 2, v5
	v_cmp_le_u32_e32 vcc, v17, v10
	v_add_u32_e32 v35, 4, v5
	v_add_u32_e32 v38, 8, v5
	s_waitcnt lgkmcnt(0)
	v_cndmask_b32_e32 v11, 0, v11, vcc
	v_cmp_gt_u32_e32 vcc, 60, v36
	v_add_u32_e32 v6, v6, v11
	v_cndmask_b32_e64 v11, 0, 4, vcc
	v_add_lshl_u32 v18, v11, v5, 2
	ds_bpermute_b32 v11, v18, v6
	v_cmp_le_u32_e32 vcc, v35, v10
	v_add_u32_e32 v40, 16, v5
	v_add_u32_e32 v42, 32, v5
	s_waitcnt lgkmcnt(0)
	v_cndmask_b32_e32 v11, 0, v11, vcc
	v_cmp_gt_u32_e32 vcc, 56, v36
	v_add_u32_e32 v6, v6, v11
	v_cndmask_b32_e64 v11, 0, 8, vcc
	v_add_lshl_u32 v37, v11, v5, 2
	ds_bpermute_b32 v11, v37, v6
	v_cmp_le_u32_e32 vcc, v38, v10
	s_waitcnt lgkmcnt(0)
	v_cndmask_b32_e32 v11, 0, v11, vcc
	v_cmp_gt_u32_e32 vcc, 48, v36
	v_add_u32_e32 v6, v6, v11
	v_cndmask_b32_e64 v11, 0, 16, vcc
	v_add_lshl_u32 v39, v11, v5, 2
	ds_bpermute_b32 v11, v39, v6
	v_cmp_le_u32_e32 vcc, v40, v10
	s_waitcnt lgkmcnt(0)
	v_cndmask_b32_e32 v11, 0, v11, vcc
	v_add_u32_e32 v6, v6, v11
	v_mov_b32_e32 v11, 0x80
	v_lshl_or_b32 v41, v5, 2, v11
	ds_bpermute_b32 v11, v41, v6
	v_cmp_le_u32_e32 vcc, v42, v10
	s_waitcnt lgkmcnt(0)
	v_cndmask_b32_e32 v5, 0, v11, vcc
	v_add_u32_e32 v6, v6, v5
	v_mov_b32_e32 v5, 0
	s_branch .LBB19_50
.LBB19_47:                              ;   in Loop: Header=BB19_50 Depth=1
	s_or_b64 exec, exec, s[14:15]
.LBB19_48:                              ;   in Loop: Header=BB19_50 Depth=1
	s_or_b64 exec, exec, s[10:11]
	v_cmp_eq_u16_sdwa s[10:11], v7, v13 src0_sel:BYTE_0 src1_sel:DWORD
	v_and_b32_e32 v10, s11, v9
	v_or_b32_e32 v10, 0x80000000, v10
	ds_bpermute_b32 v43, v14, v6
	v_and_b32_e32 v11, s10, v8
	v_ffbl_b32_e32 v10, v10
	v_add_u32_e32 v10, 32, v10
	v_ffbl_b32_e32 v11, v11
	v_min_u32_e32 v10, v11, v10
	v_cmp_le_u32_e32 vcc, v15, v10
	s_waitcnt lgkmcnt(0)
	v_cndmask_b32_e32 v11, 0, v43, vcc
	v_add_u32_e32 v6, v11, v6
	ds_bpermute_b32 v11, v16, v6
	v_cmp_le_u32_e32 vcc, v17, v10
	v_subrev_u32_e32 v4, 64, v4
	s_mov_b64 s[10:11], 0
	s_waitcnt lgkmcnt(0)
	v_cndmask_b32_e32 v11, 0, v11, vcc
	v_add_u32_e32 v6, v6, v11
	ds_bpermute_b32 v11, v18, v6
	v_cmp_le_u32_e32 vcc, v35, v10
	s_waitcnt lgkmcnt(0)
	v_cndmask_b32_e32 v11, 0, v11, vcc
	v_add_u32_e32 v6, v6, v11
	ds_bpermute_b32 v11, v37, v6
	v_cmp_le_u32_e32 vcc, v38, v10
	;; [unrolled: 5-line block ×4, first 2 shown]
	s_waitcnt lgkmcnt(0)
	v_cndmask_b32_e32 v10, 0, v11, vcc
	v_add3_u32 v6, v10, v36, v6
.LBB19_49:                              ;   in Loop: Header=BB19_50 Depth=1
	s_and_b64 vcc, exec, s[10:11]
	s_cbranch_vccnz .LBB19_55
.LBB19_50:                              ; =>This Loop Header: Depth=1
                                        ;     Child Loop BB19_53 Depth 2
	v_cmp_ne_u16_sdwa s[10:11], v7, v13 src0_sel:BYTE_0 src1_sel:DWORD
	v_mov_b32_e32 v36, v6
	s_cmp_lg_u64 s[10:11], exec
	s_mov_b64 s[10:11], -1
                                        ; implicit-def: $vgpr6
                                        ; implicit-def: $vgpr7
	s_cbranch_scc1 .LBB19_49
; %bb.51:                               ;   in Loop: Header=BB19_50 Depth=1
	v_lshlrev_b64 v[6:7], 3, v[4:5]
	v_mov_b32_e32 v11, s13
	v_add_co_u32_e32 v10, vcc, s12, v6
	v_addc_co_u32_e32 v11, vcc, v11, v7, vcc
	global_load_dwordx2 v[6:7], v[10:11], off glc
	s_waitcnt vmcnt(0)
	v_cmp_eq_u16_sdwa s[14:15], v7, v5 src0_sel:BYTE_0 src1_sel:DWORD
	s_and_saveexec_b64 s[10:11], s[14:15]
	s_cbranch_execz .LBB19_48
; %bb.52:                               ;   in Loop: Header=BB19_50 Depth=1
	s_mov_b64 s[14:15], 0
.LBB19_53:                              ;   Parent Loop BB19_50 Depth=1
                                        ; =>  This Inner Loop Header: Depth=2
	global_load_dwordx2 v[6:7], v[10:11], off glc
	s_waitcnt vmcnt(0)
	v_cmp_ne_u16_sdwa s[16:17], v7, v5 src0_sel:BYTE_0 src1_sel:DWORD
	s_or_b64 s[14:15], s[16:17], s[14:15]
	s_andn2_b64 exec, exec, s[14:15]
	s_cbranch_execnz .LBB19_53
	s_branch .LBB19_47
.LBB19_54:
                                        ; implicit-def: $vgpr3_vgpr4_vgpr5_vgpr6_vgpr7_vgpr8_vgpr9_vgpr10_vgpr11_vgpr12_vgpr13_vgpr14_vgpr15_vgpr16_vgpr17_vgpr18
	s_load_dwordx4 s[8:11], s[4:5], 0x38
	s_cbranch_execnz .LBB19_60
	s_branch .LBB19_69
.LBB19_55:
	s_and_saveexec_b64 s[10:11], s[2:3]
	s_cbranch_execz .LBB19_57
; %bb.56:
	s_add_i32 s2, s6, 64
	s_mov_b32 s3, 0
	s_lshl_b64 s[2:3], s[2:3], 3
	s_add_u32 s2, s12, s2
	v_add_u32_e32 v3, v36, v3
	v_mov_b32_e32 v4, 2
	s_addc_u32 s3, s13, s3
	v_mov_b32_e32 v5, 0
	global_store_dwordx2 v5, v[3:4], s[2:3]
.LBB19_57:
	s_or_b64 exec, exec, s[10:11]
	s_and_b64 exec, exec, s[0:1]
; %bb.58:
	v_mov_b32_e32 v3, 0
	ds_write_b32 v3, v36
.LBB19_59:
	s_or_b64 exec, exec, s[8:9]
	v_mov_b32_e32 v3, 0
	s_waitcnt vmcnt(0) lgkmcnt(0)
	s_barrier
	ds_read_b32 v3, v3
	s_waitcnt lgkmcnt(0)
	v_add3_u32 v3, v12, v1, v3
	v_add_u32_e32 v4, v3, v2
	v_add_u32_e32 v5, v4, v29
	;; [unrolled: 1-line block ×14, first 2 shown]
	s_load_dwordx4 s[8:11], s[4:5], 0x38
	s_branch .LBB19_69
.LBB19_60:
	s_load_dword s2, s[4:5], 0x48
	v_cmp_eq_u32_e32 vcc, 0, v0
	v_cmp_ne_u32_e64 s[0:1], 0, v0
	s_waitcnt lgkmcnt(0)
	s_bitcmp1_b32 s2, 0
	s_cselect_b64 s[2:3], -1, 0
	s_and_b64 s[6:7], vcc, s[2:3]
	s_and_saveexec_b64 s[2:3], s[6:7]
	s_cbranch_execz .LBB19_62
; %bb.61:
	v_mov_b32_e32 v3, 0
	global_load_dword v3, v3, s[8:9]
	s_waitcnt vmcnt(0)
	v_add_u32_e32 v1, v3, v1
.LBB19_62:
	s_or_b64 exec, exec, s[2:3]
	v_add_u32_e32 v16, v2, v1
	v_add_u32_e32 v3, v16, v29
	;; [unrolled: 1-line block ×13, first 2 shown]
	v_and_b32_e32 v17, 28, v34
	v_add_u32_e32 v15, v14, v33
	v_lshl_add_u32 v17, v0, 2, v17
	v_cmp_gt_u32_e64 s[2:3], 64, v0
	ds_write_b32 v17, v15
	s_waitcnt lgkmcnt(0)
	s_barrier
	s_and_saveexec_b64 s[6:7], s[2:3]
	s_cbranch_execz .LBB19_64
; %bb.63:
	v_lshrrev_b32_e32 v17, 1, v0
	v_and_b32_e32 v17, 0x7c, v17
	v_lshl_add_u32 v36, v0, 4, v17
	ds_read2_b32 v[17:18], v36 offset1:1
	ds_read2_b32 v[34:35], v36 offset0:2 offset1:3
	v_mbcnt_lo_u32_b32 v37, -1, 0
	v_mbcnt_hi_u32_b32 v37, -1, v37
	v_and_b32_e32 v38, 15, v37
	s_waitcnt lgkmcnt(1)
	v_add_u32_e32 v39, v18, v17
	s_waitcnt lgkmcnt(0)
	v_add3_u32 v39, v39, v34, v35
	v_cmp_ne_u32_e64 s[2:3], 0, v38
	s_nop 0
	v_mov_b32_dpp v40, v39 row_shr:1 row_mask:0xf bank_mask:0xf
	v_cndmask_b32_e64 v40, 0, v40, s[2:3]
	v_add_u32_e32 v39, v40, v39
	v_cmp_lt_u32_e64 s[2:3], 1, v38
	s_nop 0
	v_mov_b32_dpp v40, v39 row_shr:2 row_mask:0xf bank_mask:0xf
	v_cndmask_b32_e64 v40, 0, v40, s[2:3]
	v_add_u32_e32 v39, v39, v40
	v_cmp_lt_u32_e64 s[2:3], 3, v38
	;; [unrolled: 5-line block ×3, first 2 shown]
	s_nop 0
	v_mov_b32_dpp v40, v39 row_shr:8 row_mask:0xf bank_mask:0xf
	v_cndmask_b32_e64 v38, 0, v40, s[2:3]
	v_add_u32_e32 v38, v39, v38
	v_bfe_i32 v40, v37, 4, 1
	v_cmp_lt_u32_e64 s[2:3], 31, v37
	v_mov_b32_dpp v39, v38 row_bcast:15 row_mask:0xf bank_mask:0xf
	v_and_b32_e32 v39, v40, v39
	v_add_u32_e32 v38, v38, v39
	v_and_b32_e32 v40, 64, v37
	s_nop 0
	v_mov_b32_dpp v39, v38 row_bcast:31 row_mask:0xf bank_mask:0xf
	v_cndmask_b32_e64 v39, 0, v39, s[2:3]
	v_add_u32_e32 v38, v38, v39
	v_add_u32_e32 v39, -1, v37
	v_cmp_lt_i32_e64 s[2:3], v39, v40
	v_cndmask_b32_e64 v37, v39, v37, s[2:3]
	v_lshlrev_b32_e32 v37, 2, v37
	ds_bpermute_b32 v37, v37, v38
	s_waitcnt lgkmcnt(0)
	v_add_u32_e32 v17, v37, v17
	v_cndmask_b32_e32 v17, v17, v15, vcc
	v_add_u32_e32 v18, v17, v18
	ds_write2_b32 v36, v17, v18 offset1:1
	v_add_u32_e32 v17, v18, v34
	v_add_u32_e32 v18, v17, v35
	ds_write2_b32 v36, v17, v18 offset0:2 offset1:3
.LBB19_64:
	s_or_b64 exec, exec, s[6:7]
	s_waitcnt lgkmcnt(0)
	s_barrier
	s_and_saveexec_b64 s[2:3], s[0:1]
	s_cbranch_execz .LBB19_66
; %bb.65:
	v_add_u32_e32 v3, -1, v0
	v_lshrrev_b32_e32 v4, 3, v3
	v_and_b32_e32 v4, 0x1ffffffc, v4
	v_lshl_add_u32 v3, v3, 2, v4
	ds_read_b32 v3, v3
	s_waitcnt lgkmcnt(0)
	v_add_u32_e32 v1, v3, v1
	v_add_u32_e32 v16, v1, v2
	;; [unrolled: 1-line block ×15, first 2 shown]
.LBB19_66:
	s_or_b64 exec, exec, s[2:3]
	s_and_saveexec_b64 s[0:1], vcc
	s_cbranch_execz .LBB19_68
; %bb.67:
	v_mov_b32_e32 v2, 0
	ds_read_b32 v17, v2 offset:1048
	v_mov_b32_e32 v18, 2
	s_waitcnt lgkmcnt(0)
	global_store_dwordx2 v2, v[17:18], s[12:13] offset:512
.LBB19_68:
	s_or_b64 exec, exec, s[0:1]
	v_mov_b32_e32 v2, v16
	v_mov_b32_e32 v18, v16
	v_mov_b32_e32 v17, v15
	v_mov_b32_e32 v16, v14
	v_mov_b32_e32 v15, v13
	v_mov_b32_e32 v14, v12
	v_mov_b32_e32 v13, v11
	v_mov_b32_e32 v12, v10
	v_mov_b32_e32 v11, v9
	v_mov_b32_e32 v10, v8
	v_mov_b32_e32 v9, v7
	v_mov_b32_e32 v8, v6
	v_mov_b32_e32 v7, v5
	v_mov_b32_e32 v6, v4
	v_mov_b32_e32 v5, v3
	v_mov_b32_e32 v4, v2
	v_mov_b32_e32 v3, v1
.LBB19_69:
	s_lshl_b64 s[0:1], s[28:29], 3
	s_add_u32 s0, s24, s0
	s_addc_u32 s1, s25, s1
	s_mov_b64 s[2:3], -1
	s_and_b64 vcc, exec, s[26:27]
	v_lshlrev_b32_e32 v19, 3, v0
	s_waitcnt vmcnt(0) lgkmcnt(0)
	s_barrier
	s_cbranch_vccz .LBB19_71
; %bb.70:
	ds_write2_b32 v32, v3, v4 offset1:1
	ds_write2_b32 v32, v5, v6 offset0:2 offset1:3
	ds_write2_b32 v32, v7, v8 offset0:4 offset1:5
	;; [unrolled: 1-line block ×6, first 2 shown]
	ds_write_b32 v32, v17 offset:56
	s_waitcnt lgkmcnt(0)
	s_barrier
	ds_read2st64_b32 v[1:2], v31 offset1:4
	ds_read2st64_b32 v[20:21], v31 offset0:8 offset1:12
	ds_read2st64_b32 v[22:23], v31 offset0:16 offset1:20
	;; [unrolled: 1-line block ×6, first 2 shown]
	ds_read_b32 v18, v31 offset:14336
	s_waitcnt lgkmcnt(7)
	v_cvt_f64_i32_e32 v[35:36], v1
	v_cvt_f64_i32_e32 v[1:2], v2
	v_mov_b32_e32 v30, s1
	v_add_co_u32_e32 v41, vcc, s0, v19
	v_addc_co_u32_e32 v30, vcc, 0, v30, vcc
	s_movk_i32 s2, 0x1000
	global_store_dwordx2 v19, v[35:36], s[0:1]
	global_store_dwordx2 v19, v[1:2], s[0:1] offset:2048
	s_waitcnt lgkmcnt(6)
	v_cvt_f64_i32_e32 v[1:2], v20
	v_add_co_u32_e32 v35, vcc, s2, v41
	v_addc_co_u32_e32 v36, vcc, 0, v30, vcc
	s_movk_i32 s2, 0x2000
	v_cvt_f64_i32_e32 v[20:21], v21
	v_add_co_u32_e32 v37, vcc, s2, v41
	s_waitcnt lgkmcnt(5)
	v_cvt_f64_i32_e32 v[39:40], v22
	v_addc_co_u32_e32 v38, vcc, 0, v30, vcc
	v_cvt_f64_i32_e32 v[22:23], v23
	s_movk_i32 s2, 0x3000
	global_store_dwordx2 v[37:38], v[1:2], off offset:-4096
	global_store_dwordx2 v[35:36], v[20:21], off offset:2048
	global_store_dwordx2 v[37:38], v[39:40], off
	global_store_dwordx2 v[37:38], v[22:23], off offset:2048
	s_waitcnt lgkmcnt(4)
	v_cvt_f64_i32_e32 v[1:2], v24
	v_add_co_u32_e32 v20, vcc, s2, v41
	v_addc_co_u32_e32 v21, vcc, 0, v30, vcc
	s_movk_i32 s2, 0x4000
	v_cvt_f64_i32_e32 v[24:25], v25
	v_add_co_u32_e32 v22, vcc, s2, v41
	s_waitcnt lgkmcnt(3)
	v_cvt_f64_i32_e32 v[35:36], v26
	v_addc_co_u32_e32 v23, vcc, 0, v30, vcc
	v_cvt_f64_i32_e32 v[26:27], v27
	global_store_dwordx2 v[22:23], v[1:2], off offset:-4096
	global_store_dwordx2 v[20:21], v[24:25], off offset:2048
	global_store_dwordx2 v[22:23], v[35:36], off
	global_store_dwordx2 v[22:23], v[26:27], off offset:2048
	s_waitcnt lgkmcnt(2)
	v_cvt_f64_i32_e32 v[1:2], v28
	s_movk_i32 s2, 0x5000
	v_cvt_f64_i32_e32 v[22:23], v29
	v_add_co_u32_e32 v20, vcc, s2, v41
	v_addc_co_u32_e32 v21, vcc, 0, v30, vcc
	global_store_dwordx2 v[20:21], v[1:2], off
	global_store_dwordx2 v[20:21], v[22:23], off offset:2048
	s_waitcnt lgkmcnt(1)
	v_cvt_f64_i32_e32 v[1:2], v33
	v_cvt_f64_i32_e32 v[22:23], v34
	v_add_co_u32_e32 v20, vcc, 0x6000, v41
	v_addc_co_u32_e32 v21, vcc, 0, v30, vcc
	global_store_dwordx2 v[20:21], v[1:2], off
	global_store_dwordx2 v[20:21], v[22:23], off offset:2048
	s_waitcnt lgkmcnt(0)
	v_cvt_f64_i32_e32 v[1:2], v18
	v_add_co_u32_e32 v20, vcc, 0x7000, v41
	v_addc_co_u32_e32 v21, vcc, 0, v30, vcc
	global_store_dwordx2 v[20:21], v[1:2], off
	s_mov_b64 s[2:3], 0
.LBB19_71:
	s_andn2_b64 vcc, exec, s[2:3]
	s_cbranch_vccnz .LBB19_157
; %bb.72:
	ds_write2_b32 v32, v3, v4 offset1:1
	ds_write2_b32 v32, v5, v6 offset0:2 offset1:3
	ds_write2_b32 v32, v7, v8 offset0:4 offset1:5
	;; [unrolled: 1-line block ×6, first 2 shown]
	ds_write_b32 v32, v17 offset:56
	s_waitcnt vmcnt(0) lgkmcnt(0)
	s_barrier
	ds_read2st64_b32 v[4:5], v31 offset1:4
	ds_read2st64_b32 v[8:9], v31 offset0:8 offset1:12
	ds_read2st64_b32 v[6:7], v31 offset0:16 offset1:20
	ds_read2st64_b32 v[14:15], v31 offset0:24 offset1:28
	ds_read2st64_b32 v[10:11], v31 offset0:32 offset1:36
	ds_read2st64_b32 v[2:3], v31 offset0:40 offset1:44
	ds_read2st64_b32 v[12:13], v31 offset0:48 offset1:52
	ds_read_b32 v18, v31 offset:14336
	v_mov_b32_e32 v17, s1
	v_add_co_u32_e32 v16, vcc, s0, v19
	v_addc_co_u32_e32 v17, vcc, 0, v17, vcc
	v_mov_b32_e32 v1, 0
	v_cmp_gt_u32_e32 vcc, s23, v0
	s_and_saveexec_b64 s[0:1], vcc
	s_cbranch_execz .LBB19_74
; %bb.73:
	s_waitcnt lgkmcnt(7)
	v_cvt_f64_i32_e32 v[19:20], v4
	global_store_dwordx2 v[16:17], v[19:20], off
.LBB19_74:
	s_or_b64 exec, exec, s[0:1]
	v_or_b32_e32 v19, 0x100, v0
	v_cmp_gt_u32_e32 vcc, s23, v19
	s_and_saveexec_b64 s[0:1], vcc
	s_cbranch_execz .LBB19_76
; %bb.75:
	s_waitcnt lgkmcnt(7)
	v_cvt_f64_i32_e32 v[19:20], v5
	global_store_dwordx2 v[16:17], v[19:20], off offset:2048
.LBB19_76:
	s_or_b64 exec, exec, s[0:1]
	v_or_b32_e32 v19, 0x200, v0
	v_cmp_gt_u32_e32 vcc, s23, v19
	s_and_saveexec_b64 s[0:1], vcc
	s_cbranch_execz .LBB19_78
; %bb.77:
	s_waitcnt lgkmcnt(6)
	v_cvt_f64_i32_e32 v[19:20], v8
	v_add_co_u32_e32 v21, vcc, 0x1000, v16
	v_addc_co_u32_e32 v22, vcc, 0, v17, vcc
	global_store_dwordx2 v[21:22], v[19:20], off
.LBB19_78:
	s_or_b64 exec, exec, s[0:1]
	v_or_b32_e32 v19, 0x300, v0
	v_cmp_gt_u32_e32 vcc, s23, v19
	s_and_saveexec_b64 s[0:1], vcc
	s_cbranch_execz .LBB19_80
; %bb.79:
	s_waitcnt lgkmcnt(6)
	v_cvt_f64_i32_e32 v[19:20], v9
	v_add_co_u32_e32 v21, vcc, 0x1000, v16
	v_addc_co_u32_e32 v22, vcc, 0, v17, vcc
	global_store_dwordx2 v[21:22], v[19:20], off offset:2048
.LBB19_80:
	s_or_b64 exec, exec, s[0:1]
	v_or_b32_e32 v19, 0x400, v0
	v_cmp_gt_u32_e32 vcc, s23, v19
	s_and_saveexec_b64 s[0:1], vcc
	s_cbranch_execz .LBB19_82
; %bb.81:
	s_waitcnt lgkmcnt(5)
	v_cvt_f64_i32_e32 v[19:20], v6
	v_add_co_u32_e32 v21, vcc, 0x2000, v16
	v_addc_co_u32_e32 v22, vcc, 0, v17, vcc
	global_store_dwordx2 v[21:22], v[19:20], off
.LBB19_82:
	s_or_b64 exec, exec, s[0:1]
	v_or_b32_e32 v19, 0x500, v0
	v_cmp_gt_u32_e32 vcc, s23, v19
	s_and_saveexec_b64 s[0:1], vcc
	s_cbranch_execz .LBB19_84
; %bb.83:
	s_waitcnt lgkmcnt(5)
	v_cvt_f64_i32_e32 v[19:20], v7
	v_add_co_u32_e32 v21, vcc, 0x2000, v16
	v_addc_co_u32_e32 v22, vcc, 0, v17, vcc
	global_store_dwordx2 v[21:22], v[19:20], off offset:2048
.LBB19_84:
	;; [unrolled: 24-line block ×6, first 2 shown]
	s_or_b64 exec, exec, s[0:1]
	v_or_b32_e32 v19, 0xe00, v0
	v_cmp_gt_u32_e32 vcc, s23, v19
	s_and_saveexec_b64 s[0:1], vcc
	s_cbranch_execz .LBB19_102
; %bb.101:
	s_waitcnt lgkmcnt(0)
	v_cvt_f64_i32_e32 v[19:20], v18
	v_add_co_u32_e32 v16, vcc, 0x7000, v16
	v_addc_co_u32_e32 v17, vcc, 0, v17, vcc
	global_store_dwordx2 v[16:17], v[19:20], off
.LBB19_102:
	s_or_b64 exec, exec, s[0:1]
	s_load_dword s0, s[4:5], 0x48
	s_waitcnt lgkmcnt(0)
	s_bfe_u32 s0, s0, 0x10008
	s_cmp_eq_u32 s0, 0
	s_cbranch_scc1 .LBB19_157
; %bb.103:
	s_add_u32 s0, s23, -1
	s_addc_u32 s1, s30, -1
	s_mul_i32 s5, s1, 0x88888889
	s_mul_hi_u32 s6, s0, 0x88888889
	s_mul_hi_u32 s4, s1, 0x88888889
	s_add_u32 s5, s5, s6
	s_mul_i32 s3, s0, 0x88888888
	s_addc_u32 s4, s4, 0
	s_mul_hi_u32 s2, s0, 0x88888888
	s_add_u32 s3, s3, s5
	s_addc_u32 s2, s2, 0
	s_add_u32 s2, s4, s2
	s_addc_u32 s3, 0, 0
	s_mul_i32 s5, s1, 0x88888888
	s_mul_hi_u32 s4, s1, 0x88888888
	s_add_u32 s2, s5, s2
	s_addc_u32 s3, s4, s3
	s_lshr_b64 s[2:3], s[2:3], 3
	v_cmp_eq_u64_e32 vcc, s[2:3], v[0:1]
	s_and_saveexec_b64 s[2:3], vcc
	s_cbranch_execz .LBB19_157
; %bb.104:
	v_mul_hi_u32_u24_e32 v1, 15, v0
	v_mul_u32_u24_e32 v0, 15, v0
	v_mov_b32_e32 v16, s1
	v_sub_co_u32_e32 v0, vcc, s0, v0
	v_subb_co_u32_e32 v1, vcc, v16, v1, vcc
	v_cmp_lt_i64_e32 vcc, 7, v[0:1]
	s_and_saveexec_b64 s[0:1], vcc
	s_xor_b64 s[0:1], exec, s[0:1]
	s_cbranch_execz .LBB19_130
; %bb.105:
	v_cmp_lt_i64_e32 vcc, 10, v[0:1]
	s_and_saveexec_b64 s[2:3], vcc
	s_xor_b64 s[2:3], exec, s[2:3]
	s_cbranch_execz .LBB19_119
; %bb.106:
	;; [unrolled: 5-line block ×4, first 2 shown]
	v_mov_b32_e32 v0, 0
	global_store_dword v0, v18, s[10:11]
                                        ; implicit-def: $vgpr12_vgpr13
.LBB19_109:
	s_andn2_saveexec_b64 s[6:7], s[6:7]
	s_cbranch_execz .LBB19_111
; %bb.110:
	v_mov_b32_e32 v0, 0
	global_store_dword v0, v13, s[10:11]
.LBB19_111:
	s_or_b64 exec, exec, s[6:7]
                                        ; implicit-def: $vgpr2_vgpr3
                                        ; implicit-def: $vgpr0_vgpr1
                                        ; implicit-def: $vgpr12_vgpr13
.LBB19_112:
	s_andn2_saveexec_b64 s[4:5], s[4:5]
	s_cbranch_execz .LBB19_118
; %bb.113:
	v_cmp_lt_i64_e32 vcc, 11, v[0:1]
	s_and_saveexec_b64 s[6:7], vcc
	s_xor_b64 s[6:7], exec, s[6:7]
	s_cbranch_execz .LBB19_115
; %bb.114:
	v_mov_b32_e32 v0, 0
	global_store_dword v0, v12, s[10:11]
                                        ; implicit-def: $vgpr2_vgpr3
.LBB19_115:
	s_andn2_saveexec_b64 s[6:7], s[6:7]
	s_cbranch_execz .LBB19_117
; %bb.116:
	v_mov_b32_e32 v0, 0
	global_store_dword v0, v3, s[10:11]
.LBB19_117:
	s_or_b64 exec, exec, s[6:7]
.LBB19_118:
	s_or_b64 exec, exec, s[4:5]
                                        ; implicit-def: $vgpr10_vgpr11
                                        ; implicit-def: $vgpr0_vgpr1
                                        ; implicit-def: $vgpr2_vgpr3
.LBB19_119:
	s_andn2_saveexec_b64 s[2:3], s[2:3]
	s_cbranch_execz .LBB19_129
; %bb.120:
	v_cmp_lt_i64_e32 vcc, 8, v[0:1]
	s_and_saveexec_b64 s[4:5], vcc
	s_xor_b64 s[4:5], exec, s[4:5]
	s_cbranch_execz .LBB19_126
; %bb.121:
	v_cmp_lt_i64_e32 vcc, 9, v[0:1]
	s_and_saveexec_b64 s[6:7], vcc
	s_xor_b64 s[6:7], exec, s[6:7]
	s_cbranch_execz .LBB19_123
; %bb.122:
	v_mov_b32_e32 v0, 0
	global_store_dword v0, v2, s[10:11]
                                        ; implicit-def: $vgpr10_vgpr11
.LBB19_123:
	s_andn2_saveexec_b64 s[6:7], s[6:7]
	s_cbranch_execz .LBB19_125
; %bb.124:
	v_mov_b32_e32 v0, 0
	global_store_dword v0, v11, s[10:11]
.LBB19_125:
	s_or_b64 exec, exec, s[6:7]
                                        ; implicit-def: $vgpr10_vgpr11
.LBB19_126:
	s_andn2_saveexec_b64 s[4:5], s[4:5]
	s_cbranch_execz .LBB19_128
; %bb.127:
	v_mov_b32_e32 v0, 0
	global_store_dword v0, v10, s[10:11]
.LBB19_128:
	s_or_b64 exec, exec, s[4:5]
.LBB19_129:
	s_or_b64 exec, exec, s[2:3]
                                        ; implicit-def: $vgpr0_vgpr1
                                        ; implicit-def: $vgpr4_vgpr5
                                        ; implicit-def: $vgpr6_vgpr7
                                        ; implicit-def: $vgpr8_vgpr9
                                        ; implicit-def: $vgpr14_vgpr15
.LBB19_130:
	s_andn2_saveexec_b64 s[0:1], s[0:1]
	s_cbranch_execz .LBB19_157
; %bb.131:
	v_cmp_lt_i64_e32 vcc, 3, v[0:1]
	s_and_saveexec_b64 s[0:1], vcc
	s_xor_b64 s[0:1], exec, s[0:1]
	s_cbranch_execz .LBB19_145
; %bb.132:
	v_cmp_lt_i64_e32 vcc, 5, v[0:1]
	s_and_saveexec_b64 s[2:3], vcc
	s_xor_b64 s[2:3], exec, s[2:3]
	;; [unrolled: 5-line block ×3, first 2 shown]
	s_cbranch_execz .LBB19_135
; %bb.134:
	v_mov_b32_e32 v0, 0
	global_store_dword v0, v15, s[10:11]
                                        ; implicit-def: $vgpr14_vgpr15
.LBB19_135:
	s_andn2_saveexec_b64 s[4:5], s[4:5]
	s_cbranch_execz .LBB19_137
; %bb.136:
	v_mov_b32_e32 v0, 0
	global_store_dword v0, v14, s[10:11]
.LBB19_137:
	s_or_b64 exec, exec, s[4:5]
                                        ; implicit-def: $vgpr6_vgpr7
                                        ; implicit-def: $vgpr0_vgpr1
.LBB19_138:
	s_andn2_saveexec_b64 s[2:3], s[2:3]
	s_cbranch_execz .LBB19_144
; %bb.139:
	v_cmp_lt_i64_e32 vcc, 4, v[0:1]
	s_and_saveexec_b64 s[4:5], vcc
	s_xor_b64 s[4:5], exec, s[4:5]
	s_cbranch_execz .LBB19_141
; %bb.140:
	v_mov_b32_e32 v0, 0
	global_store_dword v0, v7, s[10:11]
                                        ; implicit-def: $vgpr6_vgpr7
.LBB19_141:
	s_andn2_saveexec_b64 s[4:5], s[4:5]
	s_cbranch_execz .LBB19_143
; %bb.142:
	v_mov_b32_e32 v0, 0
	global_store_dword v0, v6, s[10:11]
.LBB19_143:
	s_or_b64 exec, exec, s[4:5]
.LBB19_144:
	s_or_b64 exec, exec, s[2:3]
                                        ; implicit-def: $vgpr0_vgpr1
                                        ; implicit-def: $vgpr4_vgpr5
                                        ; implicit-def: $vgpr8_vgpr9
.LBB19_145:
	s_andn2_saveexec_b64 s[0:1], s[0:1]
	s_cbranch_execz .LBB19_157
; %bb.146:
	v_cmp_lt_i64_e32 vcc, 1, v[0:1]
	s_and_saveexec_b64 s[0:1], vcc
	s_xor_b64 s[0:1], exec, s[0:1]
	s_cbranch_execz .LBB19_152
; %bb.147:
	v_cmp_lt_i64_e32 vcc, 2, v[0:1]
	s_and_saveexec_b64 s[2:3], vcc
	s_xor_b64 s[2:3], exec, s[2:3]
	s_cbranch_execz .LBB19_149
; %bb.148:
	v_mov_b32_e32 v0, 0
	global_store_dword v0, v9, s[10:11]
                                        ; implicit-def: $vgpr8_vgpr9
.LBB19_149:
	s_andn2_saveexec_b64 s[2:3], s[2:3]
	s_cbranch_execz .LBB19_151
; %bb.150:
	v_mov_b32_e32 v0, 0
	global_store_dword v0, v8, s[10:11]
.LBB19_151:
	s_or_b64 exec, exec, s[2:3]
                                        ; implicit-def: $vgpr4_vgpr5
                                        ; implicit-def: $vgpr0_vgpr1
.LBB19_152:
	s_andn2_saveexec_b64 s[0:1], s[0:1]
	s_cbranch_execz .LBB19_157
; %bb.153:
	v_cmp_ne_u64_e32 vcc, 1, v[0:1]
	s_and_saveexec_b64 s[0:1], vcc
	s_xor_b64 s[0:1], exec, s[0:1]
	s_cbranch_execz .LBB19_155
; %bb.154:
	v_mov_b32_e32 v0, 0
	global_store_dword v0, v4, s[10:11]
                                        ; implicit-def: $vgpr4_vgpr5
.LBB19_155:
	s_andn2_saveexec_b64 s[0:1], s[0:1]
	s_cbranch_execz .LBB19_157
; %bb.156:
	v_mov_b32_e32 v0, 0
	global_store_dword v0, v5, s[10:11]
.LBB19_157:
	s_endpgm
	.section	.rodata,"a",@progbits
	.p2align	6, 0x0
	.amdhsa_kernel _ZN7rocprim6detail20lookback_scan_kernelILNS0_25lookback_scan_determinismE0ELb0ENS0_19wrapped_scan_configINS_14default_configEiEEN6hipcub22TransformInputIteratorIiNS6_6CastOpIiEEPilEEPdNS6_3SumEiiNS0_19lookback_scan_stateIiLb0ELb1EEEEEvT2_T3_mT5_T4_T7_jPT6_SM_bb
		.amdhsa_group_segment_fixed_size 15360
		.amdhsa_private_segment_fixed_size 0
		.amdhsa_kernarg_size 76
		.amdhsa_user_sgpr_count 6
		.amdhsa_user_sgpr_private_segment_buffer 1
		.amdhsa_user_sgpr_dispatch_ptr 0
		.amdhsa_user_sgpr_queue_ptr 0
		.amdhsa_user_sgpr_kernarg_segment_ptr 1
		.amdhsa_user_sgpr_dispatch_id 0
		.amdhsa_user_sgpr_flat_scratch_init 0
		.amdhsa_user_sgpr_private_segment_size 0
		.amdhsa_uses_dynamic_stack 0
		.amdhsa_system_sgpr_private_segment_wavefront_offset 0
		.amdhsa_system_sgpr_workgroup_id_x 1
		.amdhsa_system_sgpr_workgroup_id_y 0
		.amdhsa_system_sgpr_workgroup_id_z 0
		.amdhsa_system_sgpr_workgroup_info 0
		.amdhsa_system_vgpr_workitem_id 0
		.amdhsa_next_free_vgpr 49
		.amdhsa_next_free_sgpr 98
		.amdhsa_reserve_vcc 1
		.amdhsa_reserve_flat_scratch 0
		.amdhsa_float_round_mode_32 0
		.amdhsa_float_round_mode_16_64 0
		.amdhsa_float_denorm_mode_32 3
		.amdhsa_float_denorm_mode_16_64 3
		.amdhsa_dx10_clamp 1
		.amdhsa_ieee_mode 1
		.amdhsa_fp16_overflow 0
		.amdhsa_exception_fp_ieee_invalid_op 0
		.amdhsa_exception_fp_denorm_src 0
		.amdhsa_exception_fp_ieee_div_zero 0
		.amdhsa_exception_fp_ieee_overflow 0
		.amdhsa_exception_fp_ieee_underflow 0
		.amdhsa_exception_fp_ieee_inexact 0
		.amdhsa_exception_int_div_zero 0
	.end_amdhsa_kernel
	.section	.text._ZN7rocprim6detail20lookback_scan_kernelILNS0_25lookback_scan_determinismE0ELb0ENS0_19wrapped_scan_configINS_14default_configEiEEN6hipcub22TransformInputIteratorIiNS6_6CastOpIiEEPilEEPdNS6_3SumEiiNS0_19lookback_scan_stateIiLb0ELb1EEEEEvT2_T3_mT5_T4_T7_jPT6_SM_bb,"axG",@progbits,_ZN7rocprim6detail20lookback_scan_kernelILNS0_25lookback_scan_determinismE0ELb0ENS0_19wrapped_scan_configINS_14default_configEiEEN6hipcub22TransformInputIteratorIiNS6_6CastOpIiEEPilEEPdNS6_3SumEiiNS0_19lookback_scan_stateIiLb0ELb1EEEEEvT2_T3_mT5_T4_T7_jPT6_SM_bb,comdat
.Lfunc_end19:
	.size	_ZN7rocprim6detail20lookback_scan_kernelILNS0_25lookback_scan_determinismE0ELb0ENS0_19wrapped_scan_configINS_14default_configEiEEN6hipcub22TransformInputIteratorIiNS6_6CastOpIiEEPilEEPdNS6_3SumEiiNS0_19lookback_scan_stateIiLb0ELb1EEEEEvT2_T3_mT5_T4_T7_jPT6_SM_bb, .Lfunc_end19-_ZN7rocprim6detail20lookback_scan_kernelILNS0_25lookback_scan_determinismE0ELb0ENS0_19wrapped_scan_configINS_14default_configEiEEN6hipcub22TransformInputIteratorIiNS6_6CastOpIiEEPilEEPdNS6_3SumEiiNS0_19lookback_scan_stateIiLb0ELb1EEEEEvT2_T3_mT5_T4_T7_jPT6_SM_bb
                                        ; -- End function
	.set _ZN7rocprim6detail20lookback_scan_kernelILNS0_25lookback_scan_determinismE0ELb0ENS0_19wrapped_scan_configINS_14default_configEiEEN6hipcub22TransformInputIteratorIiNS6_6CastOpIiEEPilEEPdNS6_3SumEiiNS0_19lookback_scan_stateIiLb0ELb1EEEEEvT2_T3_mT5_T4_T7_jPT6_SM_bb.num_vgpr, 44
	.set _ZN7rocprim6detail20lookback_scan_kernelILNS0_25lookback_scan_determinismE0ELb0ENS0_19wrapped_scan_configINS_14default_configEiEEN6hipcub22TransformInputIteratorIiNS6_6CastOpIiEEPilEEPdNS6_3SumEiiNS0_19lookback_scan_stateIiLb0ELb1EEEEEvT2_T3_mT5_T4_T7_jPT6_SM_bb.num_agpr, 0
	.set _ZN7rocprim6detail20lookback_scan_kernelILNS0_25lookback_scan_determinismE0ELb0ENS0_19wrapped_scan_configINS_14default_configEiEEN6hipcub22TransformInputIteratorIiNS6_6CastOpIiEEPilEEPdNS6_3SumEiiNS0_19lookback_scan_stateIiLb0ELb1EEEEEvT2_T3_mT5_T4_T7_jPT6_SM_bb.numbered_sgpr, 31
	.set _ZN7rocprim6detail20lookback_scan_kernelILNS0_25lookback_scan_determinismE0ELb0ENS0_19wrapped_scan_configINS_14default_configEiEEN6hipcub22TransformInputIteratorIiNS6_6CastOpIiEEPilEEPdNS6_3SumEiiNS0_19lookback_scan_stateIiLb0ELb1EEEEEvT2_T3_mT5_T4_T7_jPT6_SM_bb.num_named_barrier, 0
	.set _ZN7rocprim6detail20lookback_scan_kernelILNS0_25lookback_scan_determinismE0ELb0ENS0_19wrapped_scan_configINS_14default_configEiEEN6hipcub22TransformInputIteratorIiNS6_6CastOpIiEEPilEEPdNS6_3SumEiiNS0_19lookback_scan_stateIiLb0ELb1EEEEEvT2_T3_mT5_T4_T7_jPT6_SM_bb.private_seg_size, 0
	.set _ZN7rocprim6detail20lookback_scan_kernelILNS0_25lookback_scan_determinismE0ELb0ENS0_19wrapped_scan_configINS_14default_configEiEEN6hipcub22TransformInputIteratorIiNS6_6CastOpIiEEPilEEPdNS6_3SumEiiNS0_19lookback_scan_stateIiLb0ELb1EEEEEvT2_T3_mT5_T4_T7_jPT6_SM_bb.uses_vcc, 1
	.set _ZN7rocprim6detail20lookback_scan_kernelILNS0_25lookback_scan_determinismE0ELb0ENS0_19wrapped_scan_configINS_14default_configEiEEN6hipcub22TransformInputIteratorIiNS6_6CastOpIiEEPilEEPdNS6_3SumEiiNS0_19lookback_scan_stateIiLb0ELb1EEEEEvT2_T3_mT5_T4_T7_jPT6_SM_bb.uses_flat_scratch, 0
	.set _ZN7rocprim6detail20lookback_scan_kernelILNS0_25lookback_scan_determinismE0ELb0ENS0_19wrapped_scan_configINS_14default_configEiEEN6hipcub22TransformInputIteratorIiNS6_6CastOpIiEEPilEEPdNS6_3SumEiiNS0_19lookback_scan_stateIiLb0ELb1EEEEEvT2_T3_mT5_T4_T7_jPT6_SM_bb.has_dyn_sized_stack, 0
	.set _ZN7rocprim6detail20lookback_scan_kernelILNS0_25lookback_scan_determinismE0ELb0ENS0_19wrapped_scan_configINS_14default_configEiEEN6hipcub22TransformInputIteratorIiNS6_6CastOpIiEEPilEEPdNS6_3SumEiiNS0_19lookback_scan_stateIiLb0ELb1EEEEEvT2_T3_mT5_T4_T7_jPT6_SM_bb.has_recursion, 0
	.set _ZN7rocprim6detail20lookback_scan_kernelILNS0_25lookback_scan_determinismE0ELb0ENS0_19wrapped_scan_configINS_14default_configEiEEN6hipcub22TransformInputIteratorIiNS6_6CastOpIiEEPilEEPdNS6_3SumEiiNS0_19lookback_scan_stateIiLb0ELb1EEEEEvT2_T3_mT5_T4_T7_jPT6_SM_bb.has_indirect_call, 0
	.section	.AMDGPU.csdata,"",@progbits
; Kernel info:
; codeLenInByte = 5772
; TotalNumSgprs: 35
; NumVgprs: 44
; ScratchSize: 0
; MemoryBound: 0
; FloatMode: 240
; IeeeMode: 1
; LDSByteSize: 15360 bytes/workgroup (compile time only)
; SGPRBlocks: 12
; VGPRBlocks: 12
; NumSGPRsForWavesPerEU: 102
; NumVGPRsForWavesPerEU: 49
; Occupancy: 4
; WaveLimiterHint : 1
; COMPUTE_PGM_RSRC2:SCRATCH_EN: 0
; COMPUTE_PGM_RSRC2:USER_SGPR: 6
; COMPUTE_PGM_RSRC2:TRAP_HANDLER: 0
; COMPUTE_PGM_RSRC2:TGID_X_EN: 1
; COMPUTE_PGM_RSRC2:TGID_Y_EN: 0
; COMPUTE_PGM_RSRC2:TGID_Z_EN: 0
; COMPUTE_PGM_RSRC2:TIDIG_COMP_CNT: 0
	.section	.text._ZN7rocprim6detail18single_scan_kernelILb0ENS0_19wrapped_scan_configINS_14default_configEiEEN6hipcub22TransformInputIteratorIiNS5_6CastOpIiEEPilEEPdNS5_3SumEiiEEvT1_mT4_T2_T3_,"axG",@progbits,_ZN7rocprim6detail18single_scan_kernelILb0ENS0_19wrapped_scan_configINS_14default_configEiEEN6hipcub22TransformInputIteratorIiNS5_6CastOpIiEEPilEEPdNS5_3SumEiiEEvT1_mT4_T2_T3_,comdat
	.protected	_ZN7rocprim6detail18single_scan_kernelILb0ENS0_19wrapped_scan_configINS_14default_configEiEEN6hipcub22TransformInputIteratorIiNS5_6CastOpIiEEPilEEPdNS5_3SumEiiEEvT1_mT4_T2_T3_ ; -- Begin function _ZN7rocprim6detail18single_scan_kernelILb0ENS0_19wrapped_scan_configINS_14default_configEiEEN6hipcub22TransformInputIteratorIiNS5_6CastOpIiEEPilEEPdNS5_3SumEiiEEvT1_mT4_T2_T3_
	.globl	_ZN7rocprim6detail18single_scan_kernelILb0ENS0_19wrapped_scan_configINS_14default_configEiEEN6hipcub22TransformInputIteratorIiNS5_6CastOpIiEEPilEEPdNS5_3SumEiiEEvT1_mT4_T2_T3_
	.p2align	8
	.type	_ZN7rocprim6detail18single_scan_kernelILb0ENS0_19wrapped_scan_configINS_14default_configEiEEN6hipcub22TransformInputIteratorIiNS5_6CastOpIiEEPilEEPdNS5_3SumEiiEEvT1_mT4_T2_T3_,@function
_ZN7rocprim6detail18single_scan_kernelILb0ENS0_19wrapped_scan_configINS_14default_configEiEEN6hipcub22TransformInputIteratorIiNS5_6CastOpIiEEPilEEPdNS5_3SumEiiEEvT1_mT4_T2_T3_: ; @_ZN7rocprim6detail18single_scan_kernelILb0ENS0_19wrapped_scan_configINS_14default_configEiEEN6hipcub22TransformInputIteratorIiNS5_6CastOpIiEEPilEEPdNS5_3SumEiiEEvT1_mT4_T2_T3_
; %bb.0:
	s_load_dwordx2 s[0:1], s[4:5], 0x0
	s_load_dword s33, s[4:5], 0x10
	v_lshlrev_b32_e32 v19, 2, v0
	s_waitcnt lgkmcnt(0)
	s_load_dword s8, s[0:1], 0x0
	v_mov_b32_e32 v1, s1
	v_add_co_u32_e32 v17, vcc, s0, v19
	v_addc_co_u32_e32 v18, vcc, 0, v1, vcc
	s_waitcnt lgkmcnt(0)
	s_mov_b32 s9, s8
	s_mov_b32 s10, s8
	;; [unrolled: 1-line block ×14, first 2 shown]
	v_mov_b32_e32 v1, s8
	v_cmp_gt_u32_e64 s[0:1], s33, v0
	v_mov_b32_e32 v2, s9
	v_mov_b32_e32 v3, s10
	;; [unrolled: 1-line block ×15, first 2 shown]
	s_and_saveexec_b64 s[2:3], s[0:1]
	s_cbranch_execz .LBB20_2
; %bb.1:
	global_load_dword v1, v[17:18], off
	v_mov_b32_e32 v2, s8
	v_mov_b32_e32 v3, s8
	;; [unrolled: 1-line block ×14, first 2 shown]
.LBB20_2:
	s_or_b64 exec, exec, s[2:3]
	v_or_b32_e32 v16, 0x100, v0
	v_cmp_gt_u32_e64 s[2:3], s33, v16
	s_and_saveexec_b64 s[6:7], s[2:3]
	s_cbranch_execz .LBB20_4
; %bb.3:
	global_load_dword v2, v[17:18], off offset:1024
.LBB20_4:
	s_or_b64 exec, exec, s[6:7]
	v_or_b32_e32 v16, 0x200, v0
	v_cmp_gt_u32_e64 s[6:7], s33, v16
	s_and_saveexec_b64 s[8:9], s[6:7]
	s_cbranch_execz .LBB20_6
; %bb.5:
	global_load_dword v3, v[17:18], off offset:2048
.LBB20_6:
	;; [unrolled: 8-line block ×3, first 2 shown]
	s_or_b64 exec, exec, s[10:11]
	v_or_b32_e32 v16, 0x400, v0
	v_cmp_gt_u32_e64 s[10:11], s33, v16
	s_and_saveexec_b64 s[12:13], s[10:11]
	s_cbranch_execz .LBB20_10
; %bb.9:
	v_add_co_u32_e32 v20, vcc, 0x1000, v17
	v_addc_co_u32_e32 v21, vcc, 0, v18, vcc
	global_load_dword v5, v[20:21], off
.LBB20_10:
	s_or_b64 exec, exec, s[12:13]
	v_or_b32_e32 v16, 0x500, v0
	v_cmp_gt_u32_e64 s[12:13], s33, v16
	s_and_saveexec_b64 s[14:15], s[12:13]
	s_cbranch_execz .LBB20_12
; %bb.11:
	v_add_co_u32_e32 v20, vcc, 0x1000, v17
	v_addc_co_u32_e32 v21, vcc, 0, v18, vcc
	global_load_dword v6, v[20:21], off offset:1024
.LBB20_12:
	s_or_b64 exec, exec, s[14:15]
	v_or_b32_e32 v16, 0x600, v0
	v_cmp_gt_u32_e64 s[14:15], s33, v16
	s_and_saveexec_b64 s[16:17], s[14:15]
	s_cbranch_execz .LBB20_14
; %bb.13:
	v_add_co_u32_e32 v20, vcc, 0x1000, v17
	v_addc_co_u32_e32 v21, vcc, 0, v18, vcc
	global_load_dword v7, v[20:21], off offset:2048
.LBB20_14:
	;; [unrolled: 10-line block ×3, first 2 shown]
	s_or_b64 exec, exec, s[18:19]
	v_or_b32_e32 v16, 0x800, v0
	v_cmp_gt_u32_e64 s[18:19], s33, v16
	s_and_saveexec_b64 s[20:21], s[18:19]
	s_cbranch_execz .LBB20_18
; %bb.17:
	v_add_co_u32_e32 v20, vcc, 0x2000, v17
	v_addc_co_u32_e32 v21, vcc, 0, v18, vcc
	global_load_dword v9, v[20:21], off
.LBB20_18:
	s_or_b64 exec, exec, s[20:21]
	v_or_b32_e32 v16, 0x900, v0
	v_cmp_gt_u32_e64 s[20:21], s33, v16
	s_and_saveexec_b64 s[22:23], s[20:21]
	s_cbranch_execz .LBB20_20
; %bb.19:
	v_add_co_u32_e32 v20, vcc, 0x2000, v17
	v_addc_co_u32_e32 v21, vcc, 0, v18, vcc
	global_load_dword v10, v[20:21], off offset:1024
.LBB20_20:
	s_or_b64 exec, exec, s[22:23]
	v_or_b32_e32 v16, 0xa00, v0
	v_cmp_gt_u32_e64 s[22:23], s33, v16
	s_and_saveexec_b64 s[24:25], s[22:23]
	s_cbranch_execz .LBB20_22
; %bb.21:
	v_add_co_u32_e32 v20, vcc, 0x2000, v17
	v_addc_co_u32_e32 v21, vcc, 0, v18, vcc
	global_load_dword v11, v[20:21], off offset:2048
.LBB20_22:
	;; [unrolled: 10-line block ×3, first 2 shown]
	s_or_b64 exec, exec, s[26:27]
	v_or_b32_e32 v16, 0xc00, v0
	v_cmp_gt_u32_e64 s[26:27], s33, v16
	s_and_saveexec_b64 s[28:29], s[26:27]
	s_cbranch_execz .LBB20_26
; %bb.25:
	v_add_co_u32_e32 v20, vcc, 0x3000, v17
	v_addc_co_u32_e32 v21, vcc, 0, v18, vcc
	global_load_dword v13, v[20:21], off
.LBB20_26:
	s_or_b64 exec, exec, s[28:29]
	v_or_b32_e32 v16, 0xd00, v0
	v_cmp_gt_u32_e64 s[28:29], s33, v16
	s_and_saveexec_b64 s[30:31], s[28:29]
	s_cbranch_execz .LBB20_28
; %bb.27:
	v_add_co_u32_e32 v20, vcc, 0x3000, v17
	v_addc_co_u32_e32 v21, vcc, 0, v18, vcc
	global_load_dword v14, v[20:21], off offset:1024
.LBB20_28:
	s_or_b64 exec, exec, s[30:31]
	v_or_b32_e32 v16, 0xe00, v0
	v_cmp_gt_u32_e64 s[30:31], s33, v16
	s_and_saveexec_b64 s[34:35], s[30:31]
	s_cbranch_execz .LBB20_30
; %bb.29:
	v_add_co_u32_e32 v15, vcc, 0x3000, v17
	v_addc_co_u32_e32 v16, vcc, 0, v18, vcc
	global_load_dword v15, v[15:16], off offset:2048
.LBB20_30:
	s_or_b64 exec, exec, s[34:35]
	s_waitcnt vmcnt(0)
	ds_write2st64_b32 v19, v1, v2 offset1:4
	ds_write2st64_b32 v19, v3, v4 offset0:8 offset1:12
	ds_write2st64_b32 v19, v5, v6 offset0:16 offset1:20
	;; [unrolled: 1-line block ×6, first 2 shown]
	ds_write_b32 v19, v15 offset:14336
	v_mad_u32_u24 v15, v0, 56, v19
	s_waitcnt lgkmcnt(0)
	s_barrier
	ds_read2_b32 v[1:2], v15 offset1:1
	ds_read2_b32 v[13:14], v15 offset0:2 offset1:3
	ds_read2_b32 v[11:12], v15 offset0:4 offset1:5
	;; [unrolled: 1-line block ×6, first 2 shown]
	ds_read_b32 v30, v15 offset:56
	s_waitcnt lgkmcnt(7)
	v_add_u32_e32 v15, v2, v1
	s_waitcnt lgkmcnt(6)
	v_add_u32_e32 v16, v15, v13
	v_add_u32_e32 v17, v16, v14
	s_waitcnt lgkmcnt(5)
	v_add_u32_e32 v18, v17, v11
	;; [unrolled: 3-line block ×6, first 2 shown]
	v_lshrrev_b32_e32 v31, 3, v0
	v_add_u32_e32 v28, v27, v4
	v_and_b32_e32 v31, 28, v31
	s_waitcnt lgkmcnt(0)
	v_add_u32_e32 v29, v28, v30
	v_add_u32_e32 v31, v19, v31
	v_cmp_gt_u32_e32 vcc, 64, v0
	s_barrier
	ds_write_b32 v31, v29
	s_waitcnt lgkmcnt(0)
	s_barrier
	s_and_saveexec_b64 s[34:35], vcc
	s_cbranch_execz .LBB20_32
; %bb.31:
	v_lshrrev_b32_e32 v31, 1, v0
	v_and_b32_e32 v31, 0x7c, v31
	v_lshl_add_u32 v35, v0, 4, v31
	ds_read2_b32 v[31:32], v35 offset1:1
	ds_read2_b32 v[33:34], v35 offset0:2 offset1:3
	v_mbcnt_lo_u32_b32 v36, -1, 0
	v_mbcnt_hi_u32_b32 v36, -1, v36
	v_and_b32_e32 v37, 15, v36
	s_waitcnt lgkmcnt(1)
	v_add_u32_e32 v38, v32, v31
	s_waitcnt lgkmcnt(0)
	v_add3_u32 v38, v38, v33, v34
	v_cmp_ne_u32_e32 vcc, 0, v37
	s_nop 0
	v_mov_b32_dpp v39, v38 row_shr:1 row_mask:0xf bank_mask:0xf
	v_cndmask_b32_e32 v39, 0, v39, vcc
	v_add_u32_e32 v38, v39, v38
	v_cmp_lt_u32_e32 vcc, 1, v37
	s_nop 0
	v_mov_b32_dpp v39, v38 row_shr:2 row_mask:0xf bank_mask:0xf
	v_cndmask_b32_e32 v39, 0, v39, vcc
	v_add_u32_e32 v38, v38, v39
	v_cmp_lt_u32_e32 vcc, 3, v37
	;; [unrolled: 5-line block ×3, first 2 shown]
	s_nop 0
	v_mov_b32_dpp v39, v38 row_shr:8 row_mask:0xf bank_mask:0xf
	v_cndmask_b32_e32 v37, 0, v39, vcc
	v_add_u32_e32 v37, v38, v37
	v_bfe_i32 v39, v36, 4, 1
	v_cmp_lt_u32_e32 vcc, 31, v36
	v_mov_b32_dpp v38, v37 row_bcast:15 row_mask:0xf bank_mask:0xf
	v_and_b32_e32 v38, v39, v38
	v_add_u32_e32 v37, v37, v38
	v_and_b32_e32 v39, 64, v36
	s_nop 0
	v_mov_b32_dpp v38, v37 row_bcast:31 row_mask:0xf bank_mask:0xf
	v_cndmask_b32_e32 v38, 0, v38, vcc
	v_add_u32_e32 v37, v37, v38
	v_add_u32_e32 v38, -1, v36
	v_cmp_lt_i32_e32 vcc, v38, v39
	v_cndmask_b32_e32 v36, v38, v36, vcc
	v_lshlrev_b32_e32 v36, 2, v36
	ds_bpermute_b32 v36, v36, v37
	v_cmp_eq_u32_e32 vcc, 0, v0
	s_waitcnt lgkmcnt(0)
	v_add_u32_e32 v31, v36, v31
	v_cndmask_b32_e32 v31, v31, v29, vcc
	v_add_u32_e32 v32, v31, v32
	ds_write2_b32 v35, v31, v32 offset1:1
	v_add_u32_e32 v31, v32, v33
	v_add_u32_e32 v32, v31, v34
	ds_write2_b32 v35, v31, v32 offset0:2 offset1:3
.LBB20_32:
	s_or_b64 exec, exec, s[34:35]
	v_mul_u32_u24_e32 v31, 56, v0
	v_cmp_ne_u32_e32 vcc, 0, v0
	s_waitcnt lgkmcnt(0)
	s_barrier
	s_and_saveexec_b64 s[34:35], vcc
	s_cbranch_execz .LBB20_34
; %bb.33:
	v_add_u32_e32 v15, -1, v0
	v_lshrrev_b32_e32 v16, 3, v15
	v_and_b32_e32 v16, 0x1ffffffc, v16
	v_lshl_add_u32 v15, v15, 2, v16
	ds_read_b32 v15, v15
	s_waitcnt lgkmcnt(0)
	v_add_u32_e32 v1, v15, v1
	v_add_u32_e32 v15, v1, v2
	;; [unrolled: 1-line block ×15, first 2 shown]
.LBB20_34:
	s_or_b64 exec, exec, s[34:35]
	v_add_u32_e32 v2, v19, v31
	s_barrier
	ds_write2_b32 v2, v1, v15 offset1:1
	ds_write2_b32 v2, v16, v17 offset0:2 offset1:3
	ds_write2_b32 v2, v18, v20 offset0:4 offset1:5
	;; [unrolled: 1-line block ×6, first 2 shown]
	ds_write_b32 v2, v29 offset:56
	s_waitcnt lgkmcnt(0)
	s_barrier
	ds_read2st64_b32 v[14:15], v19 offset0:4 offset1:8
	ds_read2st64_b32 v[12:13], v19 offset0:12 offset1:16
	;; [unrolled: 1-line block ×7, first 2 shown]
	s_load_dwordx2 s[4:5], s[4:5], 0x20
	v_lshlrev_b32_e32 v0, 3, v0
	s_waitcnt lgkmcnt(0)
	v_mov_b32_e32 v1, s5
	v_add_co_u32_e32 v0, vcc, s4, v0
	v_addc_co_u32_e32 v1, vcc, 0, v1, vcc
	s_and_saveexec_b64 s[4:5], s[0:1]
	s_cbranch_execnz .LBB20_50
; %bb.35:
	s_or_b64 exec, exec, s[4:5]
	s_and_saveexec_b64 s[0:1], s[2:3]
	s_cbranch_execnz .LBB20_51
.LBB20_36:
	s_or_b64 exec, exec, s[0:1]
	s_and_saveexec_b64 s[0:1], s[6:7]
	s_cbranch_execnz .LBB20_52
.LBB20_37:
	s_or_b64 exec, exec, s[0:1]
	s_and_saveexec_b64 s[0:1], s[8:9]
	s_cbranch_execnz .LBB20_53
.LBB20_38:
	s_or_b64 exec, exec, s[0:1]
	s_and_saveexec_b64 s[0:1], s[10:11]
	s_cbranch_execnz .LBB20_54
.LBB20_39:
	s_or_b64 exec, exec, s[0:1]
	s_and_saveexec_b64 s[0:1], s[12:13]
	s_cbranch_execnz .LBB20_55
.LBB20_40:
	s_or_b64 exec, exec, s[0:1]
	s_and_saveexec_b64 s[0:1], s[14:15]
	s_cbranch_execnz .LBB20_56
.LBB20_41:
	s_or_b64 exec, exec, s[0:1]
	s_and_saveexec_b64 s[0:1], s[16:17]
	s_cbranch_execnz .LBB20_57
.LBB20_42:
	s_or_b64 exec, exec, s[0:1]
	s_and_saveexec_b64 s[0:1], s[18:19]
	s_cbranch_execnz .LBB20_58
.LBB20_43:
	s_or_b64 exec, exec, s[0:1]
	s_and_saveexec_b64 s[0:1], s[20:21]
	s_cbranch_execnz .LBB20_59
.LBB20_44:
	s_or_b64 exec, exec, s[0:1]
	s_and_saveexec_b64 s[0:1], s[22:23]
	s_cbranch_execnz .LBB20_60
.LBB20_45:
	s_or_b64 exec, exec, s[0:1]
	s_and_saveexec_b64 s[0:1], s[24:25]
	s_cbranch_execnz .LBB20_61
.LBB20_46:
	s_or_b64 exec, exec, s[0:1]
	s_and_saveexec_b64 s[0:1], s[26:27]
	s_cbranch_execnz .LBB20_62
.LBB20_47:
	s_or_b64 exec, exec, s[0:1]
	s_and_saveexec_b64 s[0:1], s[28:29]
	s_cbranch_execnz .LBB20_63
.LBB20_48:
	s_or_b64 exec, exec, s[0:1]
	s_and_saveexec_b64 s[0:1], s[30:31]
	s_cbranch_execnz .LBB20_64
.LBB20_49:
	s_endpgm
.LBB20_50:
	ds_read_b32 v16, v19
	s_waitcnt lgkmcnt(0)
	v_cvt_f64_i32_e32 v[16:17], v16
	global_store_dwordx2 v[0:1], v[16:17], off
	s_or_b64 exec, exec, s[4:5]
	s_and_saveexec_b64 s[0:1], s[2:3]
	s_cbranch_execz .LBB20_36
.LBB20_51:
	v_cvt_f64_i32_e32 v[16:17], v14
	global_store_dwordx2 v[0:1], v[16:17], off offset:2048
	s_or_b64 exec, exec, s[0:1]
	s_and_saveexec_b64 s[0:1], s[6:7]
	s_cbranch_execz .LBB20_37
.LBB20_52:
	v_cvt_f64_i32_e32 v[14:15], v15
	v_add_co_u32_e32 v16, vcc, 0x1000, v0
	v_addc_co_u32_e32 v17, vcc, 0, v1, vcc
	global_store_dwordx2 v[16:17], v[14:15], off
	s_or_b64 exec, exec, s[0:1]
	s_and_saveexec_b64 s[0:1], s[8:9]
	s_cbranch_execz .LBB20_38
.LBB20_53:
	v_cvt_f64_i32_e32 v[14:15], v12
	v_add_co_u32_e32 v16, vcc, 0x1000, v0
	v_addc_co_u32_e32 v17, vcc, 0, v1, vcc
	global_store_dwordx2 v[16:17], v[14:15], off offset:2048
	s_or_b64 exec, exec, s[0:1]
	s_and_saveexec_b64 s[0:1], s[10:11]
	s_cbranch_execz .LBB20_39
.LBB20_54:
	v_cvt_f64_i32_e32 v[12:13], v13
	v_add_co_u32_e32 v14, vcc, 0x2000, v0
	v_addc_co_u32_e32 v15, vcc, 0, v1, vcc
	global_store_dwordx2 v[14:15], v[12:13], off
	s_or_b64 exec, exec, s[0:1]
	s_and_saveexec_b64 s[0:1], s[12:13]
	s_cbranch_execz .LBB20_40
.LBB20_55:
	v_cvt_f64_i32_e32 v[12:13], v10
	v_add_co_u32_e32 v14, vcc, 0x2000, v0
	v_addc_co_u32_e32 v15, vcc, 0, v1, vcc
	global_store_dwordx2 v[14:15], v[12:13], off offset:2048
	s_or_b64 exec, exec, s[0:1]
	s_and_saveexec_b64 s[0:1], s[14:15]
	s_cbranch_execz .LBB20_41
.LBB20_56:
	v_cvt_f64_i32_e32 v[10:11], v11
	v_add_co_u32_e32 v12, vcc, 0x3000, v0
	v_addc_co_u32_e32 v13, vcc, 0, v1, vcc
	global_store_dwordx2 v[12:13], v[10:11], off
	s_or_b64 exec, exec, s[0:1]
	s_and_saveexec_b64 s[0:1], s[16:17]
	s_cbranch_execz .LBB20_42
.LBB20_57:
	v_cvt_f64_i32_e32 v[10:11], v8
	v_add_co_u32_e32 v12, vcc, 0x3000, v0
	v_addc_co_u32_e32 v13, vcc, 0, v1, vcc
	global_store_dwordx2 v[12:13], v[10:11], off offset:2048
	s_or_b64 exec, exec, s[0:1]
	s_and_saveexec_b64 s[0:1], s[18:19]
	s_cbranch_execz .LBB20_43
.LBB20_58:
	v_cvt_f64_i32_e32 v[8:9], v9
	v_add_co_u32_e32 v10, vcc, 0x4000, v0
	v_addc_co_u32_e32 v11, vcc, 0, v1, vcc
	global_store_dwordx2 v[10:11], v[8:9], off
	s_or_b64 exec, exec, s[0:1]
	s_and_saveexec_b64 s[0:1], s[20:21]
	s_cbranch_execz .LBB20_44
.LBB20_59:
	v_cvt_f64_i32_e32 v[8:9], v6
	v_add_co_u32_e32 v10, vcc, 0x4000, v0
	v_addc_co_u32_e32 v11, vcc, 0, v1, vcc
	global_store_dwordx2 v[10:11], v[8:9], off offset:2048
	s_or_b64 exec, exec, s[0:1]
	s_and_saveexec_b64 s[0:1], s[22:23]
	s_cbranch_execz .LBB20_45
.LBB20_60:
	v_cvt_f64_i32_e32 v[6:7], v7
	v_add_co_u32_e32 v8, vcc, 0x5000, v0
	v_addc_co_u32_e32 v9, vcc, 0, v1, vcc
	global_store_dwordx2 v[8:9], v[6:7], off
	s_or_b64 exec, exec, s[0:1]
	s_and_saveexec_b64 s[0:1], s[24:25]
	s_cbranch_execz .LBB20_46
.LBB20_61:
	v_cvt_f64_i32_e32 v[6:7], v4
	v_add_co_u32_e32 v8, vcc, 0x5000, v0
	v_addc_co_u32_e32 v9, vcc, 0, v1, vcc
	global_store_dwordx2 v[8:9], v[6:7], off offset:2048
	s_or_b64 exec, exec, s[0:1]
	s_and_saveexec_b64 s[0:1], s[26:27]
	s_cbranch_execz .LBB20_47
.LBB20_62:
	v_cvt_f64_i32_e32 v[4:5], v5
	v_add_co_u32_e32 v6, vcc, 0x6000, v0
	v_addc_co_u32_e32 v7, vcc, 0, v1, vcc
	global_store_dwordx2 v[6:7], v[4:5], off
	s_or_b64 exec, exec, s[0:1]
	s_and_saveexec_b64 s[0:1], s[28:29]
	s_cbranch_execz .LBB20_48
.LBB20_63:
	v_cvt_f64_i32_e32 v[4:5], v2
	v_add_co_u32_e32 v6, vcc, 0x6000, v0
	v_addc_co_u32_e32 v7, vcc, 0, v1, vcc
	global_store_dwordx2 v[6:7], v[4:5], off offset:2048
	s_or_b64 exec, exec, s[0:1]
	s_and_saveexec_b64 s[0:1], s[30:31]
	s_cbranch_execz .LBB20_49
.LBB20_64:
	v_cvt_f64_i32_e32 v[2:3], v3
	v_add_co_u32_e32 v0, vcc, 0x7000, v0
	v_addc_co_u32_e32 v1, vcc, 0, v1, vcc
	global_store_dwordx2 v[0:1], v[2:3], off
	s_endpgm
	.section	.rodata,"a",@progbits
	.p2align	6, 0x0
	.amdhsa_kernel _ZN7rocprim6detail18single_scan_kernelILb0ENS0_19wrapped_scan_configINS_14default_configEiEEN6hipcub22TransformInputIteratorIiNS5_6CastOpIiEEPilEEPdNS5_3SumEiiEEvT1_mT4_T2_T3_
		.amdhsa_group_segment_fixed_size 15360
		.amdhsa_private_segment_fixed_size 0
		.amdhsa_kernarg_size 44
		.amdhsa_user_sgpr_count 6
		.amdhsa_user_sgpr_private_segment_buffer 1
		.amdhsa_user_sgpr_dispatch_ptr 0
		.amdhsa_user_sgpr_queue_ptr 0
		.amdhsa_user_sgpr_kernarg_segment_ptr 1
		.amdhsa_user_sgpr_dispatch_id 0
		.amdhsa_user_sgpr_flat_scratch_init 0
		.amdhsa_user_sgpr_private_segment_size 0
		.amdhsa_uses_dynamic_stack 0
		.amdhsa_system_sgpr_private_segment_wavefront_offset 0
		.amdhsa_system_sgpr_workgroup_id_x 1
		.amdhsa_system_sgpr_workgroup_id_y 0
		.amdhsa_system_sgpr_workgroup_id_z 0
		.amdhsa_system_sgpr_workgroup_info 0
		.amdhsa_system_vgpr_workitem_id 0
		.amdhsa_next_free_vgpr 49
		.amdhsa_next_free_sgpr 98
		.amdhsa_reserve_vcc 1
		.amdhsa_reserve_flat_scratch 0
		.amdhsa_float_round_mode_32 0
		.amdhsa_float_round_mode_16_64 0
		.amdhsa_float_denorm_mode_32 3
		.amdhsa_float_denorm_mode_16_64 3
		.amdhsa_dx10_clamp 1
		.amdhsa_ieee_mode 1
		.amdhsa_fp16_overflow 0
		.amdhsa_exception_fp_ieee_invalid_op 0
		.amdhsa_exception_fp_denorm_src 0
		.amdhsa_exception_fp_ieee_div_zero 0
		.amdhsa_exception_fp_ieee_overflow 0
		.amdhsa_exception_fp_ieee_underflow 0
		.amdhsa_exception_fp_ieee_inexact 0
		.amdhsa_exception_int_div_zero 0
	.end_amdhsa_kernel
	.section	.text._ZN7rocprim6detail18single_scan_kernelILb0ENS0_19wrapped_scan_configINS_14default_configEiEEN6hipcub22TransformInputIteratorIiNS5_6CastOpIiEEPilEEPdNS5_3SumEiiEEvT1_mT4_T2_T3_,"axG",@progbits,_ZN7rocprim6detail18single_scan_kernelILb0ENS0_19wrapped_scan_configINS_14default_configEiEEN6hipcub22TransformInputIteratorIiNS5_6CastOpIiEEPilEEPdNS5_3SumEiiEEvT1_mT4_T2_T3_,comdat
.Lfunc_end20:
	.size	_ZN7rocprim6detail18single_scan_kernelILb0ENS0_19wrapped_scan_configINS_14default_configEiEEN6hipcub22TransformInputIteratorIiNS5_6CastOpIiEEPilEEPdNS5_3SumEiiEEvT1_mT4_T2_T3_, .Lfunc_end20-_ZN7rocprim6detail18single_scan_kernelILb0ENS0_19wrapped_scan_configINS_14default_configEiEEN6hipcub22TransformInputIteratorIiNS5_6CastOpIiEEPilEEPdNS5_3SumEiiEEvT1_mT4_T2_T3_
                                        ; -- End function
	.set _ZN7rocprim6detail18single_scan_kernelILb0ENS0_19wrapped_scan_configINS_14default_configEiEEN6hipcub22TransformInputIteratorIiNS5_6CastOpIiEEPilEEPdNS5_3SumEiiEEvT1_mT4_T2_T3_.num_vgpr, 40
	.set _ZN7rocprim6detail18single_scan_kernelILb0ENS0_19wrapped_scan_configINS_14default_configEiEEN6hipcub22TransformInputIteratorIiNS5_6CastOpIiEEPilEEPdNS5_3SumEiiEEvT1_mT4_T2_T3_.num_agpr, 0
	.set _ZN7rocprim6detail18single_scan_kernelILb0ENS0_19wrapped_scan_configINS_14default_configEiEEN6hipcub22TransformInputIteratorIiNS5_6CastOpIiEEPilEEPdNS5_3SumEiiEEvT1_mT4_T2_T3_.numbered_sgpr, 36
	.set _ZN7rocprim6detail18single_scan_kernelILb0ENS0_19wrapped_scan_configINS_14default_configEiEEN6hipcub22TransformInputIteratorIiNS5_6CastOpIiEEPilEEPdNS5_3SumEiiEEvT1_mT4_T2_T3_.num_named_barrier, 0
	.set _ZN7rocprim6detail18single_scan_kernelILb0ENS0_19wrapped_scan_configINS_14default_configEiEEN6hipcub22TransformInputIteratorIiNS5_6CastOpIiEEPilEEPdNS5_3SumEiiEEvT1_mT4_T2_T3_.private_seg_size, 0
	.set _ZN7rocprim6detail18single_scan_kernelILb0ENS0_19wrapped_scan_configINS_14default_configEiEEN6hipcub22TransformInputIteratorIiNS5_6CastOpIiEEPilEEPdNS5_3SumEiiEEvT1_mT4_T2_T3_.uses_vcc, 1
	.set _ZN7rocprim6detail18single_scan_kernelILb0ENS0_19wrapped_scan_configINS_14default_configEiEEN6hipcub22TransformInputIteratorIiNS5_6CastOpIiEEPilEEPdNS5_3SumEiiEEvT1_mT4_T2_T3_.uses_flat_scratch, 0
	.set _ZN7rocprim6detail18single_scan_kernelILb0ENS0_19wrapped_scan_configINS_14default_configEiEEN6hipcub22TransformInputIteratorIiNS5_6CastOpIiEEPilEEPdNS5_3SumEiiEEvT1_mT4_T2_T3_.has_dyn_sized_stack, 0
	.set _ZN7rocprim6detail18single_scan_kernelILb0ENS0_19wrapped_scan_configINS_14default_configEiEEN6hipcub22TransformInputIteratorIiNS5_6CastOpIiEEPilEEPdNS5_3SumEiiEEvT1_mT4_T2_T3_.has_recursion, 0
	.set _ZN7rocprim6detail18single_scan_kernelILb0ENS0_19wrapped_scan_configINS_14default_configEiEEN6hipcub22TransformInputIteratorIiNS5_6CastOpIiEEPilEEPdNS5_3SumEiiEEvT1_mT4_T2_T3_.has_indirect_call, 0
	.section	.AMDGPU.csdata,"",@progbits
; Kernel info:
; codeLenInByte = 2452
; TotalNumSgprs: 40
; NumVgprs: 40
; ScratchSize: 0
; MemoryBound: 0
; FloatMode: 240
; IeeeMode: 1
; LDSByteSize: 15360 bytes/workgroup (compile time only)
; SGPRBlocks: 12
; VGPRBlocks: 12
; NumSGPRsForWavesPerEU: 102
; NumVGPRsForWavesPerEU: 49
; Occupancy: 4
; WaveLimiterHint : 0
; COMPUTE_PGM_RSRC2:SCRATCH_EN: 0
; COMPUTE_PGM_RSRC2:USER_SGPR: 6
; COMPUTE_PGM_RSRC2:TRAP_HANDLER: 0
; COMPUTE_PGM_RSRC2:TGID_X_EN: 1
; COMPUTE_PGM_RSRC2:TGID_Y_EN: 0
; COMPUTE_PGM_RSRC2:TGID_Z_EN: 0
; COMPUTE_PGM_RSRC2:TIDIG_COMP_CNT: 0
	.section	.text._ZN7rocprim6detail31init_lookback_scan_state_kernelINS0_19lookback_scan_stateIsLb1ELb1EEEEEvT_jjPNS4_10value_typeE,"axG",@progbits,_ZN7rocprim6detail31init_lookback_scan_state_kernelINS0_19lookback_scan_stateIsLb1ELb1EEEEEvT_jjPNS4_10value_typeE,comdat
	.protected	_ZN7rocprim6detail31init_lookback_scan_state_kernelINS0_19lookback_scan_stateIsLb1ELb1EEEEEvT_jjPNS4_10value_typeE ; -- Begin function _ZN7rocprim6detail31init_lookback_scan_state_kernelINS0_19lookback_scan_stateIsLb1ELb1EEEEEvT_jjPNS4_10value_typeE
	.globl	_ZN7rocprim6detail31init_lookback_scan_state_kernelINS0_19lookback_scan_stateIsLb1ELb1EEEEEvT_jjPNS4_10value_typeE
	.p2align	8
	.type	_ZN7rocprim6detail31init_lookback_scan_state_kernelINS0_19lookback_scan_stateIsLb1ELb1EEEEEvT_jjPNS4_10value_typeE,@function
_ZN7rocprim6detail31init_lookback_scan_state_kernelINS0_19lookback_scan_stateIsLb1ELb1EEEEEvT_jjPNS4_10value_typeE: ; @_ZN7rocprim6detail31init_lookback_scan_state_kernelINS0_19lookback_scan_stateIsLb1ELb1EEEEEvT_jjPNS4_10value_typeE
; %bb.0:
	s_load_dword s7, s[4:5], 0x24
	s_load_dwordx2 s[8:9], s[4:5], 0x10
	s_load_dwordx4 s[0:3], s[4:5], 0x0
	s_waitcnt lgkmcnt(0)
	s_and_b32 s4, s7, 0xffff
	s_mul_i32 s6, s6, s4
	s_cmp_eq_u64 s[8:9], 0
	v_add_u32_e32 v0, s6, v0
	s_cbranch_scc1 .LBB21_9
; %bb.1:
	s_cmp_lt_u32 s3, s2
	s_cselect_b32 s4, s3, 0
	s_mov_b32 s7, 0
	v_cmp_eq_u32_e32 vcc, s4, v0
	s_and_saveexec_b64 s[4:5], vcc
	s_cbranch_execz .LBB21_8
; %bb.2:
	s_add_i32 s6, s3, 64
	s_lshl_b64 s[6:7], s[6:7], 2
	s_add_u32 s6, s0, s6
	s_addc_u32 s7, s1, s7
	v_mov_b32_e32 v1, 0
	global_load_dword v2, v1, s[6:7] glc
	s_waitcnt vmcnt(0)
	v_and_b32_e32 v3, 0xff0000, v2
	v_cmp_ne_u32_e32 vcc, 0, v3
	s_cbranch_vccnz .LBB21_7
; %bb.3:
	s_mov_b32 s3, 1
.LBB21_4:                               ; =>This Loop Header: Depth=1
                                        ;     Child Loop BB21_5 Depth 2
	s_mov_b32 s10, s3
.LBB21_5:                               ;   Parent Loop BB21_4 Depth=1
                                        ; =>  This Inner Loop Header: Depth=2
	s_add_i32 s10, s10, -1
	s_cmp_eq_u32 s10, 0
	s_sleep 1
	s_cbranch_scc0 .LBB21_5
; %bb.6:                                ;   in Loop: Header=BB21_4 Depth=1
	global_load_dword v2, v1, s[6:7] glc
	s_cmp_lt_u32 s3, 32
	s_cselect_b64 s[10:11], -1, 0
	s_cmp_lg_u64 s[10:11], 0
	s_addc_u32 s3, s3, 0
	s_waitcnt vmcnt(0)
	v_and_b32_e32 v3, 0xff0000, v2
	v_cmp_ne_u32_e32 vcc, 0, v3
	s_cbranch_vccz .LBB21_4
.LBB21_7:
	v_mov_b32_e32 v1, 0
	global_store_short v1, v2, s[8:9]
.LBB21_8:
	s_or_b64 exec, exec, s[4:5]
.LBB21_9:
	v_cmp_gt_u32_e32 vcc, s2, v0
	s_and_saveexec_b64 s[2:3], vcc
	s_cbranch_execnz .LBB21_12
; %bb.10:
	s_or_b64 exec, exec, s[2:3]
	v_cmp_gt_u32_e32 vcc, 64, v0
	s_and_saveexec_b64 s[2:3], vcc
	s_cbranch_execnz .LBB21_13
.LBB21_11:
	s_endpgm
.LBB21_12:
	v_add_u32_e32 v1, 64, v0
	v_mov_b32_e32 v2, 0
	v_lshlrev_b64 v[3:4], 2, v[1:2]
	v_mov_b32_e32 v1, s1
	v_add_co_u32_e32 v3, vcc, s0, v3
	v_addc_co_u32_e32 v4, vcc, v1, v4, vcc
	global_store_dword v[3:4], v2, off
	s_or_b64 exec, exec, s[2:3]
	v_cmp_gt_u32_e32 vcc, 64, v0
	s_and_saveexec_b64 s[2:3], vcc
	s_cbranch_execz .LBB21_11
.LBB21_13:
	v_mov_b32_e32 v1, 0
	v_lshlrev_b64 v[0:1], 2, v[0:1]
	v_mov_b32_e32 v2, s1
	v_add_co_u32_e32 v0, vcc, s0, v0
	v_addc_co_u32_e32 v1, vcc, v2, v1, vcc
	v_mov_b32_e32 v2, 0xff0000
	global_store_dword v[0:1], v2, off
	s_endpgm
	.section	.rodata,"a",@progbits
	.p2align	6, 0x0
	.amdhsa_kernel _ZN7rocprim6detail31init_lookback_scan_state_kernelINS0_19lookback_scan_stateIsLb1ELb1EEEEEvT_jjPNS4_10value_typeE
		.amdhsa_group_segment_fixed_size 0
		.amdhsa_private_segment_fixed_size 0
		.amdhsa_kernarg_size 280
		.amdhsa_user_sgpr_count 6
		.amdhsa_user_sgpr_private_segment_buffer 1
		.amdhsa_user_sgpr_dispatch_ptr 0
		.amdhsa_user_sgpr_queue_ptr 0
		.amdhsa_user_sgpr_kernarg_segment_ptr 1
		.amdhsa_user_sgpr_dispatch_id 0
		.amdhsa_user_sgpr_flat_scratch_init 0
		.amdhsa_user_sgpr_private_segment_size 0
		.amdhsa_uses_dynamic_stack 0
		.amdhsa_system_sgpr_private_segment_wavefront_offset 0
		.amdhsa_system_sgpr_workgroup_id_x 1
		.amdhsa_system_sgpr_workgroup_id_y 0
		.amdhsa_system_sgpr_workgroup_id_z 0
		.amdhsa_system_sgpr_workgroup_info 0
		.amdhsa_system_vgpr_workitem_id 0
		.amdhsa_next_free_vgpr 5
		.amdhsa_next_free_sgpr 12
		.amdhsa_reserve_vcc 1
		.amdhsa_reserve_flat_scratch 0
		.amdhsa_float_round_mode_32 0
		.amdhsa_float_round_mode_16_64 0
		.amdhsa_float_denorm_mode_32 3
		.amdhsa_float_denorm_mode_16_64 3
		.amdhsa_dx10_clamp 1
		.amdhsa_ieee_mode 1
		.amdhsa_fp16_overflow 0
		.amdhsa_exception_fp_ieee_invalid_op 0
		.amdhsa_exception_fp_denorm_src 0
		.amdhsa_exception_fp_ieee_div_zero 0
		.amdhsa_exception_fp_ieee_overflow 0
		.amdhsa_exception_fp_ieee_underflow 0
		.amdhsa_exception_fp_ieee_inexact 0
		.amdhsa_exception_int_div_zero 0
	.end_amdhsa_kernel
	.section	.text._ZN7rocprim6detail31init_lookback_scan_state_kernelINS0_19lookback_scan_stateIsLb1ELb1EEEEEvT_jjPNS4_10value_typeE,"axG",@progbits,_ZN7rocprim6detail31init_lookback_scan_state_kernelINS0_19lookback_scan_stateIsLb1ELb1EEEEEvT_jjPNS4_10value_typeE,comdat
.Lfunc_end21:
	.size	_ZN7rocprim6detail31init_lookback_scan_state_kernelINS0_19lookback_scan_stateIsLb1ELb1EEEEEvT_jjPNS4_10value_typeE, .Lfunc_end21-_ZN7rocprim6detail31init_lookback_scan_state_kernelINS0_19lookback_scan_stateIsLb1ELb1EEEEEvT_jjPNS4_10value_typeE
                                        ; -- End function
	.set _ZN7rocprim6detail31init_lookback_scan_state_kernelINS0_19lookback_scan_stateIsLb1ELb1EEEEEvT_jjPNS4_10value_typeE.num_vgpr, 5
	.set _ZN7rocprim6detail31init_lookback_scan_state_kernelINS0_19lookback_scan_stateIsLb1ELb1EEEEEvT_jjPNS4_10value_typeE.num_agpr, 0
	.set _ZN7rocprim6detail31init_lookback_scan_state_kernelINS0_19lookback_scan_stateIsLb1ELb1EEEEEvT_jjPNS4_10value_typeE.numbered_sgpr, 12
	.set _ZN7rocprim6detail31init_lookback_scan_state_kernelINS0_19lookback_scan_stateIsLb1ELb1EEEEEvT_jjPNS4_10value_typeE.num_named_barrier, 0
	.set _ZN7rocprim6detail31init_lookback_scan_state_kernelINS0_19lookback_scan_stateIsLb1ELb1EEEEEvT_jjPNS4_10value_typeE.private_seg_size, 0
	.set _ZN7rocprim6detail31init_lookback_scan_state_kernelINS0_19lookback_scan_stateIsLb1ELb1EEEEEvT_jjPNS4_10value_typeE.uses_vcc, 1
	.set _ZN7rocprim6detail31init_lookback_scan_state_kernelINS0_19lookback_scan_stateIsLb1ELb1EEEEEvT_jjPNS4_10value_typeE.uses_flat_scratch, 0
	.set _ZN7rocprim6detail31init_lookback_scan_state_kernelINS0_19lookback_scan_stateIsLb1ELb1EEEEEvT_jjPNS4_10value_typeE.has_dyn_sized_stack, 0
	.set _ZN7rocprim6detail31init_lookback_scan_state_kernelINS0_19lookback_scan_stateIsLb1ELb1EEEEEvT_jjPNS4_10value_typeE.has_recursion, 0
	.set _ZN7rocprim6detail31init_lookback_scan_state_kernelINS0_19lookback_scan_stateIsLb1ELb1EEEEEvT_jjPNS4_10value_typeE.has_indirect_call, 0
	.section	.AMDGPU.csdata,"",@progbits
; Kernel info:
; codeLenInByte = 336
; TotalNumSgprs: 16
; NumVgprs: 5
; ScratchSize: 0
; MemoryBound: 0
; FloatMode: 240
; IeeeMode: 1
; LDSByteSize: 0 bytes/workgroup (compile time only)
; SGPRBlocks: 1
; VGPRBlocks: 1
; NumSGPRsForWavesPerEU: 16
; NumVGPRsForWavesPerEU: 5
; Occupancy: 10
; WaveLimiterHint : 0
; COMPUTE_PGM_RSRC2:SCRATCH_EN: 0
; COMPUTE_PGM_RSRC2:USER_SGPR: 6
; COMPUTE_PGM_RSRC2:TRAP_HANDLER: 0
; COMPUTE_PGM_RSRC2:TGID_X_EN: 1
; COMPUTE_PGM_RSRC2:TGID_Y_EN: 0
; COMPUTE_PGM_RSRC2:TGID_Z_EN: 0
; COMPUTE_PGM_RSRC2:TIDIG_COMP_CNT: 0
	.section	.text._ZN7rocprim6detail31init_lookback_scan_state_kernelINS0_19lookback_scan_stateIsLb0ELb1EEEEEvT_jjPNS4_10value_typeE,"axG",@progbits,_ZN7rocprim6detail31init_lookback_scan_state_kernelINS0_19lookback_scan_stateIsLb0ELb1EEEEEvT_jjPNS4_10value_typeE,comdat
	.protected	_ZN7rocprim6detail31init_lookback_scan_state_kernelINS0_19lookback_scan_stateIsLb0ELb1EEEEEvT_jjPNS4_10value_typeE ; -- Begin function _ZN7rocprim6detail31init_lookback_scan_state_kernelINS0_19lookback_scan_stateIsLb0ELb1EEEEEvT_jjPNS4_10value_typeE
	.globl	_ZN7rocprim6detail31init_lookback_scan_state_kernelINS0_19lookback_scan_stateIsLb0ELb1EEEEEvT_jjPNS4_10value_typeE
	.p2align	8
	.type	_ZN7rocprim6detail31init_lookback_scan_state_kernelINS0_19lookback_scan_stateIsLb0ELb1EEEEEvT_jjPNS4_10value_typeE,@function
_ZN7rocprim6detail31init_lookback_scan_state_kernelINS0_19lookback_scan_stateIsLb0ELb1EEEEEvT_jjPNS4_10value_typeE: ; @_ZN7rocprim6detail31init_lookback_scan_state_kernelINS0_19lookback_scan_stateIsLb0ELb1EEEEEvT_jjPNS4_10value_typeE
; %bb.0:
	s_load_dword s7, s[4:5], 0x24
	s_load_dwordx2 s[8:9], s[4:5], 0x10
	s_load_dwordx4 s[0:3], s[4:5], 0x0
	s_waitcnt lgkmcnt(0)
	s_and_b32 s4, s7, 0xffff
	s_mul_i32 s6, s6, s4
	s_cmp_eq_u64 s[8:9], 0
	v_add_u32_e32 v0, s6, v0
	s_cbranch_scc1 .LBB22_6
; %bb.1:
	s_cmp_lt_u32 s3, s2
	s_cselect_b32 s4, s3, 0
	s_mov_b32 s7, 0
	v_cmp_eq_u32_e32 vcc, s4, v0
	s_and_saveexec_b64 s[4:5], vcc
	s_cbranch_execz .LBB22_5
; %bb.2:
	s_add_i32 s6, s3, 64
	s_lshl_b64 s[6:7], s[6:7], 2
	s_add_u32 s6, s0, s6
	s_addc_u32 s7, s1, s7
	v_mov_b32_e32 v2, 0
	global_load_dword v1, v2, s[6:7] glc
	s_waitcnt vmcnt(0)
	v_and_b32_e32 v3, 0xff0000, v1
	v_cmp_ne_u32_e32 vcc, 0, v3
	s_cbranch_vccnz .LBB22_4
.LBB22_3:                               ; =>This Inner Loop Header: Depth=1
	global_load_dword v1, v2, s[6:7] glc
	s_waitcnt vmcnt(0)
	v_and_b32_e32 v3, 0xff0000, v1
	v_cmp_eq_u32_e32 vcc, 0, v3
	s_cbranch_vccnz .LBB22_3
.LBB22_4:
	v_mov_b32_e32 v2, 0
	global_store_short v2, v1, s[8:9]
.LBB22_5:
	s_or_b64 exec, exec, s[4:5]
.LBB22_6:
	v_cmp_gt_u32_e32 vcc, s2, v0
	s_and_saveexec_b64 s[2:3], vcc
	s_cbranch_execnz .LBB22_9
; %bb.7:
	s_or_b64 exec, exec, s[2:3]
	v_cmp_gt_u32_e32 vcc, 64, v0
	s_and_saveexec_b64 s[2:3], vcc
	s_cbranch_execnz .LBB22_10
.LBB22_8:
	s_endpgm
.LBB22_9:
	v_add_u32_e32 v1, 64, v0
	v_mov_b32_e32 v2, 0
	v_lshlrev_b64 v[3:4], 2, v[1:2]
	v_mov_b32_e32 v1, s1
	v_add_co_u32_e32 v3, vcc, s0, v3
	v_addc_co_u32_e32 v4, vcc, v1, v4, vcc
	global_store_dword v[3:4], v2, off
	s_or_b64 exec, exec, s[2:3]
	v_cmp_gt_u32_e32 vcc, 64, v0
	s_and_saveexec_b64 s[2:3], vcc
	s_cbranch_execz .LBB22_8
.LBB22_10:
	v_mov_b32_e32 v1, 0
	v_lshlrev_b64 v[0:1], 2, v[0:1]
	v_mov_b32_e32 v2, s1
	v_add_co_u32_e32 v0, vcc, s0, v0
	v_addc_co_u32_e32 v1, vcc, v2, v1, vcc
	v_mov_b32_e32 v2, 0xff0000
	global_store_dword v[0:1], v2, off
	s_endpgm
	.section	.rodata,"a",@progbits
	.p2align	6, 0x0
	.amdhsa_kernel _ZN7rocprim6detail31init_lookback_scan_state_kernelINS0_19lookback_scan_stateIsLb0ELb1EEEEEvT_jjPNS4_10value_typeE
		.amdhsa_group_segment_fixed_size 0
		.amdhsa_private_segment_fixed_size 0
		.amdhsa_kernarg_size 280
		.amdhsa_user_sgpr_count 6
		.amdhsa_user_sgpr_private_segment_buffer 1
		.amdhsa_user_sgpr_dispatch_ptr 0
		.amdhsa_user_sgpr_queue_ptr 0
		.amdhsa_user_sgpr_kernarg_segment_ptr 1
		.amdhsa_user_sgpr_dispatch_id 0
		.amdhsa_user_sgpr_flat_scratch_init 0
		.amdhsa_user_sgpr_private_segment_size 0
		.amdhsa_uses_dynamic_stack 0
		.amdhsa_system_sgpr_private_segment_wavefront_offset 0
		.amdhsa_system_sgpr_workgroup_id_x 1
		.amdhsa_system_sgpr_workgroup_id_y 0
		.amdhsa_system_sgpr_workgroup_id_z 0
		.amdhsa_system_sgpr_workgroup_info 0
		.amdhsa_system_vgpr_workitem_id 0
		.amdhsa_next_free_vgpr 5
		.amdhsa_next_free_sgpr 10
		.amdhsa_reserve_vcc 1
		.amdhsa_reserve_flat_scratch 0
		.amdhsa_float_round_mode_32 0
		.amdhsa_float_round_mode_16_64 0
		.amdhsa_float_denorm_mode_32 3
		.amdhsa_float_denorm_mode_16_64 3
		.amdhsa_dx10_clamp 1
		.amdhsa_ieee_mode 1
		.amdhsa_fp16_overflow 0
		.amdhsa_exception_fp_ieee_invalid_op 0
		.amdhsa_exception_fp_denorm_src 0
		.amdhsa_exception_fp_ieee_div_zero 0
		.amdhsa_exception_fp_ieee_overflow 0
		.amdhsa_exception_fp_ieee_underflow 0
		.amdhsa_exception_fp_ieee_inexact 0
		.amdhsa_exception_int_div_zero 0
	.end_amdhsa_kernel
	.section	.text._ZN7rocprim6detail31init_lookback_scan_state_kernelINS0_19lookback_scan_stateIsLb0ELb1EEEEEvT_jjPNS4_10value_typeE,"axG",@progbits,_ZN7rocprim6detail31init_lookback_scan_state_kernelINS0_19lookback_scan_stateIsLb0ELb1EEEEEvT_jjPNS4_10value_typeE,comdat
.Lfunc_end22:
	.size	_ZN7rocprim6detail31init_lookback_scan_state_kernelINS0_19lookback_scan_stateIsLb0ELb1EEEEEvT_jjPNS4_10value_typeE, .Lfunc_end22-_ZN7rocprim6detail31init_lookback_scan_state_kernelINS0_19lookback_scan_stateIsLb0ELb1EEEEEvT_jjPNS4_10value_typeE
                                        ; -- End function
	.set _ZN7rocprim6detail31init_lookback_scan_state_kernelINS0_19lookback_scan_stateIsLb0ELb1EEEEEvT_jjPNS4_10value_typeE.num_vgpr, 5
	.set _ZN7rocprim6detail31init_lookback_scan_state_kernelINS0_19lookback_scan_stateIsLb0ELb1EEEEEvT_jjPNS4_10value_typeE.num_agpr, 0
	.set _ZN7rocprim6detail31init_lookback_scan_state_kernelINS0_19lookback_scan_stateIsLb0ELb1EEEEEvT_jjPNS4_10value_typeE.numbered_sgpr, 10
	.set _ZN7rocprim6detail31init_lookback_scan_state_kernelINS0_19lookback_scan_stateIsLb0ELb1EEEEEvT_jjPNS4_10value_typeE.num_named_barrier, 0
	.set _ZN7rocprim6detail31init_lookback_scan_state_kernelINS0_19lookback_scan_stateIsLb0ELb1EEEEEvT_jjPNS4_10value_typeE.private_seg_size, 0
	.set _ZN7rocprim6detail31init_lookback_scan_state_kernelINS0_19lookback_scan_stateIsLb0ELb1EEEEEvT_jjPNS4_10value_typeE.uses_vcc, 1
	.set _ZN7rocprim6detail31init_lookback_scan_state_kernelINS0_19lookback_scan_stateIsLb0ELb1EEEEEvT_jjPNS4_10value_typeE.uses_flat_scratch, 0
	.set _ZN7rocprim6detail31init_lookback_scan_state_kernelINS0_19lookback_scan_stateIsLb0ELb1EEEEEvT_jjPNS4_10value_typeE.has_dyn_sized_stack, 0
	.set _ZN7rocprim6detail31init_lookback_scan_state_kernelINS0_19lookback_scan_stateIsLb0ELb1EEEEEvT_jjPNS4_10value_typeE.has_recursion, 0
	.set _ZN7rocprim6detail31init_lookback_scan_state_kernelINS0_19lookback_scan_stateIsLb0ELb1EEEEEvT_jjPNS4_10value_typeE.has_indirect_call, 0
	.section	.AMDGPU.csdata,"",@progbits
; Kernel info:
; codeLenInByte = 296
; TotalNumSgprs: 14
; NumVgprs: 5
; ScratchSize: 0
; MemoryBound: 0
; FloatMode: 240
; IeeeMode: 1
; LDSByteSize: 0 bytes/workgroup (compile time only)
; SGPRBlocks: 1
; VGPRBlocks: 1
; NumSGPRsForWavesPerEU: 14
; NumVGPRsForWavesPerEU: 5
; Occupancy: 10
; WaveLimiterHint : 0
; COMPUTE_PGM_RSRC2:SCRATCH_EN: 0
; COMPUTE_PGM_RSRC2:USER_SGPR: 6
; COMPUTE_PGM_RSRC2:TRAP_HANDLER: 0
; COMPUTE_PGM_RSRC2:TGID_X_EN: 1
; COMPUTE_PGM_RSRC2:TGID_Y_EN: 0
; COMPUTE_PGM_RSRC2:TGID_Z_EN: 0
; COMPUTE_PGM_RSRC2:TIDIG_COMP_CNT: 0
	.section	.text._ZN7rocprim6detail20lookback_scan_kernelILNS0_25lookback_scan_determinismE0ELb0ENS0_19wrapped_scan_configINS_14default_configEsEEN6hipcub22TransformInputIteratorIsNS6_6CastOpIsEEPslEEPfNS6_3MaxEssNS0_19lookback_scan_stateIsLb1ELb1EEEEEvT2_T3_mT5_T4_T7_jPT6_SM_bb,"axG",@progbits,_ZN7rocprim6detail20lookback_scan_kernelILNS0_25lookback_scan_determinismE0ELb0ENS0_19wrapped_scan_configINS_14default_configEsEEN6hipcub22TransformInputIteratorIsNS6_6CastOpIsEEPslEEPfNS6_3MaxEssNS0_19lookback_scan_stateIsLb1ELb1EEEEEvT2_T3_mT5_T4_T7_jPT6_SM_bb,comdat
	.protected	_ZN7rocprim6detail20lookback_scan_kernelILNS0_25lookback_scan_determinismE0ELb0ENS0_19wrapped_scan_configINS_14default_configEsEEN6hipcub22TransformInputIteratorIsNS6_6CastOpIsEEPslEEPfNS6_3MaxEssNS0_19lookback_scan_stateIsLb1ELb1EEEEEvT2_T3_mT5_T4_T7_jPT6_SM_bb ; -- Begin function _ZN7rocprim6detail20lookback_scan_kernelILNS0_25lookback_scan_determinismE0ELb0ENS0_19wrapped_scan_configINS_14default_configEsEEN6hipcub22TransformInputIteratorIsNS6_6CastOpIsEEPslEEPfNS6_3MaxEssNS0_19lookback_scan_stateIsLb1ELb1EEEEEvT2_T3_mT5_T4_T7_jPT6_SM_bb
	.globl	_ZN7rocprim6detail20lookback_scan_kernelILNS0_25lookback_scan_determinismE0ELb0ENS0_19wrapped_scan_configINS_14default_configEsEEN6hipcub22TransformInputIteratorIsNS6_6CastOpIsEEPslEEPfNS6_3MaxEssNS0_19lookback_scan_stateIsLb1ELb1EEEEEvT2_T3_mT5_T4_T7_jPT6_SM_bb
	.p2align	8
	.type	_ZN7rocprim6detail20lookback_scan_kernelILNS0_25lookback_scan_determinismE0ELb0ENS0_19wrapped_scan_configINS_14default_configEsEEN6hipcub22TransformInputIteratorIsNS6_6CastOpIsEEPslEEPfNS6_3MaxEssNS0_19lookback_scan_stateIsLb1ELb1EEEEEvT2_T3_mT5_T4_T7_jPT6_SM_bb,@function
_ZN7rocprim6detail20lookback_scan_kernelILNS0_25lookback_scan_determinismE0ELb0ENS0_19wrapped_scan_configINS_14default_configEsEEN6hipcub22TransformInputIteratorIsNS6_6CastOpIsEEPslEEPfNS6_3MaxEssNS0_19lookback_scan_stateIsLb1ELb1EEEEEvT2_T3_mT5_T4_T7_jPT6_SM_bb: ; @_ZN7rocprim6detail20lookback_scan_kernelILNS0_25lookback_scan_determinismE0ELb0ENS0_19wrapped_scan_configINS_14default_configEsEEN6hipcub22TransformInputIteratorIsNS6_6CastOpIsEEPslEEPfNS6_3MaxEssNS0_19lookback_scan_stateIsLb1ELb1EEEEEvT2_T3_mT5_T4_T7_jPT6_SM_bb
; %bb.0:
	s_endpgm
	.section	.rodata,"a",@progbits
	.p2align	6, 0x0
	.amdhsa_kernel _ZN7rocprim6detail20lookback_scan_kernelILNS0_25lookback_scan_determinismE0ELb0ENS0_19wrapped_scan_configINS_14default_configEsEEN6hipcub22TransformInputIteratorIsNS6_6CastOpIsEEPslEEPfNS6_3MaxEssNS0_19lookback_scan_stateIsLb1ELb1EEEEEvT2_T3_mT5_T4_T7_jPT6_SM_bb
		.amdhsa_group_segment_fixed_size 0
		.amdhsa_private_segment_fixed_size 0
		.amdhsa_kernarg_size 76
		.amdhsa_user_sgpr_count 6
		.amdhsa_user_sgpr_private_segment_buffer 1
		.amdhsa_user_sgpr_dispatch_ptr 0
		.amdhsa_user_sgpr_queue_ptr 0
		.amdhsa_user_sgpr_kernarg_segment_ptr 1
		.amdhsa_user_sgpr_dispatch_id 0
		.amdhsa_user_sgpr_flat_scratch_init 0
		.amdhsa_user_sgpr_private_segment_size 0
		.amdhsa_uses_dynamic_stack 0
		.amdhsa_system_sgpr_private_segment_wavefront_offset 0
		.amdhsa_system_sgpr_workgroup_id_x 1
		.amdhsa_system_sgpr_workgroup_id_y 0
		.amdhsa_system_sgpr_workgroup_id_z 0
		.amdhsa_system_sgpr_workgroup_info 0
		.amdhsa_system_vgpr_workitem_id 0
		.amdhsa_next_free_vgpr 1
		.amdhsa_next_free_sgpr 0
		.amdhsa_reserve_vcc 0
		.amdhsa_reserve_flat_scratch 0
		.amdhsa_float_round_mode_32 0
		.amdhsa_float_round_mode_16_64 0
		.amdhsa_float_denorm_mode_32 3
		.amdhsa_float_denorm_mode_16_64 3
		.amdhsa_dx10_clamp 1
		.amdhsa_ieee_mode 1
		.amdhsa_fp16_overflow 0
		.amdhsa_exception_fp_ieee_invalid_op 0
		.amdhsa_exception_fp_denorm_src 0
		.amdhsa_exception_fp_ieee_div_zero 0
		.amdhsa_exception_fp_ieee_overflow 0
		.amdhsa_exception_fp_ieee_underflow 0
		.amdhsa_exception_fp_ieee_inexact 0
		.amdhsa_exception_int_div_zero 0
	.end_amdhsa_kernel
	.section	.text._ZN7rocprim6detail20lookback_scan_kernelILNS0_25lookback_scan_determinismE0ELb0ENS0_19wrapped_scan_configINS_14default_configEsEEN6hipcub22TransformInputIteratorIsNS6_6CastOpIsEEPslEEPfNS6_3MaxEssNS0_19lookback_scan_stateIsLb1ELb1EEEEEvT2_T3_mT5_T4_T7_jPT6_SM_bb,"axG",@progbits,_ZN7rocprim6detail20lookback_scan_kernelILNS0_25lookback_scan_determinismE0ELb0ENS0_19wrapped_scan_configINS_14default_configEsEEN6hipcub22TransformInputIteratorIsNS6_6CastOpIsEEPslEEPfNS6_3MaxEssNS0_19lookback_scan_stateIsLb1ELb1EEEEEvT2_T3_mT5_T4_T7_jPT6_SM_bb,comdat
.Lfunc_end23:
	.size	_ZN7rocprim6detail20lookback_scan_kernelILNS0_25lookback_scan_determinismE0ELb0ENS0_19wrapped_scan_configINS_14default_configEsEEN6hipcub22TransformInputIteratorIsNS6_6CastOpIsEEPslEEPfNS6_3MaxEssNS0_19lookback_scan_stateIsLb1ELb1EEEEEvT2_T3_mT5_T4_T7_jPT6_SM_bb, .Lfunc_end23-_ZN7rocprim6detail20lookback_scan_kernelILNS0_25lookback_scan_determinismE0ELb0ENS0_19wrapped_scan_configINS_14default_configEsEEN6hipcub22TransformInputIteratorIsNS6_6CastOpIsEEPslEEPfNS6_3MaxEssNS0_19lookback_scan_stateIsLb1ELb1EEEEEvT2_T3_mT5_T4_T7_jPT6_SM_bb
                                        ; -- End function
	.set _ZN7rocprim6detail20lookback_scan_kernelILNS0_25lookback_scan_determinismE0ELb0ENS0_19wrapped_scan_configINS_14default_configEsEEN6hipcub22TransformInputIteratorIsNS6_6CastOpIsEEPslEEPfNS6_3MaxEssNS0_19lookback_scan_stateIsLb1ELb1EEEEEvT2_T3_mT5_T4_T7_jPT6_SM_bb.num_vgpr, 0
	.set _ZN7rocprim6detail20lookback_scan_kernelILNS0_25lookback_scan_determinismE0ELb0ENS0_19wrapped_scan_configINS_14default_configEsEEN6hipcub22TransformInputIteratorIsNS6_6CastOpIsEEPslEEPfNS6_3MaxEssNS0_19lookback_scan_stateIsLb1ELb1EEEEEvT2_T3_mT5_T4_T7_jPT6_SM_bb.num_agpr, 0
	.set _ZN7rocprim6detail20lookback_scan_kernelILNS0_25lookback_scan_determinismE0ELb0ENS0_19wrapped_scan_configINS_14default_configEsEEN6hipcub22TransformInputIteratorIsNS6_6CastOpIsEEPslEEPfNS6_3MaxEssNS0_19lookback_scan_stateIsLb1ELb1EEEEEvT2_T3_mT5_T4_T7_jPT6_SM_bb.numbered_sgpr, 0
	.set _ZN7rocprim6detail20lookback_scan_kernelILNS0_25lookback_scan_determinismE0ELb0ENS0_19wrapped_scan_configINS_14default_configEsEEN6hipcub22TransformInputIteratorIsNS6_6CastOpIsEEPslEEPfNS6_3MaxEssNS0_19lookback_scan_stateIsLb1ELb1EEEEEvT2_T3_mT5_T4_T7_jPT6_SM_bb.num_named_barrier, 0
	.set _ZN7rocprim6detail20lookback_scan_kernelILNS0_25lookback_scan_determinismE0ELb0ENS0_19wrapped_scan_configINS_14default_configEsEEN6hipcub22TransformInputIteratorIsNS6_6CastOpIsEEPslEEPfNS6_3MaxEssNS0_19lookback_scan_stateIsLb1ELb1EEEEEvT2_T3_mT5_T4_T7_jPT6_SM_bb.private_seg_size, 0
	.set _ZN7rocprim6detail20lookback_scan_kernelILNS0_25lookback_scan_determinismE0ELb0ENS0_19wrapped_scan_configINS_14default_configEsEEN6hipcub22TransformInputIteratorIsNS6_6CastOpIsEEPslEEPfNS6_3MaxEssNS0_19lookback_scan_stateIsLb1ELb1EEEEEvT2_T3_mT5_T4_T7_jPT6_SM_bb.uses_vcc, 0
	.set _ZN7rocprim6detail20lookback_scan_kernelILNS0_25lookback_scan_determinismE0ELb0ENS0_19wrapped_scan_configINS_14default_configEsEEN6hipcub22TransformInputIteratorIsNS6_6CastOpIsEEPslEEPfNS6_3MaxEssNS0_19lookback_scan_stateIsLb1ELb1EEEEEvT2_T3_mT5_T4_T7_jPT6_SM_bb.uses_flat_scratch, 0
	.set _ZN7rocprim6detail20lookback_scan_kernelILNS0_25lookback_scan_determinismE0ELb0ENS0_19wrapped_scan_configINS_14default_configEsEEN6hipcub22TransformInputIteratorIsNS6_6CastOpIsEEPslEEPfNS6_3MaxEssNS0_19lookback_scan_stateIsLb1ELb1EEEEEvT2_T3_mT5_T4_T7_jPT6_SM_bb.has_dyn_sized_stack, 0
	.set _ZN7rocprim6detail20lookback_scan_kernelILNS0_25lookback_scan_determinismE0ELb0ENS0_19wrapped_scan_configINS_14default_configEsEEN6hipcub22TransformInputIteratorIsNS6_6CastOpIsEEPslEEPfNS6_3MaxEssNS0_19lookback_scan_stateIsLb1ELb1EEEEEvT2_T3_mT5_T4_T7_jPT6_SM_bb.has_recursion, 0
	.set _ZN7rocprim6detail20lookback_scan_kernelILNS0_25lookback_scan_determinismE0ELb0ENS0_19wrapped_scan_configINS_14default_configEsEEN6hipcub22TransformInputIteratorIsNS6_6CastOpIsEEPslEEPfNS6_3MaxEssNS0_19lookback_scan_stateIsLb1ELb1EEEEEvT2_T3_mT5_T4_T7_jPT6_SM_bb.has_indirect_call, 0
	.section	.AMDGPU.csdata,"",@progbits
; Kernel info:
; codeLenInByte = 4
; TotalNumSgprs: 4
; NumVgprs: 0
; ScratchSize: 0
; MemoryBound: 0
; FloatMode: 240
; IeeeMode: 1
; LDSByteSize: 0 bytes/workgroup (compile time only)
; SGPRBlocks: 0
; VGPRBlocks: 0
; NumSGPRsForWavesPerEU: 4
; NumVGPRsForWavesPerEU: 1
; Occupancy: 10
; WaveLimiterHint : 0
; COMPUTE_PGM_RSRC2:SCRATCH_EN: 0
; COMPUTE_PGM_RSRC2:USER_SGPR: 6
; COMPUTE_PGM_RSRC2:TRAP_HANDLER: 0
; COMPUTE_PGM_RSRC2:TGID_X_EN: 1
; COMPUTE_PGM_RSRC2:TGID_Y_EN: 0
; COMPUTE_PGM_RSRC2:TGID_Z_EN: 0
; COMPUTE_PGM_RSRC2:TIDIG_COMP_CNT: 0
	.section	.text._ZN7rocprim6detail20lookback_scan_kernelILNS0_25lookback_scan_determinismE0ELb0ENS0_19wrapped_scan_configINS_14default_configEsEEN6hipcub22TransformInputIteratorIsNS6_6CastOpIsEEPslEEPfNS6_3MaxEssNS0_19lookback_scan_stateIsLb0ELb1EEEEEvT2_T3_mT5_T4_T7_jPT6_SM_bb,"axG",@progbits,_ZN7rocprim6detail20lookback_scan_kernelILNS0_25lookback_scan_determinismE0ELb0ENS0_19wrapped_scan_configINS_14default_configEsEEN6hipcub22TransformInputIteratorIsNS6_6CastOpIsEEPslEEPfNS6_3MaxEssNS0_19lookback_scan_stateIsLb0ELb1EEEEEvT2_T3_mT5_T4_T7_jPT6_SM_bb,comdat
	.protected	_ZN7rocprim6detail20lookback_scan_kernelILNS0_25lookback_scan_determinismE0ELb0ENS0_19wrapped_scan_configINS_14default_configEsEEN6hipcub22TransformInputIteratorIsNS6_6CastOpIsEEPslEEPfNS6_3MaxEssNS0_19lookback_scan_stateIsLb0ELb1EEEEEvT2_T3_mT5_T4_T7_jPT6_SM_bb ; -- Begin function _ZN7rocprim6detail20lookback_scan_kernelILNS0_25lookback_scan_determinismE0ELb0ENS0_19wrapped_scan_configINS_14default_configEsEEN6hipcub22TransformInputIteratorIsNS6_6CastOpIsEEPslEEPfNS6_3MaxEssNS0_19lookback_scan_stateIsLb0ELb1EEEEEvT2_T3_mT5_T4_T7_jPT6_SM_bb
	.globl	_ZN7rocprim6detail20lookback_scan_kernelILNS0_25lookback_scan_determinismE0ELb0ENS0_19wrapped_scan_configINS_14default_configEsEEN6hipcub22TransformInputIteratorIsNS6_6CastOpIsEEPslEEPfNS6_3MaxEssNS0_19lookback_scan_stateIsLb0ELb1EEEEEvT2_T3_mT5_T4_T7_jPT6_SM_bb
	.p2align	8
	.type	_ZN7rocprim6detail20lookback_scan_kernelILNS0_25lookback_scan_determinismE0ELb0ENS0_19wrapped_scan_configINS_14default_configEsEEN6hipcub22TransformInputIteratorIsNS6_6CastOpIsEEPslEEPfNS6_3MaxEssNS0_19lookback_scan_stateIsLb0ELb1EEEEEvT2_T3_mT5_T4_T7_jPT6_SM_bb,@function
_ZN7rocprim6detail20lookback_scan_kernelILNS0_25lookback_scan_determinismE0ELb0ENS0_19wrapped_scan_configINS_14default_configEsEEN6hipcub22TransformInputIteratorIsNS6_6CastOpIsEEPslEEPfNS6_3MaxEssNS0_19lookback_scan_stateIsLb0ELb1EEEEEvT2_T3_mT5_T4_T7_jPT6_SM_bb: ; @_ZN7rocprim6detail20lookback_scan_kernelILNS0_25lookback_scan_determinismE0ELb0ENS0_19wrapped_scan_configINS_14default_configEsEEN6hipcub22TransformInputIteratorIsNS6_6CastOpIsEEPslEEPfNS6_3MaxEssNS0_19lookback_scan_stateIsLb0ELb1EEEEEvT2_T3_mT5_T4_T7_jPT6_SM_bb
; %bb.0:
	s_load_dword s2, s[4:5], 0x30
	s_load_dwordx2 s[0:1], s[4:5], 0x0
	s_load_dwordx4 s[12:15], s[4:5], 0x10
	s_mul_i32 s16, s6, 0x1800
	s_mov_b32 s17, 0
	s_waitcnt lgkmcnt(0)
	s_add_i32 s2, s2, -1
	s_mul_i32 s3, s2, 0x1800
	s_sub_u32 s22, s14, s3
	s_subb_u32 s23, s15, 0
	s_cmp_lg_u32 s6, s2
	s_cselect_b64 s[14:15], -1, 0
	s_lshl_b64 s[2:3], s[16:17], 1
	s_add_u32 s2, s0, s2
	s_addc_u32 s3, s1, s3
	s_mov_b64 s[0:1], -1
	s_and_b64 vcc, exec, s[14:15]
	v_lshlrev_b32_e32 v29, 1, v0
	s_cbranch_vccz .LBB24_2
; %bb.1:
	v_mov_b32_e32 v1, s3
	v_add_co_u32_e32 v3, vcc, s2, v29
	v_addc_co_u32_e32 v4, vcc, 0, v1, vcc
	v_add_co_u32_e32 v1, vcc, 0x1000, v3
	v_addc_co_u32_e32 v2, vcc, 0, v4, vcc
	global_load_ushort v5, v29, s[2:3]
	global_load_ushort v6, v29, s[2:3] offset:512
	global_load_ushort v7, v29, s[2:3] offset:1024
	;; [unrolled: 1-line block ×7, first 2 shown]
	global_load_ushort v13, v[1:2], off
	global_load_ushort v14, v[1:2], off offset:512
	global_load_ushort v15, v[1:2], off offset:1024
	global_load_ushort v16, v[1:2], off offset:1536
	global_load_ushort v17, v[1:2], off offset:2048
	global_load_ushort v18, v[1:2], off offset:2560
	global_load_ushort v19, v[1:2], off offset:3072
	global_load_ushort v20, v[1:2], off offset:3584
	v_add_co_u32_e32 v1, vcc, 0x2000, v3
	v_addc_co_u32_e32 v2, vcc, 0, v4, vcc
	global_load_ushort v3, v[1:2], off
	global_load_ushort v4, v[1:2], off offset:512
	global_load_ushort v21, v[1:2], off offset:1024
	;; [unrolled: 1-line block ×7, first 2 shown]
	s_mov_b64 s[0:1], 0
	s_waitcnt vmcnt(23)
	ds_write_b16 v29, v5
	s_waitcnt vmcnt(22)
	ds_write_b16 v29, v6 offset:512
	s_waitcnt vmcnt(21)
	ds_write_b16 v29, v7 offset:1024
	;; [unrolled: 2-line block ×23, first 2 shown]
	s_waitcnt lgkmcnt(0)
	s_barrier
.LBB24_2:
	s_andn2_b64 vcc, exec, s[0:1]
	v_cmp_gt_u32_e64 s[0:1], s22, v0
	s_cbranch_vccnz .LBB24_52
; %bb.3:
	v_mov_b32_e32 v1, 0
	global_load_ushort v19, v1, s[2:3]
	v_mov_b32_e32 v13, s3
	v_add_co_u32_e32 v17, vcc, s2, v29
	v_addc_co_u32_e32 v18, vcc, 0, v13, vcc
	s_waitcnt vmcnt(0)
	v_and_b32_e32 v1, 0xffff, v19
	v_lshl_or_b32 v1, v19, 16, v1
	v_mov_b32_e32 v2, v1
	v_mov_b32_e32 v3, v1
	;; [unrolled: 1-line block ×11, first 2 shown]
	s_and_saveexec_b64 s[2:3], s[0:1]
	s_cbranch_execz .LBB24_5
; %bb.4:
	global_load_ushort v19, v[17:18], off
	s_mov_b32 s0, 0xffff
	v_mov_b32_e32 v3, v1
	v_mov_b32_e32 v4, v1
	v_mov_b32_e32 v5, v1
	v_mov_b32_e32 v6, v1
	v_mov_b32_e32 v7, v1
	v_mov_b32_e32 v8, v1
	v_mov_b32_e32 v9, v1
	v_mov_b32_e32 v10, v1
	v_mov_b32_e32 v11, v1
	v_mov_b32_e32 v12, v1
	v_mov_b32_e32 v13, v1
	s_waitcnt vmcnt(0)
	v_bfi_b32 v2, s0, v19, v1
	v_mov_b32_e32 v1, v2
	v_mov_b32_e32 v2, v3
	;; [unrolled: 1-line block ×16, first 2 shown]
.LBB24_5:
	s_or_b64 exec, exec, s[2:3]
	v_or_b32_e32 v13, 0x100, v0
	v_cmp_gt_u32_e32 vcc, s22, v13
	s_and_saveexec_b64 s[0:1], vcc
	s_cbranch_execz .LBB24_7
; %bb.6:
	global_load_ushort v13, v[17:18], off offset:512
	s_mov_b32 s2, 0x5040100
	s_waitcnt vmcnt(0)
	v_perm_b32 v1, v13, v1, s2
.LBB24_7:
	s_or_b64 exec, exec, s[0:1]
	v_or_b32_e32 v13, 0x200, v0
	v_cmp_gt_u32_e32 vcc, s22, v13
	s_and_saveexec_b64 s[0:1], vcc
	s_cbranch_execz .LBB24_9
; %bb.8:
	global_load_ushort v13, v[17:18], off offset:1024
	s_mov_b32 s2, 0xffff
	s_waitcnt vmcnt(0)
	v_bfi_b32 v2, s2, v13, v2
.LBB24_9:
	s_or_b64 exec, exec, s[0:1]
	v_or_b32_e32 v13, 0x300, v0
	v_cmp_gt_u32_e32 vcc, s22, v13
	s_and_saveexec_b64 s[0:1], vcc
	s_cbranch_execz .LBB24_11
; %bb.10:
	global_load_ushort v13, v[17:18], off offset:1536
	s_mov_b32 s2, 0x5040100
	s_waitcnt vmcnt(0)
	v_perm_b32 v2, v13, v2, s2
.LBB24_11:
	s_or_b64 exec, exec, s[0:1]
	v_or_b32_e32 v13, 0x400, v0
	v_cmp_gt_u32_e32 vcc, s22, v13
	s_and_saveexec_b64 s[0:1], vcc
	s_cbranch_execz .LBB24_13
; %bb.12:
	global_load_ushort v13, v[17:18], off offset:2048
	s_mov_b32 s2, 0xffff
	s_waitcnt vmcnt(0)
	v_bfi_b32 v3, s2, v13, v3
.LBB24_13:
	;; [unrolled: 22-line block ×3, first 2 shown]
	s_or_b64 exec, exec, s[0:1]
	v_or_b32_e32 v13, 0x700, v0
	v_cmp_gt_u32_e32 vcc, s22, v13
	s_and_saveexec_b64 s[0:1], vcc
	s_cbranch_execz .LBB24_19
; %bb.18:
	global_load_ushort v13, v[17:18], off offset:3584
	s_mov_b32 s2, 0x5040100
	s_waitcnt vmcnt(0)
	v_perm_b32 v4, v13, v4, s2
.LBB24_19:
	s_or_b64 exec, exec, s[0:1]
	v_or_b32_e32 v13, 0x800, v0
	v_cmp_gt_u32_e32 vcc, s22, v13
	s_and_saveexec_b64 s[0:1], vcc
	s_cbranch_execz .LBB24_21
; %bb.20:
	v_add_co_u32_e32 v13, vcc, 0x1000, v17
	v_addc_co_u32_e32 v14, vcc, 0, v18, vcc
	global_load_ushort v13, v[13:14], off
	s_mov_b32 s2, 0xffff
	s_waitcnt vmcnt(0)
	v_bfi_b32 v5, s2, v13, v5
.LBB24_21:
	s_or_b64 exec, exec, s[0:1]
	v_or_b32_e32 v13, 0x900, v0
	v_cmp_gt_u32_e32 vcc, s22, v13
	s_and_saveexec_b64 s[0:1], vcc
	s_cbranch_execz .LBB24_23
; %bb.22:
	v_add_co_u32_e32 v13, vcc, 0x1000, v17
	v_addc_co_u32_e32 v14, vcc, 0, v18, vcc
	global_load_ushort v13, v[13:14], off offset:512
	s_mov_b32 s2, 0x5040100
	s_waitcnt vmcnt(0)
	v_perm_b32 v5, v13, v5, s2
.LBB24_23:
	s_or_b64 exec, exec, s[0:1]
	v_or_b32_e32 v13, 0xa00, v0
	v_cmp_gt_u32_e32 vcc, s22, v13
	s_and_saveexec_b64 s[0:1], vcc
	s_cbranch_execz .LBB24_25
; %bb.24:
	v_add_co_u32_e32 v13, vcc, 0x1000, v17
	v_addc_co_u32_e32 v14, vcc, 0, v18, vcc
	global_load_ushort v13, v[13:14], off offset:1024
	s_mov_b32 s2, 0xffff
	s_waitcnt vmcnt(0)
	v_bfi_b32 v6, s2, v13, v6
.LBB24_25:
	s_or_b64 exec, exec, s[0:1]
	v_or_b32_e32 v13, 0xb00, v0
	v_cmp_gt_u32_e32 vcc, s22, v13
	s_and_saveexec_b64 s[0:1], vcc
	s_cbranch_execz .LBB24_27
; %bb.26:
	v_add_co_u32_e32 v13, vcc, 0x1000, v17
	v_addc_co_u32_e32 v14, vcc, 0, v18, vcc
	global_load_ushort v13, v[13:14], off offset:1536
	s_mov_b32 s2, 0x5040100
	s_waitcnt vmcnt(0)
	v_perm_b32 v6, v13, v6, s2
.LBB24_27:
	s_or_b64 exec, exec, s[0:1]
	v_or_b32_e32 v13, 0xc00, v0
	v_cmp_gt_u32_e32 vcc, s22, v13
	s_and_saveexec_b64 s[0:1], vcc
	s_cbranch_execz .LBB24_29
; %bb.28:
	v_add_co_u32_e32 v13, vcc, 0x1000, v17
	v_addc_co_u32_e32 v14, vcc, 0, v18, vcc
	global_load_ushort v13, v[13:14], off offset:2048
	s_mov_b32 s2, 0xffff
	s_waitcnt vmcnt(0)
	v_bfi_b32 v7, s2, v13, v7
.LBB24_29:
	;; [unrolled: 26-line block ×3, first 2 shown]
	s_or_b64 exec, exec, s[0:1]
	v_or_b32_e32 v13, 0xf00, v0
	v_cmp_gt_u32_e32 vcc, s22, v13
	s_and_saveexec_b64 s[0:1], vcc
	s_cbranch_execz .LBB24_35
; %bb.34:
	v_add_co_u32_e32 v13, vcc, 0x1000, v17
	v_addc_co_u32_e32 v14, vcc, 0, v18, vcc
	global_load_ushort v13, v[13:14], off offset:3584
	s_mov_b32 s2, 0x5040100
	s_waitcnt vmcnt(0)
	v_perm_b32 v8, v13, v8, s2
.LBB24_35:
	s_or_b64 exec, exec, s[0:1]
	v_or_b32_e32 v13, 0x1000, v0
	v_cmp_gt_u32_e32 vcc, s22, v13
	s_and_saveexec_b64 s[0:1], vcc
	s_cbranch_execz .LBB24_37
; %bb.36:
	v_add_co_u32_e32 v13, vcc, 0x2000, v17
	v_addc_co_u32_e32 v14, vcc, 0, v18, vcc
	global_load_ushort v13, v[13:14], off
	s_mov_b32 s2, 0xffff
	s_waitcnt vmcnt(0)
	v_bfi_b32 v9, s2, v13, v9
.LBB24_37:
	s_or_b64 exec, exec, s[0:1]
	v_or_b32_e32 v13, 0x1100, v0
	v_cmp_gt_u32_e32 vcc, s22, v13
	s_and_saveexec_b64 s[0:1], vcc
	s_cbranch_execz .LBB24_39
; %bb.38:
	v_add_co_u32_e32 v13, vcc, 0x2000, v17
	v_addc_co_u32_e32 v14, vcc, 0, v18, vcc
	global_load_ushort v13, v[13:14], off offset:512
	s_mov_b32 s2, 0x5040100
	s_waitcnt vmcnt(0)
	v_perm_b32 v9, v13, v9, s2
.LBB24_39:
	s_or_b64 exec, exec, s[0:1]
	v_or_b32_e32 v13, 0x1200, v0
	v_cmp_gt_u32_e32 vcc, s22, v13
	s_and_saveexec_b64 s[0:1], vcc
	s_cbranch_execz .LBB24_41
; %bb.40:
	v_add_co_u32_e32 v13, vcc, 0x2000, v17
	v_addc_co_u32_e32 v14, vcc, 0, v18, vcc
	global_load_ushort v13, v[13:14], off offset:1024
	s_mov_b32 s2, 0xffff
	s_waitcnt vmcnt(0)
	v_bfi_b32 v10, s2, v13, v10
.LBB24_41:
	s_or_b64 exec, exec, s[0:1]
	v_or_b32_e32 v13, 0x1300, v0
	v_cmp_gt_u32_e32 vcc, s22, v13
	s_and_saveexec_b64 s[0:1], vcc
	s_cbranch_execz .LBB24_43
; %bb.42:
	v_add_co_u32_e32 v13, vcc, 0x2000, v17
	v_addc_co_u32_e32 v14, vcc, 0, v18, vcc
	global_load_ushort v13, v[13:14], off offset:1536
	s_mov_b32 s2, 0x5040100
	s_waitcnt vmcnt(0)
	v_perm_b32 v10, v13, v10, s2
.LBB24_43:
	s_or_b64 exec, exec, s[0:1]
	v_or_b32_e32 v13, 0x1400, v0
	v_cmp_gt_u32_e32 vcc, s22, v13
	s_and_saveexec_b64 s[0:1], vcc
	s_cbranch_execz .LBB24_45
; %bb.44:
	v_add_co_u32_e32 v13, vcc, 0x2000, v17
	v_addc_co_u32_e32 v14, vcc, 0, v18, vcc
	global_load_ushort v13, v[13:14], off offset:2048
	s_mov_b32 s2, 0xffff
	s_waitcnt vmcnt(0)
	v_bfi_b32 v11, s2, v13, v11
.LBB24_45:
	;; [unrolled: 26-line block ×3, first 2 shown]
	s_or_b64 exec, exec, s[0:1]
	v_or_b32_e32 v13, 0x1700, v0
	v_cmp_gt_u32_e32 vcc, s22, v13
	s_and_saveexec_b64 s[0:1], vcc
	s_cbranch_execz .LBB24_51
; %bb.50:
	v_add_co_u32_e32 v13, vcc, 0x2000, v17
	v_addc_co_u32_e32 v14, vcc, 0, v18, vcc
	global_load_ushort v13, v[13:14], off offset:3584
	s_mov_b32 s2, 0x5040100
	s_waitcnt vmcnt(0)
	v_perm_b32 v12, v13, v12, s2
.LBB24_51:
	s_or_b64 exec, exec, s[0:1]
	ds_write_b16 v29, v19
	ds_write_b16_d16_hi v29, v1 offset:512
	ds_write_b16 v29, v2 offset:1024
	ds_write_b16_d16_hi v29, v2 offset:1536
	ds_write_b16 v29, v3 offset:2048
	;; [unrolled: 2-line block ×11, first 2 shown]
	ds_write_b16_d16_hi v29, v12 offset:11776
	s_waitcnt lgkmcnt(0)
	s_barrier
.LBB24_52:
	v_mul_u32_u24_e32 v30, 48, v0
	ds_read_b128 v[17:20], v30
	ds_read_b128 v[25:28], v30 offset:16
	ds_read_b128 v[21:24], v30 offset:32
	s_load_dwordx2 s[18:19], s[4:5], 0x28
	s_cmp_lg_u32 s6, 0
	v_lshrrev_b32_e32 v31, 4, v0
	v_cmp_gt_u32_e32 vcc, 64, v0
	s_waitcnt lgkmcnt(0)
	s_barrier
	s_cbranch_scc0 .LBB24_72
; %bb.53:
	v_max_i16_sdwa v1, v17, v17 dst_sel:DWORD dst_unused:UNUSED_PAD src0_sel:DWORD src1_sel:WORD_1
	v_lshrrev_b32_e32 v7, 16, v18
	v_max3_i16 v1, v1, v18, v7
	v_lshrrev_b32_e32 v8, 16, v19
	v_max3_i16 v1, v1, v19, v8
	;; [unrolled: 2-line block ×11, first 2 shown]
	v_and_b32_e32 v1, 14, v31
	v_lshl_add_u32 v1, v0, 1, v1
	ds_write_b16 v1, v33
	s_waitcnt lgkmcnt(0)
	s_barrier
	s_and_saveexec_b64 s[2:3], vcc
	s_cbranch_execz .LBB24_55
; %bb.54:
	v_lshrrev_b32_e32 v1, 2, v0
	v_and_b32_e32 v1, 62, v1
	v_lshl_add_u32 v3, v0, 3, v1
	ds_read_b64 v[1:2], v3
	v_mbcnt_lo_u32_b32 v4, -1, 0
	v_mbcnt_hi_u32_b32 v4, -1, v4
	v_and_b32_e32 v5, 15, v4
	v_cmp_eq_u32_e64 s[0:1], 0, v5
	s_waitcnt lgkmcnt(0)
	v_lshrrev_b32_e32 v6, 16, v2
	v_max_i16_sdwa v34, v1, v1 dst_sel:DWORD dst_unused:UNUSED_PAD src0_sel:DWORD src1_sel:WORD_1
	v_max3_i16 v34, v34, v2, v6
	v_and_b32_e32 v35, 0xffff, v34
	s_nop 1
	v_mov_b32_dpp v35, v35 row_shr:1 row_mask:0xf bank_mask:0xf
	v_max_i16_e32 v35, v35, v34
	v_cndmask_b32_e64 v34, v35, v34, s[0:1]
	v_and_b32_e32 v35, 0xffff, v34
	v_cmp_lt_u32_e64 s[0:1], 1, v5
	s_nop 0
	v_mov_b32_dpp v35, v35 row_shr:2 row_mask:0xf bank_mask:0xf
	v_max_i16_e32 v35, v35, v34
	v_cndmask_b32_e64 v34, v34, v35, s[0:1]
	v_and_b32_e32 v35, 0xffff, v34
	v_cmp_lt_u32_e64 s[0:1], 3, v5
	;; [unrolled: 6-line block ×3, first 2 shown]
	s_nop 0
	v_mov_b32_dpp v35, v35 row_shr:8 row_mask:0xf bank_mask:0xf
	v_max_i16_e32 v35, v35, v34
	v_cndmask_b32_e64 v5, v34, v35, s[0:1]
	v_and_b32_e32 v34, 0xffff, v5
	v_and_b32_e32 v35, 16, v4
	v_cmp_eq_u32_e64 s[0:1], 0, v35
	v_mov_b32_dpp v34, v34 row_bcast:15 row_mask:0xf bank_mask:0xf
	v_max_i16_e32 v34, v34, v5
	v_cndmask_b32_e64 v5, v34, v5, s[0:1]
	v_and_b32_e32 v34, 0xffff, v5
	v_cmp_lt_u32_e64 s[0:1], 31, v4
	v_and_b32_e32 v35, 64, v4
	v_mov_b32_dpp v34, v34 row_bcast:31 row_mask:0xf bank_mask:0xf
	v_max_i16_e32 v34, v34, v5
	v_cndmask_b32_e64 v5, v5, v34, s[0:1]
	v_add_u32_e32 v34, -1, v4
	v_cmp_lt_i32_e64 s[0:1], v34, v35
	v_cndmask_b32_e64 v4, v34, v4, s[0:1]
	v_lshlrev_b32_e32 v4, 2, v4
	v_and_b32_e32 v5, 0xffff, v5
	ds_bpermute_b32 v4, v4, v5
	v_cmp_eq_u32_e64 s[0:1], 0, v0
	s_waitcnt lgkmcnt(0)
	v_max_i16_e32 v4, v4, v1
	v_cndmask_b32_e64 v4, v4, v33, s[0:1]
	v_max_i16_sdwa v1, v4, v1 dst_sel:DWORD dst_unused:UNUSED_PAD src0_sel:DWORD src1_sel:WORD_1
	v_max_i16_e32 v2, v1, v2
	v_max_i16_e32 v5, v2, v6
	s_mov_b32 s0, 0x5040100
	v_perm_b32 v1, v1, v4, s0
	v_perm_b32 v2, v5, v2, s0
	ds_write_b64 v3, v[1:2]
.LBB24_55:
	s_or_b64 exec, exec, s[2:3]
	v_cmp_eq_u32_e64 s[0:1], 0, v0
	v_cmp_ne_u32_e64 s[2:3], 0, v0
	s_waitcnt lgkmcnt(0)
	s_barrier
	s_and_saveexec_b64 s[8:9], s[2:3]
; %bb.56:
	v_add_u32_e32 v1, -1, v0
	v_lshrrev_b32_e32 v2, 4, v1
	v_and_b32_e32 v2, 0xffffffe, v2
	v_lshl_add_u32 v1, v1, 1, v2
	ds_read_u16 v33, v1
; %bb.57:
	s_or_b64 exec, exec, s[8:9]
	s_and_saveexec_b64 s[10:11], vcc
	s_cbranch_execz .LBB24_77
; %bb.58:
	v_mov_b32_e32 v3, 0
	ds_read_u16 v34, v3 offset:524
	v_mbcnt_lo_u32_b32 v1, -1, 0
	v_mbcnt_hi_u32_b32 v6, -1, v1
	s_mov_b32 s21, 0
	v_cmp_eq_u32_e64 s[2:3], 0, v6
	s_and_saveexec_b64 s[8:9], s[2:3]
	s_cbranch_execz .LBB24_60
; %bb.59:
	s_add_i32 s20, s6, 64
	s_lshl_b64 s[20:21], s[20:21], 2
	s_add_u32 s20, s18, s20
	s_waitcnt lgkmcnt(0)
	v_or_b32_e32 v1, 0x10000, v34
	s_addc_u32 s21, s19, s21
	global_store_dword v3, v1, s[20:21]
.LBB24_60:
	s_or_b64 exec, exec, s[8:9]
	v_xad_u32 v1, v6, -1, s6
	v_add_u32_e32 v2, 64, v1
	v_lshlrev_b64 v[4:5], 2, v[2:3]
	v_mov_b32_e32 v2, s19
	v_add_co_u32_e32 v4, vcc, s18, v4
	v_addc_co_u32_e32 v5, vcc, v2, v5, vcc
	global_load_dword v2, v[4:5], off glc
	s_waitcnt vmcnt(0)
	v_lshrrev_b32_e32 v35, 16, v2
	v_cmp_eq_u16_sdwa s[20:21], v35, v3 src0_sel:BYTE_0 src1_sel:DWORD
	s_and_saveexec_b64 s[8:9], s[20:21]
	s_cbranch_execz .LBB24_64
; %bb.61:
	s_mov_b64 s[20:21], 0
	v_mov_b32_e32 v3, 0
.LBB24_62:                              ; =>This Inner Loop Header: Depth=1
	global_load_dword v2, v[4:5], off glc
	s_waitcnt vmcnt(0)
	v_lshrrev_b32_e32 v35, 16, v2
	v_cmp_ne_u16_sdwa s[24:25], v35, v3 src0_sel:BYTE_0 src1_sel:DWORD
	s_or_b64 s[20:21], s[24:25], s[20:21]
	s_andn2_b64 exec, exec, s[20:21]
	s_cbranch_execnz .LBB24_62
; %bb.63:
	s_or_b64 exec, exec, s[20:21]
.LBB24_64:
	s_or_b64 exec, exec, s[8:9]
	v_and_b32_e32 v45, 63, v6
	v_cmp_ne_u32_e32 vcc, 63, v45
	v_mov_b32_e32 v36, 2
	v_lshlrev_b64 v[3:4], v6, -1
	v_addc_co_u32_e32 v37, vcc, 0, v6, vcc
	v_cmp_eq_u16_sdwa s[8:9], v35, v36 src0_sel:BYTE_0 src1_sel:DWORD
	v_lshlrev_b32_e32 v37, 2, v37
	v_and_b32_e32 v39, 0xffff, v2
	v_and_b32_e32 v5, s9, v4
	ds_bpermute_b32 v40, v37, v39
	v_or_b32_e32 v5, 0x80000000, v5
	v_and_b32_e32 v38, s8, v3
	v_ffbl_b32_e32 v5, v5
	v_add_u32_e32 v5, 32, v5
	v_ffbl_b32_e32 v38, v38
	v_min_u32_e32 v5, v38, v5
	v_add_u32_e32 v38, 1, v6
	s_waitcnt lgkmcnt(0)
	v_max_i16_e32 v40, v40, v2
	v_cmp_gt_u32_e32 vcc, v38, v5
	v_cmp_gt_u32_e64 s[8:9], 62, v45
	v_cndmask_b32_e32 v41, v40, v39, vcc
	v_cndmask_b32_e64 v39, 0, 2, s[8:9]
	v_add_lshl_u32 v39, v39, v6, 2
	ds_bpermute_b32 v42, v39, v41
	v_cndmask_b32_e32 v2, v40, v2, vcc
	v_add_u32_e32 v40, 2, v6
	v_cmp_gt_u32_e32 vcc, v40, v5
	v_cmp_gt_u32_e64 s[8:9], 60, v45
	s_waitcnt lgkmcnt(0)
	v_max_i16_e32 v42, v42, v2
	v_cndmask_b32_e32 v43, v42, v41, vcc
	v_cndmask_b32_e64 v41, 0, 4, s[8:9]
	v_add_lshl_u32 v41, v41, v6, 2
	ds_bpermute_b32 v44, v41, v43
	v_cndmask_b32_e32 v2, v42, v2, vcc
	v_add_u32_e32 v42, 4, v6
	v_cmp_gt_u32_e32 vcc, v42, v5
	v_cmp_gt_u32_e64 s[8:9], 56, v45
	s_waitcnt lgkmcnt(0)
	v_max_i16_e32 v44, v44, v2
	v_cndmask_b32_e32 v46, v44, v43, vcc
	v_cndmask_b32_e64 v43, 0, 8, s[8:9]
	v_add_lshl_u32 v43, v43, v6, 2
	ds_bpermute_b32 v47, v43, v46
	v_cndmask_b32_e32 v2, v44, v2, vcc
	v_add_u32_e32 v44, 8, v6
	v_cmp_gt_u32_e64 s[8:9], 48, v45
	v_cmp_gt_u32_e32 vcc, v44, v5
	s_waitcnt lgkmcnt(0)
	v_max_i16_e32 v47, v47, v2
	v_cndmask_b32_e64 v45, 0, 16, s[8:9]
	v_cndmask_b32_e32 v48, v47, v46, vcc
	v_add_lshl_u32 v46, v45, v6, 2
	ds_bpermute_b32 v45, v46, v48
	v_cndmask_b32_e32 v2, v47, v2, vcc
	v_add_u32_e32 v47, 16, v6
	v_cmp_gt_u32_e32 vcc, v47, v5
	s_waitcnt lgkmcnt(0)
	v_max_i16_e32 v45, v45, v2
	v_cndmask_b32_e32 v49, v45, v48, vcc
	v_mov_b32_e32 v48, 0x80
	v_lshl_or_b32 v48, v6, 2, v48
	ds_bpermute_b32 v50, v48, v49
	v_add_u32_e32 v49, 32, v6
	v_cndmask_b32_e32 v2, v45, v2, vcc
	v_cmp_gt_u32_e32 vcc, v49, v5
	s_waitcnt lgkmcnt(0)
	v_max_i16_e32 v6, v50, v2
	v_cndmask_b32_e32 v5, v6, v2, vcc
	v_mov_b32_e32 v2, 0
	s_branch .LBB24_68
.LBB24_65:                              ;   in Loop: Header=BB24_68 Depth=1
	s_or_b64 exec, exec, s[20:21]
.LBB24_66:                              ;   in Loop: Header=BB24_68 Depth=1
	s_or_b64 exec, exec, s[8:9]
	v_cmp_eq_u16_sdwa s[8:9], v35, v36 src0_sel:BYTE_0 src1_sel:DWORD
	v_and_b32_e32 v51, 0xffff, v50
	v_and_b32_e32 v5, s9, v4
	ds_bpermute_b32 v52, v37, v51
	v_or_b32_e32 v5, 0x80000000, v5
	v_and_b32_e32 v6, s8, v3
	v_ffbl_b32_e32 v5, v5
	v_add_u32_e32 v5, 32, v5
	v_ffbl_b32_e32 v6, v6
	v_min_u32_e32 v5, v6, v5
	s_waitcnt lgkmcnt(0)
	v_max_i16_e32 v6, v52, v50
	v_cmp_gt_u32_e32 vcc, v38, v5
	v_cndmask_b32_e32 v51, v6, v51, vcc
	ds_bpermute_b32 v52, v39, v51
	v_cndmask_b32_e32 v6, v6, v50, vcc
	v_cmp_gt_u32_e32 vcc, v40, v5
	v_subrev_u32_e32 v1, 64, v1
	s_mov_b64 s[8:9], 0
	s_waitcnt lgkmcnt(0)
	v_max_i16_e32 v50, v52, v6
	v_cndmask_b32_e32 v51, v50, v51, vcc
	ds_bpermute_b32 v52, v41, v51
	v_cndmask_b32_e32 v6, v50, v6, vcc
	v_cmp_gt_u32_e32 vcc, v42, v5
	s_waitcnt lgkmcnt(0)
	v_max_i16_e32 v50, v52, v6
	v_cndmask_b32_e32 v51, v50, v51, vcc
	ds_bpermute_b32 v52, v43, v51
	v_cndmask_b32_e32 v6, v50, v6, vcc
	v_cmp_gt_u32_e32 vcc, v44, v5
	;; [unrolled: 6-line block ×4, first 2 shown]
	s_waitcnt lgkmcnt(0)
	v_max_i16_e32 v50, v51, v6
	v_cndmask_b32_e32 v5, v50, v6, vcc
	v_max_i16_e32 v5, v5, v45
.LBB24_67:                              ;   in Loop: Header=BB24_68 Depth=1
	s_and_b64 vcc, exec, s[8:9]
	s_cbranch_vccnz .LBB24_73
.LBB24_68:                              ; =>This Loop Header: Depth=1
                                        ;     Child Loop BB24_71 Depth 2
	v_cmp_ne_u16_sdwa s[8:9], v35, v36 src0_sel:BYTE_0 src1_sel:DWORD
	v_mov_b32_e32 v45, v5
	s_cmp_lg_u64 s[8:9], exec
	s_mov_b64 s[8:9], -1
                                        ; implicit-def: $vgpr5
                                        ; implicit-def: $vgpr35
	s_cbranch_scc1 .LBB24_67
; %bb.69:                               ;   in Loop: Header=BB24_68 Depth=1
	v_lshlrev_b64 v[5:6], 2, v[1:2]
	v_mov_b32_e32 v35, s19
	v_add_co_u32_e32 v5, vcc, s18, v5
	v_addc_co_u32_e32 v6, vcc, v35, v6, vcc
	global_load_dword v50, v[5:6], off glc
	s_waitcnt vmcnt(0)
	v_lshrrev_b32_e32 v35, 16, v50
	v_cmp_eq_u16_sdwa s[20:21], v35, v2 src0_sel:BYTE_0 src1_sel:DWORD
	s_and_saveexec_b64 s[8:9], s[20:21]
	s_cbranch_execz .LBB24_66
; %bb.70:                               ;   in Loop: Header=BB24_68 Depth=1
	s_mov_b64 s[20:21], 0
.LBB24_71:                              ;   Parent Loop BB24_68 Depth=1
                                        ; =>  This Inner Loop Header: Depth=2
	global_load_dword v50, v[5:6], off glc
	s_waitcnt vmcnt(0)
	v_lshrrev_b32_e32 v35, 16, v50
	v_cmp_ne_u16_sdwa s[24:25], v35, v2 src0_sel:BYTE_0 src1_sel:DWORD
	s_or_b64 s[20:21], s[24:25], s[20:21]
	s_andn2_b64 exec, exec, s[20:21]
	s_cbranch_execnz .LBB24_71
	s_branch .LBB24_65
.LBB24_72:
                                        ; implicit-def: $vgpr1_vgpr2_vgpr3_vgpr4_vgpr5_vgpr6_vgpr7_vgpr8_vgpr9_vgpr10_vgpr11_vgpr12_vgpr13_vgpr14_vgpr15_vgpr16
	s_load_dwordx4 s[8:11], s[4:5], 0x38
	s_cbranch_execnz .LBB24_78
	s_branch .LBB24_87
.LBB24_73:
	s_and_saveexec_b64 s[8:9], s[2:3]
	s_cbranch_execz .LBB24_75
; %bb.74:
	s_add_i32 s2, s6, 64
	s_mov_b32 s3, 0
	s_lshl_b64 s[2:3], s[2:3], 2
	v_max_i16_e32 v1, v45, v34
	s_add_u32 s2, s18, s2
	v_or_b32_e32 v1, 0x20000, v1
	s_addc_u32 s3, s19, s3
	v_mov_b32_e32 v2, 0
	global_store_dword v2, v1, s[2:3]
.LBB24_75:
	s_or_b64 exec, exec, s[8:9]
	s_and_b64 exec, exec, s[0:1]
; %bb.76:
	v_mov_b32_e32 v1, 0
	ds_write_b16 v1, v45
.LBB24_77:
	s_or_b64 exec, exec, s[10:11]
	v_mov_b32_e32 v1, 0
	s_waitcnt vmcnt(0) lgkmcnt(0)
	s_barrier
	ds_read_u16 v1, v1
	v_max_i16_e32 v2, v33, v17
	v_cndmask_b32_e64 v2, v2, v17, s[0:1]
	s_mov_b32 s0, 0x5040100
	s_waitcnt lgkmcnt(0)
	v_max_i16_e32 v1, v1, v2
	v_max_i16_sdwa v2, v1, v17 dst_sel:DWORD dst_unused:UNUSED_PAD src0_sel:DWORD src1_sel:WORD_1
	v_max_i16_e32 v3, v2, v18
	v_max_i16_e32 v4, v3, v7
	;; [unrolled: 1-line block ×22, first 2 shown]
	v_perm_b32 v1, v2, v1, s0
	v_perm_b32 v2, v4, v3, s0
	v_perm_b32 v3, v6, v5, s0
	v_perm_b32 v4, v8, v7, s0
	v_perm_b32 v5, v10, v9, s0
	v_perm_b32 v6, v11, v33, s0
	v_perm_b32 v7, v12, v34, s0
	v_perm_b32 v8, v13, v35, s0
	v_perm_b32 v9, v14, v36, s0
	v_perm_b32 v10, v15, v37, s0
	v_perm_b32 v11, v16, v38, s0
	v_perm_b32 v12, v32, v39, s0
	s_load_dwordx4 s[8:11], s[4:5], 0x38
	s_branch .LBB24_87
.LBB24_78:
	s_load_dword s2, s[4:5], 0x48
	v_cmp_eq_u32_e32 vcc, 0, v0
	v_cmp_ne_u32_e64 s[0:1], 0, v0
	s_waitcnt lgkmcnt(0)
	s_bitcmp1_b32 s2, 0
	s_cselect_b64 s[2:3], -1, 0
	s_and_b64 s[6:7], vcc, s[2:3]
	s_and_saveexec_b64 s[2:3], s[6:7]
	s_cbranch_execz .LBB24_80
; %bb.79:
	v_mov_b32_e32 v1, 0
	global_load_ushort v1, v1, s[8:9]
	s_mov_b32 s6, 0xffff
	s_waitcnt vmcnt(0)
	v_max_i16_e32 v1, v1, v17
	v_bfi_b32 v17, s6, v1, v17
.LBB24_80:
	s_or_b64 exec, exec, s[2:3]
	v_max_i16_sdwa v1, v17, v17 dst_sel:DWORD dst_unused:UNUSED_PAD src0_sel:DWORD src1_sel:WORD_1
	v_max_i16_e32 v2, v1, v18
	v_max_i16_sdwa v13, v2, v18 dst_sel:DWORD dst_unused:UNUSED_PAD src0_sel:DWORD src1_sel:WORD_1
	v_max_i16_e32 v3, v13, v19
	;; [unrolled: 2-line block ×11, first 2 shown]
	v_and_b32_e32 v31, 14, v31
	v_max_i16_sdwa v38, v12, v24 dst_sel:DWORD dst_unused:UNUSED_PAD src0_sel:DWORD src1_sel:WORD_1
	v_lshl_add_u32 v31, v0, 1, v31
	v_cmp_gt_u32_e64 s[2:3], 64, v0
	ds_write_b16 v31, v38
	s_waitcnt lgkmcnt(0)
	s_barrier
	s_and_saveexec_b64 s[6:7], s[2:3]
	s_cbranch_execz .LBB24_82
; %bb.81:
	v_lshrrev_b32_e32 v31, 2, v0
	v_and_b32_e32 v31, 62, v31
	v_lshl_add_u32 v31, v0, 3, v31
	ds_read_b64 v[39:40], v31
	v_mbcnt_lo_u32_b32 v41, -1, 0
	v_mbcnt_hi_u32_b32 v41, -1, v41
	v_and_b32_e32 v42, 15, v41
	v_cmp_eq_u32_e64 s[2:3], 0, v42
	s_waitcnt lgkmcnt(0)
	v_lshrrev_b32_e32 v43, 16, v40
	v_max_i16_sdwa v44, v39, v39 dst_sel:DWORD dst_unused:UNUSED_PAD src0_sel:DWORD src1_sel:WORD_1
	v_max3_i16 v44, v44, v40, v43
	v_and_b32_e32 v45, 0xffff, v44
	s_nop 1
	v_mov_b32_dpp v45, v45 row_shr:1 row_mask:0xf bank_mask:0xf
	v_max_i16_e32 v45, v45, v44
	v_cndmask_b32_e64 v44, v45, v44, s[2:3]
	v_and_b32_e32 v45, 0xffff, v44
	v_cmp_lt_u32_e64 s[2:3], 1, v42
	s_nop 0
	v_mov_b32_dpp v45, v45 row_shr:2 row_mask:0xf bank_mask:0xf
	v_max_i16_e32 v45, v45, v44
	v_cndmask_b32_e64 v44, v44, v45, s[2:3]
	v_and_b32_e32 v45, 0xffff, v44
	v_cmp_lt_u32_e64 s[2:3], 3, v42
	;; [unrolled: 6-line block ×3, first 2 shown]
	s_nop 0
	v_mov_b32_dpp v45, v45 row_shr:8 row_mask:0xf bank_mask:0xf
	v_max_i16_e32 v45, v45, v44
	v_cndmask_b32_e64 v42, v44, v45, s[2:3]
	v_and_b32_e32 v44, 0xffff, v42
	v_and_b32_e32 v45, 16, v41
	v_cmp_eq_u32_e64 s[2:3], 0, v45
	v_mov_b32_dpp v44, v44 row_bcast:15 row_mask:0xf bank_mask:0xf
	v_max_i16_e32 v44, v44, v42
	v_cndmask_b32_e64 v42, v44, v42, s[2:3]
	v_and_b32_e32 v44, 0xffff, v42
	v_cmp_lt_u32_e64 s[2:3], 31, v41
	v_and_b32_e32 v45, 64, v41
	v_mov_b32_dpp v44, v44 row_bcast:31 row_mask:0xf bank_mask:0xf
	v_max_i16_e32 v44, v44, v42
	v_cndmask_b32_e64 v42, v42, v44, s[2:3]
	v_add_u32_e32 v44, -1, v41
	v_cmp_lt_i32_e64 s[2:3], v44, v45
	v_cndmask_b32_e64 v41, v44, v41, s[2:3]
	v_lshlrev_b32_e32 v41, 2, v41
	v_and_b32_e32 v42, 0xffff, v42
	ds_bpermute_b32 v41, v41, v42
	s_mov_b32 s2, 0x5040100
	s_waitcnt lgkmcnt(0)
	v_max_i16_e32 v41, v41, v39
	v_cndmask_b32_e32 v41, v41, v38, vcc
	v_max_i16_sdwa v39, v41, v39 dst_sel:DWORD dst_unused:UNUSED_PAD src0_sel:DWORD src1_sel:WORD_1
	v_max_i16_e32 v40, v39, v40
	v_max_i16_e32 v42, v40, v43
	v_perm_b32 v39, v39, v41, s2
	v_perm_b32 v40, v42, v40, s2
	ds_write_b64 v31, v[39:40]
.LBB24_82:
	s_or_b64 exec, exec, s[6:7]
	s_waitcnt lgkmcnt(0)
	s_barrier
	s_and_saveexec_b64 s[2:3], s[0:1]
	s_cbranch_execz .LBB24_84
; %bb.83:
	v_add_u32_e32 v1, -1, v0
	v_lshrrev_b32_e32 v2, 4, v1
	v_and_b32_e32 v2, 0xffffffe, v2
	v_lshl_add_u32 v1, v1, 1, v2
	ds_read_u16 v1, v1
	s_waitcnt lgkmcnt(0)
	v_max_i16_e32 v31, v1, v17
	v_max_i16_sdwa v1, v31, v17 dst_sel:DWORD dst_unused:UNUSED_PAD src0_sel:DWORD src1_sel:WORD_1
	v_max_i16_e32 v2, v1, v18
	v_max_i16_sdwa v13, v2, v18 dst_sel:DWORD dst_unused:UNUSED_PAD src0_sel:DWORD src1_sel:WORD_1
	;; [unrolled: 2-line block ×12, first 2 shown]
	v_mov_b32_e32 v17, v31
.LBB24_84:
	s_or_b64 exec, exec, s[2:3]
	s_mov_b32 s0, 0x5040100
	v_perm_b32 v12, v38, v12, s0
	v_perm_b32 v11, v37, v11, s0
	;; [unrolled: 1-line block ×12, first 2 shown]
	s_and_saveexec_b64 s[0:1], vcc
	s_cbranch_execz .LBB24_86
; %bb.85:
	v_mov_b32_e32 v13, 0
	ds_read_u16 v14, v13 offset:524
	s_waitcnt lgkmcnt(0)
	v_or_b32_e32 v14, 0x20000, v14
	global_store_dword v13, v14, s[18:19] offset:256
.LBB24_86:
	s_or_b64 exec, exec, s[0:1]
.LBB24_87:
	s_lshl_b64 s[0:1], s[16:17], 2
	s_add_u32 s0, s12, s0
	s_addc_u32 s1, s13, s1
	s_mov_b64 s[2:3], -1
	s_and_b64 vcc, exec, s[14:15]
	v_lshlrev_b32_e32 v28, 2, v0
	s_waitcnt vmcnt(0) lgkmcnt(0)
	s_barrier
	s_cbranch_vccz .LBB24_89
; %bb.88:
	ds_write_b128 v30, v[1:4]
	ds_write_b128 v30, v[5:8] offset:16
	ds_write_b128 v30, v[9:12] offset:32
	s_waitcnt lgkmcnt(0)
	s_barrier
	ds_read_i16 v13, v29
	ds_read_i16 v14, v29 offset:512
	ds_read_i16 v15, v29 offset:1024
	;; [unrolled: 1-line block ×23, first 2 shown]
	s_waitcnt lgkmcnt(14)
	v_cvt_f32_i32_e32 v13, v13
	v_cvt_f32_i32_e32 v14, v14
	v_mov_b32_e32 v39, s1
	v_add_co_u32_e32 v40, vcc, s0, v28
	v_cvt_f32_i32_e32 v15, v15
	v_addc_co_u32_e32 v39, vcc, 0, v39, vcc
	v_cvt_f32_i32_e32 v16, v16
	s_movk_i32 s2, 0x1000
	global_store_dword v28, v13, s[0:1]
	global_store_dword v28, v14, s[0:1] offset:1024
	global_store_dword v28, v15, s[0:1] offset:2048
	;; [unrolled: 1-line block ×3, first 2 shown]
	v_cvt_f32_i32_e32 v17, v17
	v_add_co_u32_e32 v13, vcc, s2, v40
	v_addc_co_u32_e32 v14, vcc, 0, v39, vcc
	s_movk_i32 s2, 0x2000
	v_cvt_f32_i32_e32 v18, v18
	v_add_co_u32_e32 v15, vcc, s2, v40
	v_cvt_f32_i32_e32 v19, v19
	v_addc_co_u32_e32 v16, vcc, 0, v39, vcc
	v_cvt_f32_i32_e32 v20, v20
	global_store_dword v[15:16], v17, off offset:-4096
	global_store_dword v[13:14], v18, off offset:1024
	global_store_dword v[13:14], v19, off offset:2048
	;; [unrolled: 1-line block ×3, first 2 shown]
	v_cvt_f32_i32_e32 v13, v21
	v_cvt_f32_i32_e32 v14, v22
	s_waitcnt lgkmcnt(13)
	v_cvt_f32_i32_e32 v17, v23
	s_waitcnt lgkmcnt(12)
	v_cvt_f32_i32_e32 v18, v24
	s_movk_i32 s2, 0x3000
	global_store_dword v[15:16], v13, off
	global_store_dword v[15:16], v14, off offset:1024
	global_store_dword v[15:16], v17, off offset:2048
	;; [unrolled: 1-line block ×3, first 2 shown]
	s_waitcnt lgkmcnt(11)
	v_cvt_f32_i32_e32 v17, v25
	v_add_co_u32_e32 v13, vcc, s2, v40
	v_addc_co_u32_e32 v14, vcc, 0, v39, vcc
	s_movk_i32 s2, 0x4000
	s_waitcnt lgkmcnt(10)
	v_cvt_f32_i32_e32 v18, v26
	v_add_co_u32_e32 v15, vcc, s2, v40
	s_waitcnt lgkmcnt(9)
	v_cvt_f32_i32_e32 v19, v27
	v_addc_co_u32_e32 v16, vcc, 0, v39, vcc
	s_waitcnt lgkmcnt(8)
	v_cvt_f32_i32_e32 v20, v31
	global_store_dword v[15:16], v17, off offset:-4096
	global_store_dword v[13:14], v18, off offset:1024
	global_store_dword v[13:14], v19, off offset:2048
	;; [unrolled: 1-line block ×3, first 2 shown]
	s_waitcnt lgkmcnt(7)
	v_cvt_f32_i32_e32 v13, v32
	s_waitcnt lgkmcnt(6)
	v_cvt_f32_i32_e32 v14, v33
	;; [unrolled: 2-line block ×4, first 2 shown]
	global_store_dword v[15:16], v13, off
	global_store_dword v[15:16], v14, off offset:1024
	global_store_dword v[15:16], v17, off offset:2048
	;; [unrolled: 1-line block ×3, first 2 shown]
	s_waitcnt lgkmcnt(3)
	v_cvt_f32_i32_e32 v15, v36
	s_waitcnt lgkmcnt(2)
	v_cvt_f32_i32_e32 v16, v37
	v_add_co_u32_e32 v13, vcc, 0x5000, v40
	s_waitcnt lgkmcnt(1)
	v_cvt_f32_i32_e32 v17, v38
	v_addc_co_u32_e32 v14, vcc, 0, v39, vcc
	s_waitcnt lgkmcnt(0)
	v_cvt_f32_i32_e32 v18, v29
	global_store_dword v[13:14], v15, off
	global_store_dword v[13:14], v16, off offset:1024
	global_store_dword v[13:14], v17, off offset:2048
	;; [unrolled: 1-line block ×3, first 2 shown]
	s_mov_b64 s[2:3], 0
.LBB24_89:
	s_andn2_b64 vcc, exec, s[2:3]
	s_cbranch_vccnz .LBB24_146
; %bb.90:
	s_movk_i32 s2, 0xffd2
	ds_write_b128 v30, v[1:4]
	ds_write_b128 v30, v[5:8] offset:16
	ds_write_b128 v30, v[9:12] offset:32
	v_mad_i32_i24 v2, v0, s2, v30
	s_waitcnt vmcnt(0) lgkmcnt(0)
	s_barrier
	ds_read_u16 v5, v2
	ds_read_u16 v4, v2 offset:512
	ds_read_u16 v7, v2 offset:1024
	;; [unrolled: 1-line block ×23, first 2 shown]
	v_mov_b32_e32 v3, s1
	v_add_co_u32_e32 v2, vcc, s0, v28
	v_addc_co_u32_e32 v3, vcc, 0, v3, vcc
	v_mov_b32_e32 v1, 0
	v_cmp_gt_u32_e32 vcc, s22, v0
	s_and_saveexec_b64 s[0:1], vcc
	s_cbranch_execz .LBB24_92
; %bb.91:
	s_waitcnt lgkmcnt(14)
	v_cvt_f32_i32_sdwa v28, sext(v5) dst_sel:DWORD dst_unused:UNUSED_PAD src0_sel:WORD_0
	global_store_dword v[2:3], v28, off
.LBB24_92:
	s_or_b64 exec, exec, s[0:1]
	v_or_b32_e32 v28, 0x100, v0
	v_cmp_gt_u32_e32 vcc, s22, v28
	s_and_saveexec_b64 s[0:1], vcc
	s_cbranch_execz .LBB24_94
; %bb.93:
	s_waitcnt lgkmcnt(14)
	v_cvt_f32_i32_sdwa v28, sext(v4) dst_sel:DWORD dst_unused:UNUSED_PAD src0_sel:WORD_0
	global_store_dword v[2:3], v28, off offset:1024
.LBB24_94:
	s_or_b64 exec, exec, s[0:1]
	v_or_b32_e32 v28, 0x200, v0
	v_cmp_gt_u32_e32 vcc, s22, v28
	s_and_saveexec_b64 s[0:1], vcc
	s_cbranch_execz .LBB24_96
; %bb.95:
	s_waitcnt lgkmcnt(14)
	v_cvt_f32_i32_sdwa v28, sext(v7) dst_sel:DWORD dst_unused:UNUSED_PAD src0_sel:WORD_0
	global_store_dword v[2:3], v28, off offset:2048
.LBB24_96:
	s_or_b64 exec, exec, s[0:1]
	v_or_b32_e32 v28, 0x300, v0
	v_cmp_gt_u32_e32 vcc, s22, v28
	s_and_saveexec_b64 s[0:1], vcc
	s_cbranch_execz .LBB24_98
; %bb.97:
	s_waitcnt lgkmcnt(14)
	v_cvt_f32_i32_sdwa v28, sext(v8) dst_sel:DWORD dst_unused:UNUSED_PAD src0_sel:WORD_0
	global_store_dword v[2:3], v28, off offset:3072
.LBB24_98:
	s_or_b64 exec, exec, s[0:1]
	v_or_b32_e32 v28, 0x400, v0
	v_cmp_gt_u32_e32 vcc, s22, v28
	s_and_saveexec_b64 s[0:1], vcc
	s_cbranch_execz .LBB24_100
; %bb.99:
	s_waitcnt lgkmcnt(14)
	v_cvt_f32_i32_sdwa v30, sext(v6) dst_sel:DWORD dst_unused:UNUSED_PAD src0_sel:WORD_0
	v_add_co_u32_e32 v28, vcc, 0x1000, v2
	v_addc_co_u32_e32 v29, vcc, 0, v3, vcc
	global_store_dword v[28:29], v30, off
.LBB24_100:
	s_or_b64 exec, exec, s[0:1]
	v_or_b32_e32 v28, 0x500, v0
	v_cmp_gt_u32_e32 vcc, s22, v28
	s_and_saveexec_b64 s[0:1], vcc
	s_cbranch_execz .LBB24_102
; %bb.101:
	s_waitcnt lgkmcnt(14)
	v_cvt_f32_i32_sdwa v30, sext(v9) dst_sel:DWORD dst_unused:UNUSED_PAD src0_sel:WORD_0
	v_add_co_u32_e32 v28, vcc, 0x1000, v2
	v_addc_co_u32_e32 v29, vcc, 0, v3, vcc
	global_store_dword v[28:29], v30, off offset:1024
.LBB24_102:
	s_or_b64 exec, exec, s[0:1]
	v_or_b32_e32 v28, 0x600, v0
	v_cmp_gt_u32_e32 vcc, s22, v28
	s_and_saveexec_b64 s[0:1], vcc
	s_cbranch_execz .LBB24_104
; %bb.103:
	s_waitcnt lgkmcnt(14)
	v_cvt_f32_i32_sdwa v30, sext(v13) dst_sel:DWORD dst_unused:UNUSED_PAD src0_sel:WORD_0
	v_add_co_u32_e32 v28, vcc, 0x1000, v2
	v_addc_co_u32_e32 v29, vcc, 0, v3, vcc
	global_store_dword v[28:29], v30, off offset:2048
.LBB24_104:
	s_or_b64 exec, exec, s[0:1]
	v_or_b32_e32 v28, 0x700, v0
	v_cmp_gt_u32_e32 vcc, s22, v28
	s_and_saveexec_b64 s[0:1], vcc
	s_cbranch_execz .LBB24_106
; %bb.105:
	s_waitcnt lgkmcnt(14)
	v_cvt_f32_i32_sdwa v30, sext(v14) dst_sel:DWORD dst_unused:UNUSED_PAD src0_sel:WORD_0
	v_add_co_u32_e32 v28, vcc, 0x1000, v2
	v_addc_co_u32_e32 v29, vcc, 0, v3, vcc
	global_store_dword v[28:29], v30, off offset:3072
.LBB24_106:
	s_or_b64 exec, exec, s[0:1]
	v_or_b32_e32 v28, 0x800, v0
	v_cmp_gt_u32_e32 vcc, s22, v28
	s_and_saveexec_b64 s[0:1], vcc
	s_cbranch_execz .LBB24_108
; %bb.107:
	s_waitcnt lgkmcnt(14)
	v_cvt_f32_i32_sdwa v30, sext(v18) dst_sel:DWORD dst_unused:UNUSED_PAD src0_sel:WORD_0
	v_add_co_u32_e32 v28, vcc, 0x2000, v2
	v_addc_co_u32_e32 v29, vcc, 0, v3, vcc
	global_store_dword v[28:29], v30, off
.LBB24_108:
	s_or_b64 exec, exec, s[0:1]
	v_or_b32_e32 v28, 0x900, v0
	v_cmp_gt_u32_e32 vcc, s22, v28
	s_and_saveexec_b64 s[0:1], vcc
	s_cbranch_execz .LBB24_110
; %bb.109:
	s_waitcnt lgkmcnt(14)
	v_cvt_f32_i32_sdwa v30, sext(v22) dst_sel:DWORD dst_unused:UNUSED_PAD src0_sel:WORD_0
	v_add_co_u32_e32 v28, vcc, 0x2000, v2
	v_addc_co_u32_e32 v29, vcc, 0, v3, vcc
	global_store_dword v[28:29], v30, off offset:1024
.LBB24_110:
	s_or_b64 exec, exec, s[0:1]
	v_or_b32_e32 v28, 0xa00, v0
	v_cmp_gt_u32_e32 vcc, s22, v28
	s_and_saveexec_b64 s[0:1], vcc
	s_cbranch_execz .LBB24_112
; %bb.111:
	s_waitcnt lgkmcnt(13)
	v_cvt_f32_i32_sdwa v30, sext(v21) dst_sel:DWORD dst_unused:UNUSED_PAD src0_sel:WORD_0
	v_add_co_u32_e32 v28, vcc, 0x2000, v2
	v_addc_co_u32_e32 v29, vcc, 0, v3, vcc
	global_store_dword v[28:29], v30, off offset:2048
.LBB24_112:
	s_or_b64 exec, exec, s[0:1]
	v_or_b32_e32 v28, 0xb00, v0
	v_cmp_gt_u32_e32 vcc, s22, v28
	s_and_saveexec_b64 s[0:1], vcc
	s_cbranch_execz .LBB24_114
; %bb.113:
	s_waitcnt lgkmcnt(12)
	v_cvt_f32_i32_sdwa v30, sext(v19) dst_sel:DWORD dst_unused:UNUSED_PAD src0_sel:WORD_0
	v_add_co_u32_e32 v28, vcc, 0x2000, v2
	v_addc_co_u32_e32 v29, vcc, 0, v3, vcc
	global_store_dword v[28:29], v30, off offset:3072
.LBB24_114:
	;; [unrolled: 48-line block ×5, first 2 shown]
	s_or_b64 exec, exec, s[0:1]
	s_load_dword s0, s[4:5], 0x48
	s_waitcnt lgkmcnt(0)
	s_bfe_u32 s0, s0, 0x10008
	s_cmp_eq_u32 s0, 0
	s_cbranch_scc1 .LBB24_146
; %bb.139:
	s_add_u32 s0, s22, -1
	s_addc_u32 s1, s23, -1
	s_mul_i32 s5, s1, 0xaaaaaaab
	s_mul_hi_u32 s6, s0, 0xaaaaaaab
	s_mul_hi_u32 s4, s1, 0xaaaaaaab
	s_add_u32 s5, s5, s6
	s_mul_i32 s3, s0, 0xaaaaaaaa
	s_addc_u32 s4, s4, 0
	s_mul_hi_u32 s2, s0, 0xaaaaaaaa
	s_add_u32 s3, s3, s5
	s_addc_u32 s2, s2, 0
	s_add_u32 s2, s4, s2
	s_addc_u32 s3, 0, 0
	s_mul_i32 s5, s1, 0xaaaaaaaa
	s_mul_hi_u32 s4, s1, 0xaaaaaaaa
	s_add_u32 s2, s5, s2
	s_addc_u32 s3, s4, s3
	s_lshr_b64 s[2:3], s[2:3], 4
	v_cmp_eq_u64_e32 vcc, s[2:3], v[0:1]
	s_and_saveexec_b64 s[2:3], vcc
	s_cbranch_execz .LBB24_146
; %bb.140:
	v_mul_hi_u32_u24_e32 v1, 24, v0
	v_mul_u32_u24_e32 v0, 24, v0
	v_mov_b32_e32 v2, s1
	v_sub_co_u32_e32 v0, vcc, s0, v0
	v_subb_co_u32_e32 v1, vcc, v2, v1, vcc
	v_cmp_lt_i64_e32 vcc, 11, v[0:1]
	s_mov_b64 s[0:1], 0
	s_mov_b64 s[8:9], 0
	;; [unrolled: 1-line block ×4, first 2 shown]
	s_and_saveexec_b64 s[2:3], vcc
	s_xor_b64 s[2:3], exec, s[2:3]
	s_cbranch_execnz .LBB24_147
; %bb.141:
	s_andn2_saveexec_b64 s[2:3], s[2:3]
	s_cbranch_execnz .LBB24_192
.LBB24_142:
	s_or_b64 exec, exec, s[2:3]
	s_and_saveexec_b64 s[2:3], s[8:9]
	s_cbranch_execnz .LBB24_209
.LBB24_143:
	s_or_b64 exec, exec, s[2:3]
	s_and_saveexec_b64 s[2:3], s[6:7]
	s_cbranch_execnz .LBB24_210
.LBB24_144:
	s_or_b64 exec, exec, s[2:3]
	s_and_saveexec_b64 s[2:3], s[4:5]
	s_xor_b64 s[2:3], exec, s[2:3]
	s_cbranch_execnz .LBB24_211
.LBB24_145:
	s_or_b64 exec, exec, s[2:3]
	s_and_b64 exec, exec, s[0:1]
	s_cbranch_execnz .LBB24_212
.LBB24_146:
	s_endpgm
.LBB24_147:
	v_cmp_lt_i64_e32 vcc, 17, v[0:1]
	s_and_saveexec_b64 s[12:13], vcc
	s_xor_b64 s[12:13], exec, s[12:13]
	s_cbranch_execz .LBB24_169
; %bb.148:
	v_cmp_lt_i64_e32 vcc, 20, v[0:1]
	s_and_saveexec_b64 s[14:15], vcc
	s_xor_b64 s[14:15], exec, s[14:15]
	s_cbranch_execz .LBB24_158
; %bb.149:
	v_cmp_lt_i64_e32 vcc, 21, v[0:1]
	s_mov_b64 s[16:17], 0
	s_and_saveexec_b64 s[4:5], vcc
	s_xor_b64 s[4:5], exec, s[4:5]
	s_cbranch_execz .LBB24_155
; %bb.150:
	v_cmp_lt_i64_e32 vcc, 22, v[0:1]
	s_and_saveexec_b64 s[16:17], vcc
	s_xor_b64 s[16:17], exec, s[16:17]
	s_cbranch_execz .LBB24_152
; %bb.151:
	v_mov_b32_e32 v2, 0
	global_store_short v2, v27, s[10:11]
.LBB24_152:
	s_or_saveexec_b64 s[16:17], s[16:17]
	s_mov_b64 s[18:19], 0
	s_xor_b64 exec, exec, s[16:17]
; %bb.153:
	s_mov_b64 s[18:19], exec
; %bb.154:
	s_or_b64 exec, exec, s[16:17]
	s_and_b64 s[16:17], s[18:19], exec
.LBB24_155:
	s_andn2_saveexec_b64 s[4:5], s[4:5]
; %bb.156:
	s_mov_b64 s[6:7], exec
; %bb.157:
	s_or_b64 exec, exec, s[4:5]
	s_and_b64 s[4:5], s[16:17], exec
	s_and_b64 s[6:7], s[6:7], exec
                                        ; implicit-def: $vgpr26
                                        ; implicit-def: $vgpr24
.LBB24_158:
	s_andn2_saveexec_b64 s[14:15], s[14:15]
	s_cbranch_execz .LBB24_168
; %bb.159:
	v_cmp_lt_i64_e32 vcc, 18, v[0:1]
	s_mov_b64 s[16:17], 0
	s_and_saveexec_b64 s[8:9], vcc
	s_xor_b64 s[8:9], exec, s[8:9]
	s_cbranch_execz .LBB24_165
; %bb.160:
	v_cmp_lt_i64_e32 vcc, 19, v[0:1]
	s_and_saveexec_b64 s[18:19], vcc
	s_xor_b64 s[18:19], exec, s[18:19]
; %bb.161:
	s_mov_b64 s[16:17], exec
                                        ; implicit-def: $vgpr24
; %bb.162:
	s_andn2_saveexec_b64 s[18:19], s[18:19]
	s_cbranch_execz .LBB24_164
; %bb.163:
	v_mov_b32_e32 v2, 0
	global_store_short v2, v24, s[10:11]
.LBB24_164:
	s_or_b64 exec, exec, s[18:19]
	s_and_b64 s[16:17], s[16:17], exec
                                        ; implicit-def: $vgpr26
.LBB24_165:
	s_andn2_saveexec_b64 s[8:9], s[8:9]
	s_cbranch_execz .LBB24_167
; %bb.166:
	v_mov_b32_e32 v2, 0
	global_store_short v2, v26, s[10:11]
.LBB24_167:
	s_or_b64 exec, exec, s[8:9]
	s_and_b64 s[8:9], s[16:17], exec
.LBB24_168:
	s_or_b64 exec, exec, s[14:15]
	s_and_b64 s[4:5], s[4:5], exec
	s_and_b64 s[6:7], s[6:7], exec
	;; [unrolled: 1-line block ×3, first 2 shown]
                                        ; implicit-def: $vgpr17
                                        ; implicit-def: $vgpr15
                                        ; implicit-def: $vgpr16
                                        ; implicit-def: $vgpr20
                                        ; implicit-def: $vgpr23
                                        ; implicit-def: $vgpr25
.LBB24_169:
	s_andn2_saveexec_b64 s[12:13], s[12:13]
	s_cbranch_execz .LBB24_191
; %bb.170:
	v_cmp_lt_i64_e32 vcc, 14, v[0:1]
	s_mov_b64 s[14:15], s[4:5]
	s_and_saveexec_b64 s[16:17], vcc
	s_xor_b64 s[16:17], exec, s[16:17]
	s_cbranch_execz .LBB24_180
; %bb.171:
	v_cmp_lt_i64_e32 vcc, 15, v[0:1]
	s_and_saveexec_b64 s[14:15], vcc
	s_xor_b64 s[14:15], exec, s[14:15]
	s_cbranch_execz .LBB24_177
; %bb.172:
	v_cmp_lt_i64_e32 vcc, 16, v[0:1]
	s_and_saveexec_b64 s[18:19], vcc
	s_xor_b64 s[18:19], exec, s[18:19]
	s_cbranch_execz .LBB24_174
; %bb.173:
	v_mov_b32_e32 v2, 0
	global_store_short v2, v25, s[10:11]
                                        ; implicit-def: $vgpr23
.LBB24_174:
	s_andn2_saveexec_b64 s[18:19], s[18:19]
	s_cbranch_execz .LBB24_176
; %bb.175:
	v_mov_b32_e32 v2, 0
	global_store_short v2, v23, s[10:11]
.LBB24_176:
	s_or_b64 exec, exec, s[18:19]
.LBB24_177:
	s_or_saveexec_b64 s[14:15], s[14:15]
	s_mov_b64 s[18:19], s[4:5]
	s_xor_b64 exec, exec, s[14:15]
; %bb.178:
	s_or_b64 s[18:19], s[4:5], exec
; %bb.179:
	s_or_b64 exec, exec, s[14:15]
	s_andn2_b64 s[14:15], s[4:5], exec
	s_and_b64 s[18:19], s[18:19], exec
	s_or_b64 s[14:15], s[14:15], s[18:19]
                                        ; implicit-def: $vgpr16
                                        ; implicit-def: $vgpr20
                                        ; implicit-def: $vgpr15
.LBB24_180:
	s_or_saveexec_b64 s[16:17], s[16:17]
	s_mov_b64 s[18:19], s[6:7]
                                        ; implicit-def: $vgpr11
	s_xor_b64 exec, exec, s[16:17]
	s_cbranch_execz .LBB24_190
; %bb.181:
	v_cmp_lt_i64_e32 vcc, 12, v[0:1]
	s_mov_b64 s[20:21], s[6:7]
	s_mov_b64 s[22:23], s[14:15]
	s_and_saveexec_b64 s[18:19], vcc
	s_xor_b64 s[18:19], exec, s[18:19]
	s_cbranch_execz .LBB24_187
; %bb.182:
	v_cmp_lt_i64_e32 vcc, 13, v[0:1]
	s_mov_b64 s[20:21], s[14:15]
	s_and_saveexec_b64 s[22:23], vcc
	s_xor_b64 s[22:23], exec, s[22:23]
; %bb.183:
	s_or_b64 s[20:21], s[14:15], exec
; %bb.184:
	s_or_saveexec_b64 s[22:23], s[22:23]
	s_mov_b64 s[24:25], s[6:7]
	s_xor_b64 exec, exec, s[22:23]
; %bb.185:
	s_or_b64 s[24:25], s[6:7], exec
; %bb.186:
	s_or_b64 exec, exec, s[22:23]
	s_andn2_b64 s[22:23], s[14:15], exec
	s_and_b64 s[20:21], s[20:21], exec
	s_or_b64 s[22:23], s[22:23], s[20:21]
	s_andn2_b64 s[20:21], s[6:7], exec
	s_and_b64 s[24:25], s[24:25], exec
	s_or_b64 s[20:21], s[20:21], s[24:25]
                                        ; implicit-def: $vgpr20
.LBB24_187:
	s_andn2_saveexec_b64 s[18:19], s[18:19]
; %bb.188:
	s_or_b64 s[20:21], s[20:21], exec
	v_mov_b32_e32 v16, v20
; %bb.189:
	s_or_b64 exec, exec, s[18:19]
	s_andn2_b64 s[14:15], s[14:15], exec
	s_and_b64 s[18:19], s[22:23], exec
	s_or_b64 s[14:15], s[14:15], s[18:19]
	s_andn2_b64 s[18:19], s[6:7], exec
	s_and_b64 s[20:21], s[20:21], exec
	s_or_b64 s[18:19], s[18:19], s[20:21]
	v_mov_b32_e32 v17, v15
	v_mov_b32_e32 v11, v16
.LBB24_190:
	s_or_b64 exec, exec, s[16:17]
	s_andn2_b64 s[4:5], s[4:5], exec
	s_and_b64 s[14:15], s[14:15], exec
	s_or_b64 s[4:5], s[4:5], s[14:15]
	s_andn2_b64 s[6:7], s[6:7], exec
	s_and_b64 s[14:15], s[18:19], exec
	s_or_b64 s[6:7], s[6:7], s[14:15]
	v_mov_b32_e32 v12, v17
.LBB24_191:
	s_or_b64 exec, exec, s[12:13]
	s_and_b64 s[4:5], s[4:5], exec
	s_and_b64 s[6:7], s[6:7], exec
	;; [unrolled: 1-line block ×3, first 2 shown]
                                        ; implicit-def: $vgpr18
                                        ; implicit-def: $vgpr22
                                        ; implicit-def: $vgpr19
                                        ; implicit-def: $vgpr21
                                        ; implicit-def: $vgpr13
                                        ; implicit-def: $vgpr14
	s_andn2_saveexec_b64 s[2:3], s[2:3]
	s_cbranch_execz .LBB24_142
.LBB24_192:
	v_cmp_lt_i64_e32 vcc, 5, v[0:1]
	s_mov_b64 s[14:15], -1
	s_mov_b64 s[12:13], s[8:9]
	s_mov_b64 s[16:17], s[6:7]
	;; [unrolled: 1-line block ×3, first 2 shown]
                                        ; implicit-def: $vgpr10
	s_and_saveexec_b64 s[0:1], vcc
	s_cbranch_execz .LBB24_208
; %bb.193:
	v_cmp_lt_i64_e32 vcc, 8, v[0:1]
	s_mov_b64 s[12:13], s[8:9]
                                        ; implicit-def: $vgpr10
	s_and_saveexec_b64 s[14:15], vcc
	s_xor_b64 s[14:15], exec, s[14:15]
	s_cbranch_execz .LBB24_203
; %bb.194:
	v_cmp_lt_i64_e32 vcc, 9, v[0:1]
	s_and_saveexec_b64 s[12:13], vcc
	s_xor_b64 s[12:13], exec, s[12:13]
	s_cbranch_execz .LBB24_200
; %bb.195:
	v_cmp_lt_i64_e32 vcc, 10, v[0:1]
	s_and_saveexec_b64 s[16:17], vcc
	s_xor_b64 s[16:17], exec, s[16:17]
; %bb.196:
                                        ; implicit-def: $vgpr21
; %bb.197:
	s_andn2_saveexec_b64 s[16:17], s[16:17]
; %bb.198:
	v_mov_b32_e32 v19, v21
; %bb.199:
	s_or_b64 exec, exec, s[16:17]
                                        ; implicit-def: $vgpr22
.LBB24_200:
	s_andn2_saveexec_b64 s[12:13], s[12:13]
; %bb.201:
	v_mov_b32_e32 v19, v22
; %bb.202:
	s_or_b64 exec, exec, s[12:13]
	s_or_b64 s[12:13], s[8:9], exec
	v_mov_b32_e32 v10, v19
                                        ; implicit-def: $vgpr18
.LBB24_203:
	s_or_saveexec_b64 s[14:15], s[14:15]
	s_mov_b64 s[16:17], s[6:7]
	s_mov_b64 s[20:21], s[4:5]
	s_xor_b64 exec, exec, s[14:15]
	s_cbranch_execz .LBB24_207
; %bb.204:
	v_cmp_lt_i64_e32 vcc, 6, v[0:1]
	s_mov_b64 s[20:21], -1
	s_mov_b64 s[18:19], s[12:13]
	s_mov_b64 s[16:17], s[6:7]
	s_and_saveexec_b64 s[22:23], vcc
; %bb.205:
	v_cmp_lt_i64_e32 vcc, 7, v[0:1]
	s_andn2_b64 s[18:19], s[12:13], exec
	s_and_b64 s[24:25], vcc, exec
	s_xor_b64 s[20:21], exec, -1
	s_or_b64 s[16:17], s[6:7], exec
	s_or_b64 s[18:19], s[18:19], s[24:25]
; %bb.206:
	s_or_b64 exec, exec, s[22:23]
	s_andn2_b64 s[22:23], s[4:5], exec
	s_and_b64 s[20:21], s[20:21], exec
	s_or_b64 s[20:21], s[22:23], s[20:21]
	s_andn2_b64 s[22:23], s[6:7], exec
	s_and_b64 s[16:17], s[16:17], exec
	s_andn2_b64 s[12:13], s[12:13], exec
	s_and_b64 s[18:19], s[18:19], exec
	s_or_b64 s[16:17], s[22:23], s[16:17]
	s_or_b64 s[12:13], s[12:13], s[18:19]
	v_mov_b32_e32 v10, v18
.LBB24_207:
	s_or_b64 exec, exec, s[14:15]
	s_andn2_b64 s[18:19], s[4:5], exec
	s_and_b64 s[20:21], s[20:21], exec
	s_or_b64 s[18:19], s[18:19], s[20:21]
	s_andn2_b64 s[20:21], s[6:7], exec
	s_and_b64 s[16:17], s[16:17], exec
	s_or_b64 s[16:17], s[20:21], s[16:17]
	s_andn2_b64 s[20:21], s[8:9], exec
	s_and_b64 s[12:13], s[12:13], exec
	s_xor_b64 s[14:15], exec, -1
	s_or_b64 s[12:13], s[20:21], s[12:13]
.LBB24_208:
	s_or_b64 exec, exec, s[0:1]
	s_and_b64 s[0:1], s[14:15], exec
	s_andn2_b64 s[4:5], s[4:5], exec
	s_and_b64 s[14:15], s[18:19], exec
	s_or_b64 s[4:5], s[4:5], s[14:15]
	s_andn2_b64 s[6:7], s[6:7], exec
	s_and_b64 s[14:15], s[16:17], exec
	s_andn2_b64 s[8:9], s[8:9], exec
	s_and_b64 s[12:13], s[12:13], exec
	s_or_b64 s[6:7], s[6:7], s[14:15]
	s_or_b64 s[8:9], s[8:9], s[12:13]
	v_mov_b32_e32 v12, v13
	v_mov_b32_e32 v11, v14
	s_or_b64 exec, exec, s[2:3]
	s_and_saveexec_b64 s[2:3], s[8:9]
	s_cbranch_execz .LBB24_143
.LBB24_209:
	v_mov_b32_e32 v2, 0
	s_andn2_b64 s[6:7], s[6:7], exec
	global_store_short v2, v10, s[10:11]
	s_or_b64 exec, exec, s[2:3]
	s_and_saveexec_b64 s[2:3], s[6:7]
	s_cbranch_execz .LBB24_144
.LBB24_210:
	v_mov_b32_e32 v2, 0
	global_store_short v2, v11, s[10:11]
	s_or_b64 exec, exec, s[2:3]
	s_and_saveexec_b64 s[2:3], s[4:5]
	s_xor_b64 s[2:3], exec, s[2:3]
	s_cbranch_execz .LBB24_145
.LBB24_211:
	v_mov_b32_e32 v2, 0
	global_store_short v2, v12, s[10:11]
	s_or_b64 exec, exec, s[2:3]
	s_and_b64 exec, exec, s[0:1]
	s_cbranch_execz .LBB24_146
.LBB24_212:
	v_cmp_lt_i64_e32 vcc, 2, v[0:1]
	s_and_saveexec_b64 s[0:1], vcc
	s_xor_b64 s[0:1], exec, s[0:1]
	s_cbranch_execz .LBB24_222
; %bb.213:
	v_cmp_lt_i64_e32 vcc, 3, v[0:1]
	s_and_saveexec_b64 s[2:3], vcc
	s_xor_b64 s[2:3], exec, s[2:3]
	s_cbranch_execz .LBB24_219
; %bb.214:
	;; [unrolled: 5-line block ×3, first 2 shown]
	v_mov_b32_e32 v0, 0
	global_store_short v0, v9, s[10:11]
                                        ; implicit-def: $vgpr6
.LBB24_216:
	s_andn2_saveexec_b64 s[4:5], s[4:5]
	s_cbranch_execz .LBB24_218
; %bb.217:
	v_mov_b32_e32 v0, 0
	global_store_short v0, v6, s[10:11]
.LBB24_218:
	s_or_b64 exec, exec, s[4:5]
                                        ; implicit-def: $vgpr8
.LBB24_219:
	s_andn2_saveexec_b64 s[2:3], s[2:3]
	s_cbranch_execz .LBB24_221
; %bb.220:
	v_mov_b32_e32 v0, 0
	global_store_short v0, v8, s[10:11]
.LBB24_221:
	s_or_b64 exec, exec, s[2:3]
                                        ; implicit-def: $vgpr0_vgpr1
                                        ; implicit-def: $vgpr7
                                        ; implicit-def: $vgpr4
                                        ; implicit-def: $vgpr5
.LBB24_222:
	s_andn2_saveexec_b64 s[0:1], s[0:1]
	s_cbranch_execz .LBB24_146
; %bb.223:
	v_cmp_lt_i64_e32 vcc, 1, v[0:1]
	s_and_saveexec_b64 s[0:1], vcc
	s_xor_b64 s[0:1], exec, s[0:1]
	s_cbranch_execz .LBB24_225
; %bb.224:
	v_mov_b32_e32 v0, 0
	global_store_short v0, v7, s[10:11]
                                        ; implicit-def: $vgpr4
                                        ; implicit-def: $vgpr0_vgpr1
                                        ; implicit-def: $vgpr5
.LBB24_225:
	s_andn2_saveexec_b64 s[0:1], s[0:1]
	s_cbranch_execz .LBB24_146
; %bb.226:
	v_cmp_ne_u64_e32 vcc, 1, v[0:1]
	s_and_saveexec_b64 s[0:1], vcc
	s_xor_b64 s[0:1], exec, s[0:1]
	s_cbranch_execz .LBB24_228
; %bb.227:
	v_mov_b32_e32 v0, 0
	global_store_short v0, v5, s[10:11]
                                        ; implicit-def: $vgpr4
.LBB24_228:
	s_andn2_saveexec_b64 s[0:1], s[0:1]
	s_cbranch_execz .LBB24_146
; %bb.229:
	v_mov_b32_e32 v0, 0
	global_store_short v0, v4, s[10:11]
	s_endpgm
	.section	.rodata,"a",@progbits
	.p2align	6, 0x0
	.amdhsa_kernel _ZN7rocprim6detail20lookback_scan_kernelILNS0_25lookback_scan_determinismE0ELb0ENS0_19wrapped_scan_configINS_14default_configEsEEN6hipcub22TransformInputIteratorIsNS6_6CastOpIsEEPslEEPfNS6_3MaxEssNS0_19lookback_scan_stateIsLb0ELb1EEEEEvT2_T3_mT5_T4_T7_jPT6_SM_bb
		.amdhsa_group_segment_fixed_size 12288
		.amdhsa_private_segment_fixed_size 0
		.amdhsa_kernarg_size 76
		.amdhsa_user_sgpr_count 6
		.amdhsa_user_sgpr_private_segment_buffer 1
		.amdhsa_user_sgpr_dispatch_ptr 0
		.amdhsa_user_sgpr_queue_ptr 0
		.amdhsa_user_sgpr_kernarg_segment_ptr 1
		.amdhsa_user_sgpr_dispatch_id 0
		.amdhsa_user_sgpr_flat_scratch_init 0
		.amdhsa_user_sgpr_private_segment_size 0
		.amdhsa_uses_dynamic_stack 0
		.amdhsa_system_sgpr_private_segment_wavefront_offset 0
		.amdhsa_system_sgpr_workgroup_id_x 1
		.amdhsa_system_sgpr_workgroup_id_y 0
		.amdhsa_system_sgpr_workgroup_id_z 0
		.amdhsa_system_sgpr_workgroup_info 0
		.amdhsa_system_vgpr_workitem_id 0
		.amdhsa_next_free_vgpr 53
		.amdhsa_next_free_sgpr 98
		.amdhsa_reserve_vcc 1
		.amdhsa_reserve_flat_scratch 0
		.amdhsa_float_round_mode_32 0
		.amdhsa_float_round_mode_16_64 0
		.amdhsa_float_denorm_mode_32 3
		.amdhsa_float_denorm_mode_16_64 3
		.amdhsa_dx10_clamp 1
		.amdhsa_ieee_mode 1
		.amdhsa_fp16_overflow 0
		.amdhsa_exception_fp_ieee_invalid_op 0
		.amdhsa_exception_fp_denorm_src 0
		.amdhsa_exception_fp_ieee_div_zero 0
		.amdhsa_exception_fp_ieee_overflow 0
		.amdhsa_exception_fp_ieee_underflow 0
		.amdhsa_exception_fp_ieee_inexact 0
		.amdhsa_exception_int_div_zero 0
	.end_amdhsa_kernel
	.section	.text._ZN7rocprim6detail20lookback_scan_kernelILNS0_25lookback_scan_determinismE0ELb0ENS0_19wrapped_scan_configINS_14default_configEsEEN6hipcub22TransformInputIteratorIsNS6_6CastOpIsEEPslEEPfNS6_3MaxEssNS0_19lookback_scan_stateIsLb0ELb1EEEEEvT2_T3_mT5_T4_T7_jPT6_SM_bb,"axG",@progbits,_ZN7rocprim6detail20lookback_scan_kernelILNS0_25lookback_scan_determinismE0ELb0ENS0_19wrapped_scan_configINS_14default_configEsEEN6hipcub22TransformInputIteratorIsNS6_6CastOpIsEEPslEEPfNS6_3MaxEssNS0_19lookback_scan_stateIsLb0ELb1EEEEEvT2_T3_mT5_T4_T7_jPT6_SM_bb,comdat
.Lfunc_end24:
	.size	_ZN7rocprim6detail20lookback_scan_kernelILNS0_25lookback_scan_determinismE0ELb0ENS0_19wrapped_scan_configINS_14default_configEsEEN6hipcub22TransformInputIteratorIsNS6_6CastOpIsEEPslEEPfNS6_3MaxEssNS0_19lookback_scan_stateIsLb0ELb1EEEEEvT2_T3_mT5_T4_T7_jPT6_SM_bb, .Lfunc_end24-_ZN7rocprim6detail20lookback_scan_kernelILNS0_25lookback_scan_determinismE0ELb0ENS0_19wrapped_scan_configINS_14default_configEsEEN6hipcub22TransformInputIteratorIsNS6_6CastOpIsEEPslEEPfNS6_3MaxEssNS0_19lookback_scan_stateIsLb0ELb1EEEEEvT2_T3_mT5_T4_T7_jPT6_SM_bb
                                        ; -- End function
	.set _ZN7rocprim6detail20lookback_scan_kernelILNS0_25lookback_scan_determinismE0ELb0ENS0_19wrapped_scan_configINS_14default_configEsEEN6hipcub22TransformInputIteratorIsNS6_6CastOpIsEEPslEEPfNS6_3MaxEssNS0_19lookback_scan_stateIsLb0ELb1EEEEEvT2_T3_mT5_T4_T7_jPT6_SM_bb.num_vgpr, 53
	.set _ZN7rocprim6detail20lookback_scan_kernelILNS0_25lookback_scan_determinismE0ELb0ENS0_19wrapped_scan_configINS_14default_configEsEEN6hipcub22TransformInputIteratorIsNS6_6CastOpIsEEPslEEPfNS6_3MaxEssNS0_19lookback_scan_stateIsLb0ELb1EEEEEvT2_T3_mT5_T4_T7_jPT6_SM_bb.num_agpr, 0
	.set _ZN7rocprim6detail20lookback_scan_kernelILNS0_25lookback_scan_determinismE0ELb0ENS0_19wrapped_scan_configINS_14default_configEsEEN6hipcub22TransformInputIteratorIsNS6_6CastOpIsEEPslEEPfNS6_3MaxEssNS0_19lookback_scan_stateIsLb0ELb1EEEEEvT2_T3_mT5_T4_T7_jPT6_SM_bb.numbered_sgpr, 26
	.set _ZN7rocprim6detail20lookback_scan_kernelILNS0_25lookback_scan_determinismE0ELb0ENS0_19wrapped_scan_configINS_14default_configEsEEN6hipcub22TransformInputIteratorIsNS6_6CastOpIsEEPslEEPfNS6_3MaxEssNS0_19lookback_scan_stateIsLb0ELb1EEEEEvT2_T3_mT5_T4_T7_jPT6_SM_bb.num_named_barrier, 0
	.set _ZN7rocprim6detail20lookback_scan_kernelILNS0_25lookback_scan_determinismE0ELb0ENS0_19wrapped_scan_configINS_14default_configEsEEN6hipcub22TransformInputIteratorIsNS6_6CastOpIsEEPslEEPfNS6_3MaxEssNS0_19lookback_scan_stateIsLb0ELb1EEEEEvT2_T3_mT5_T4_T7_jPT6_SM_bb.private_seg_size, 0
	.set _ZN7rocprim6detail20lookback_scan_kernelILNS0_25lookback_scan_determinismE0ELb0ENS0_19wrapped_scan_configINS_14default_configEsEEN6hipcub22TransformInputIteratorIsNS6_6CastOpIsEEPslEEPfNS6_3MaxEssNS0_19lookback_scan_stateIsLb0ELb1EEEEEvT2_T3_mT5_T4_T7_jPT6_SM_bb.uses_vcc, 1
	.set _ZN7rocprim6detail20lookback_scan_kernelILNS0_25lookback_scan_determinismE0ELb0ENS0_19wrapped_scan_configINS_14default_configEsEEN6hipcub22TransformInputIteratorIsNS6_6CastOpIsEEPslEEPfNS6_3MaxEssNS0_19lookback_scan_stateIsLb0ELb1EEEEEvT2_T3_mT5_T4_T7_jPT6_SM_bb.uses_flat_scratch, 0
	.set _ZN7rocprim6detail20lookback_scan_kernelILNS0_25lookback_scan_determinismE0ELb0ENS0_19wrapped_scan_configINS_14default_configEsEEN6hipcub22TransformInputIteratorIsNS6_6CastOpIsEEPslEEPfNS6_3MaxEssNS0_19lookback_scan_stateIsLb0ELb1EEEEEvT2_T3_mT5_T4_T7_jPT6_SM_bb.has_dyn_sized_stack, 0
	.set _ZN7rocprim6detail20lookback_scan_kernelILNS0_25lookback_scan_determinismE0ELb0ENS0_19wrapped_scan_configINS_14default_configEsEEN6hipcub22TransformInputIteratorIsNS6_6CastOpIsEEPslEEPfNS6_3MaxEssNS0_19lookback_scan_stateIsLb0ELb1EEEEEvT2_T3_mT5_T4_T7_jPT6_SM_bb.has_recursion, 0
	.set _ZN7rocprim6detail20lookback_scan_kernelILNS0_25lookback_scan_determinismE0ELb0ENS0_19wrapped_scan_configINS_14default_configEsEEN6hipcub22TransformInputIteratorIsNS6_6CastOpIsEEPslEEPfNS6_3MaxEssNS0_19lookback_scan_stateIsLb0ELb1EEEEEvT2_T3_mT5_T4_T7_jPT6_SM_bb.has_indirect_call, 0
	.section	.AMDGPU.csdata,"",@progbits
; Kernel info:
; codeLenInByte = 9192
; TotalNumSgprs: 30
; NumVgprs: 53
; ScratchSize: 0
; MemoryBound: 0
; FloatMode: 240
; IeeeMode: 1
; LDSByteSize: 12288 bytes/workgroup (compile time only)
; SGPRBlocks: 12
; VGPRBlocks: 13
; NumSGPRsForWavesPerEU: 102
; NumVGPRsForWavesPerEU: 53
; Occupancy: 4
; WaveLimiterHint : 1
; COMPUTE_PGM_RSRC2:SCRATCH_EN: 0
; COMPUTE_PGM_RSRC2:USER_SGPR: 6
; COMPUTE_PGM_RSRC2:TRAP_HANDLER: 0
; COMPUTE_PGM_RSRC2:TGID_X_EN: 1
; COMPUTE_PGM_RSRC2:TGID_Y_EN: 0
; COMPUTE_PGM_RSRC2:TGID_Z_EN: 0
; COMPUTE_PGM_RSRC2:TIDIG_COMP_CNT: 0
	.section	.text._ZN7rocprim6detail16transform_kernelINS0_24wrapped_transform_configINS_14default_configEsEEsPsS5_NS_8identityIsEEEEvT1_mT2_T3_,"axG",@progbits,_ZN7rocprim6detail16transform_kernelINS0_24wrapped_transform_configINS_14default_configEsEEsPsS5_NS_8identityIsEEEEvT1_mT2_T3_,comdat
	.protected	_ZN7rocprim6detail16transform_kernelINS0_24wrapped_transform_configINS_14default_configEsEEsPsS5_NS_8identityIsEEEEvT1_mT2_T3_ ; -- Begin function _ZN7rocprim6detail16transform_kernelINS0_24wrapped_transform_configINS_14default_configEsEEsPsS5_NS_8identityIsEEEEvT1_mT2_T3_
	.globl	_ZN7rocprim6detail16transform_kernelINS0_24wrapped_transform_configINS_14default_configEsEEsPsS5_NS_8identityIsEEEEvT1_mT2_T3_
	.p2align	8
	.type	_ZN7rocprim6detail16transform_kernelINS0_24wrapped_transform_configINS_14default_configEsEEsPsS5_NS_8identityIsEEEEvT1_mT2_T3_,@function
_ZN7rocprim6detail16transform_kernelINS0_24wrapped_transform_configINS_14default_configEsEEsPsS5_NS_8identityIsEEEEvT1_mT2_T3_: ; @_ZN7rocprim6detail16transform_kernelINS0_24wrapped_transform_configINS_14default_configEsEEsPsS5_NS_8identityIsEEEEvT1_mT2_T3_
; %bb.0:
	s_load_dword s7, s[4:5], 0x20
	s_load_dwordx4 s[0:3], s[4:5], 0x0
	s_load_dwordx2 s[8:9], s[4:5], 0x10
	s_lshl_b32 s4, s6, 11
	s_mov_b32 s5, 0
	s_waitcnt lgkmcnt(0)
	s_add_i32 s7, s7, -1
	s_lshl_b64 s[10:11], s[4:5], 1
	s_add_u32 s0, s0, s10
	s_addc_u32 s1, s1, s11
	v_lshlrev_b32_e32 v5, 1, v0
	v_mov_b32_e32 v1, s1
	v_add_co_u32_e32 v3, vcc, s0, v5
	s_cmp_lg_u32 s6, s7
	v_addc_co_u32_e32 v4, vcc, 0, v1, vcc
	s_cbranch_scc0 .LBB25_2
; %bb.1:
	global_load_ushort v2, v[3:4], off
	global_load_ushort v6, v[3:4], off offset:1024
	global_load_ushort v7, v[3:4], off offset:2048
	;; [unrolled: 1-line block ×3, first 2 shown]
	s_add_u32 s6, s8, s10
	s_addc_u32 s7, s9, s11
	s_mov_b64 s[12:13], -1
	s_waitcnt vmcnt(3)
	global_store_short v5, v2, s[6:7]
	s_waitcnt vmcnt(3)
	global_store_short v5, v6, s[6:7] offset:1024
	s_waitcnt vmcnt(3)
	global_store_short v5, v7, s[6:7] offset:2048
	s_cbranch_execz .LBB25_3
	s_branch .LBB25_17
.LBB25_2:
	s_mov_b64 s[12:13], 0
                                        ; implicit-def: $vgpr1
.LBB25_3:
	s_sub_i32 s6, s2, s4
	s_waitcnt vmcnt(3)
	v_mov_b32_e32 v1, 0
	v_cmp_gt_u32_e32 vcc, s6, v0
	v_mov_b32_e32 v2, v1
	s_and_saveexec_b64 s[0:1], vcc
	s_cbranch_execz .LBB25_5
; %bb.4:
	global_load_ushort v2, v[3:4], off
	v_mov_b32_e32 v7, v1
	s_waitcnt vmcnt(0)
	v_and_b32_e32 v6, 0xffff, v2
	v_mov_b32_e32 v1, v6
	v_mov_b32_e32 v2, v7
.LBB25_5:
	s_or_b64 exec, exec, s[0:1]
	v_or_b32_e32 v6, 0x200, v0
	v_cmp_gt_u32_e64 s[0:1], s6, v6
	s_and_saveexec_b64 s[2:3], s[0:1]
	s_cbranch_execz .LBB25_7
; %bb.6:
	global_load_ushort v6, v[3:4], off offset:1024
	s_mov_b32 s4, 0x5040100
	s_waitcnt vmcnt(0)
	v_perm_b32 v1, v6, v1, s4
.LBB25_7:
	s_or_b64 exec, exec, s[2:3]
	v_or_b32_e32 v6, 0x400, v0
	v_cmp_gt_u32_e64 s[2:3], s6, v6
	s_and_saveexec_b64 s[4:5], s[2:3]
	s_cbranch_execz .LBB25_9
; %bb.8:
	global_load_ushort v6, v[3:4], off offset:2048
	s_mov_b32 s7, 0xffff
	s_waitcnt vmcnt(0)
	v_bfi_b32 v2, s7, v6, v2
.LBB25_9:
	s_or_b64 exec, exec, s[4:5]
	v_or_b32_e32 v0, 0x600, v0
	v_cmp_gt_u32_e64 s[4:5], s6, v0
	s_and_saveexec_b64 s[6:7], s[4:5]
	s_cbranch_execz .LBB25_11
; %bb.10:
	global_load_ushort v0, v[3:4], off offset:3072
	s_mov_b32 s14, 0x5040100
	s_waitcnt vmcnt(0)
	v_perm_b32 v2, v0, v2, s14
.LBB25_11:
	s_or_b64 exec, exec, s[6:7]
	s_add_u32 s6, s8, s10
	s_addc_u32 s7, s9, s11
	v_mov_b32_e32 v0, 0
	v_mov_b32_e32 v4, s7
	v_add_co_u32_e64 v3, s[6:7], s6, v5
	v_cndmask_b32_sdwa v0, v0, v1, vcc dst_sel:DWORD dst_unused:UNUSED_PAD src0_sel:DWORD src1_sel:WORD_0
	v_addc_co_u32_e64 v4, s[6:7], 0, v4, s[6:7]
	s_and_saveexec_b64 s[6:7], vcc
	s_cbranch_execnz .LBB25_20
; %bb.12:
	s_or_b64 exec, exec, s[6:7]
	v_cndmask_b32_e64 v0, v0, v1, s[0:1]
	s_and_saveexec_b64 s[6:7], s[0:1]
	s_cbranch_execnz .LBB25_21
.LBB25_13:
	s_or_b64 exec, exec, s[6:7]
	s_and_saveexec_b64 s[0:1], s[2:3]
	s_cbranch_execnz .LBB25_22
.LBB25_14:
	s_or_b64 exec, exec, s[0:1]
                                        ; implicit-def: $vgpr1
	s_and_saveexec_b64 s[0:1], s[4:5]
.LBB25_15:
	v_cndmask_b32_e64 v0, 0, v2, s[4:5]
	v_lshrrev_b32_e32 v1, 16, v0
	s_or_b64 s[12:13], s[12:13], exec
.LBB25_16:
	s_or_b64 exec, exec, s[0:1]
.LBB25_17:
	s_and_saveexec_b64 s[0:1], s[12:13]
	s_cbranch_execnz .LBB25_19
; %bb.18:
	s_endpgm
.LBB25_19:
	s_add_u32 s0, s8, s10
	s_addc_u32 s1, s9, s11
	s_waitcnt vmcnt(3)
	global_store_short v5, v1, s[0:1] offset:3072
	s_endpgm
.LBB25_20:
	global_store_short v[3:4], v0, off
	s_or_b64 exec, exec, s[6:7]
	v_cndmask_b32_e64 v0, v0, v1, s[0:1]
	s_and_saveexec_b64 s[6:7], s[0:1]
	s_cbranch_execz .LBB25_13
.LBB25_21:
	global_store_short_d16_hi v[3:4], v0, off offset:1024
	s_or_b64 exec, exec, s[6:7]
	s_and_saveexec_b64 s[0:1], s[2:3]
	s_cbranch_execz .LBB25_14
.LBB25_22:
	v_cndmask_b32_e64 v0, 0, v2, s[2:3]
	global_store_short v[3:4], v0, off offset:2048
	s_or_b64 exec, exec, s[0:1]
                                        ; implicit-def: $vgpr1
	s_and_saveexec_b64 s[0:1], s[4:5]
	s_cbranch_execnz .LBB25_15
	s_branch .LBB25_16
	.section	.rodata,"a",@progbits
	.p2align	6, 0x0
	.amdhsa_kernel _ZN7rocprim6detail16transform_kernelINS0_24wrapped_transform_configINS_14default_configEsEEsPsS5_NS_8identityIsEEEEvT1_mT2_T3_
		.amdhsa_group_segment_fixed_size 0
		.amdhsa_private_segment_fixed_size 0
		.amdhsa_kernarg_size 288
		.amdhsa_user_sgpr_count 6
		.amdhsa_user_sgpr_private_segment_buffer 1
		.amdhsa_user_sgpr_dispatch_ptr 0
		.amdhsa_user_sgpr_queue_ptr 0
		.amdhsa_user_sgpr_kernarg_segment_ptr 1
		.amdhsa_user_sgpr_dispatch_id 0
		.amdhsa_user_sgpr_flat_scratch_init 0
		.amdhsa_user_sgpr_private_segment_size 0
		.amdhsa_uses_dynamic_stack 0
		.amdhsa_system_sgpr_private_segment_wavefront_offset 0
		.amdhsa_system_sgpr_workgroup_id_x 1
		.amdhsa_system_sgpr_workgroup_id_y 0
		.amdhsa_system_sgpr_workgroup_id_z 0
		.amdhsa_system_sgpr_workgroup_info 0
		.amdhsa_system_vgpr_workitem_id 0
		.amdhsa_next_free_vgpr 8
		.amdhsa_next_free_sgpr 15
		.amdhsa_reserve_vcc 1
		.amdhsa_reserve_flat_scratch 0
		.amdhsa_float_round_mode_32 0
		.amdhsa_float_round_mode_16_64 0
		.amdhsa_float_denorm_mode_32 3
		.amdhsa_float_denorm_mode_16_64 3
		.amdhsa_dx10_clamp 1
		.amdhsa_ieee_mode 1
		.amdhsa_fp16_overflow 0
		.amdhsa_exception_fp_ieee_invalid_op 0
		.amdhsa_exception_fp_denorm_src 0
		.amdhsa_exception_fp_ieee_div_zero 0
		.amdhsa_exception_fp_ieee_overflow 0
		.amdhsa_exception_fp_ieee_underflow 0
		.amdhsa_exception_fp_ieee_inexact 0
		.amdhsa_exception_int_div_zero 0
	.end_amdhsa_kernel
	.section	.text._ZN7rocprim6detail16transform_kernelINS0_24wrapped_transform_configINS_14default_configEsEEsPsS5_NS_8identityIsEEEEvT1_mT2_T3_,"axG",@progbits,_ZN7rocprim6detail16transform_kernelINS0_24wrapped_transform_configINS_14default_configEsEEsPsS5_NS_8identityIsEEEEvT1_mT2_T3_,comdat
.Lfunc_end25:
	.size	_ZN7rocprim6detail16transform_kernelINS0_24wrapped_transform_configINS_14default_configEsEEsPsS5_NS_8identityIsEEEEvT1_mT2_T3_, .Lfunc_end25-_ZN7rocprim6detail16transform_kernelINS0_24wrapped_transform_configINS_14default_configEsEEsPsS5_NS_8identityIsEEEEvT1_mT2_T3_
                                        ; -- End function
	.set _ZN7rocprim6detail16transform_kernelINS0_24wrapped_transform_configINS_14default_configEsEEsPsS5_NS_8identityIsEEEEvT1_mT2_T3_.num_vgpr, 8
	.set _ZN7rocprim6detail16transform_kernelINS0_24wrapped_transform_configINS_14default_configEsEEsPsS5_NS_8identityIsEEEEvT1_mT2_T3_.num_agpr, 0
	.set _ZN7rocprim6detail16transform_kernelINS0_24wrapped_transform_configINS_14default_configEsEEsPsS5_NS_8identityIsEEEEvT1_mT2_T3_.numbered_sgpr, 15
	.set _ZN7rocprim6detail16transform_kernelINS0_24wrapped_transform_configINS_14default_configEsEEsPsS5_NS_8identityIsEEEEvT1_mT2_T3_.num_named_barrier, 0
	.set _ZN7rocprim6detail16transform_kernelINS0_24wrapped_transform_configINS_14default_configEsEEsPsS5_NS_8identityIsEEEEvT1_mT2_T3_.private_seg_size, 0
	.set _ZN7rocprim6detail16transform_kernelINS0_24wrapped_transform_configINS_14default_configEsEEsPsS5_NS_8identityIsEEEEvT1_mT2_T3_.uses_vcc, 1
	.set _ZN7rocprim6detail16transform_kernelINS0_24wrapped_transform_configINS_14default_configEsEEsPsS5_NS_8identityIsEEEEvT1_mT2_T3_.uses_flat_scratch, 0
	.set _ZN7rocprim6detail16transform_kernelINS0_24wrapped_transform_configINS_14default_configEsEEsPsS5_NS_8identityIsEEEEvT1_mT2_T3_.has_dyn_sized_stack, 0
	.set _ZN7rocprim6detail16transform_kernelINS0_24wrapped_transform_configINS_14default_configEsEEsPsS5_NS_8identityIsEEEEvT1_mT2_T3_.has_recursion, 0
	.set _ZN7rocprim6detail16transform_kernelINS0_24wrapped_transform_configINS_14default_configEsEEsPsS5_NS_8identityIsEEEEvT1_mT2_T3_.has_indirect_call, 0
	.section	.AMDGPU.csdata,"",@progbits
; Kernel info:
; codeLenInByte = 624
; TotalNumSgprs: 19
; NumVgprs: 8
; ScratchSize: 0
; MemoryBound: 0
; FloatMode: 240
; IeeeMode: 1
; LDSByteSize: 0 bytes/workgroup (compile time only)
; SGPRBlocks: 2
; VGPRBlocks: 1
; NumSGPRsForWavesPerEU: 19
; NumVGPRsForWavesPerEU: 8
; Occupancy: 10
; WaveLimiterHint : 1
; COMPUTE_PGM_RSRC2:SCRATCH_EN: 0
; COMPUTE_PGM_RSRC2:USER_SGPR: 6
; COMPUTE_PGM_RSRC2:TRAP_HANDLER: 0
; COMPUTE_PGM_RSRC2:TGID_X_EN: 1
; COMPUTE_PGM_RSRC2:TGID_Y_EN: 0
; COMPUTE_PGM_RSRC2:TGID_Z_EN: 0
; COMPUTE_PGM_RSRC2:TIDIG_COMP_CNT: 0
	.section	.text._ZN7rocprim6detail18single_scan_kernelILb0ENS0_19wrapped_scan_configINS_14default_configEsEEN6hipcub22TransformInputIteratorIsNS5_6CastOpIsEEPslEEPfNS5_3MaxEssEEvT1_mT4_T2_T3_,"axG",@progbits,_ZN7rocprim6detail18single_scan_kernelILb0ENS0_19wrapped_scan_configINS_14default_configEsEEN6hipcub22TransformInputIteratorIsNS5_6CastOpIsEEPslEEPfNS5_3MaxEssEEvT1_mT4_T2_T3_,comdat
	.protected	_ZN7rocprim6detail18single_scan_kernelILb0ENS0_19wrapped_scan_configINS_14default_configEsEEN6hipcub22TransformInputIteratorIsNS5_6CastOpIsEEPslEEPfNS5_3MaxEssEEvT1_mT4_T2_T3_ ; -- Begin function _ZN7rocprim6detail18single_scan_kernelILb0ENS0_19wrapped_scan_configINS_14default_configEsEEN6hipcub22TransformInputIteratorIsNS5_6CastOpIsEEPslEEPfNS5_3MaxEssEEvT1_mT4_T2_T3_
	.globl	_ZN7rocprim6detail18single_scan_kernelILb0ENS0_19wrapped_scan_configINS_14default_configEsEEN6hipcub22TransformInputIteratorIsNS5_6CastOpIsEEPslEEPfNS5_3MaxEssEEvT1_mT4_T2_T3_
	.p2align	8
	.type	_ZN7rocprim6detail18single_scan_kernelILb0ENS0_19wrapped_scan_configINS_14default_configEsEEN6hipcub22TransformInputIteratorIsNS5_6CastOpIsEEPslEEPfNS5_3MaxEssEEvT1_mT4_T2_T3_,@function
_ZN7rocprim6detail18single_scan_kernelILb0ENS0_19wrapped_scan_configINS_14default_configEsEEN6hipcub22TransformInputIteratorIsNS5_6CastOpIsEEPslEEPfNS5_3MaxEssEEvT1_mT4_T2_T3_: ; @_ZN7rocprim6detail18single_scan_kernelILb0ENS0_19wrapped_scan_configINS_14default_configEsEEN6hipcub22TransformInputIteratorIsNS5_6CastOpIsEEPslEEPfNS5_3MaxEssEEvT1_mT4_T2_T3_
; %bb.0:
	s_load_dwordx2 s[0:1], s[4:5], 0x0
	s_load_dword s33, s[4:5], 0x10
	v_mov_b32_e32 v1, 0
	v_lshlrev_b32_e32 v19, 1, v0
	s_waitcnt lgkmcnt(0)
	global_load_ushort v20, v1, s[0:1]
	v_mov_b32_e32 v1, s1
	v_add_co_u32_e32 v17, vcc, s0, v19
	v_addc_co_u32_e32 v18, vcc, 0, v1, vcc
	v_cmp_gt_u32_e64 s[0:1], s33, v0
	s_waitcnt vmcnt(0)
	v_and_b32_e32 v1, 0xffff, v20
	v_lshl_or_b32 v1, v20, 16, v1
	v_mov_b32_e32 v2, v1
	v_mov_b32_e32 v3, v1
	;; [unrolled: 1-line block ×11, first 2 shown]
	s_and_saveexec_b64 s[2:3], s[0:1]
	s_cbranch_execz .LBB26_2
; %bb.1:
	global_load_ushort v20, v[17:18], off
	s_mov_b32 s6, 0xffff
	v_mov_b32_e32 v3, v1
	v_mov_b32_e32 v4, v1
	v_mov_b32_e32 v5, v1
	v_mov_b32_e32 v6, v1
	v_mov_b32_e32 v7, v1
	v_mov_b32_e32 v8, v1
	v_mov_b32_e32 v9, v1
	v_mov_b32_e32 v10, v1
	v_mov_b32_e32 v11, v1
	v_mov_b32_e32 v12, v1
	v_mov_b32_e32 v13, v1
	s_waitcnt vmcnt(0)
	v_bfi_b32 v2, s6, v20, v1
	v_mov_b32_e32 v1, v2
	v_mov_b32_e32 v2, v3
	;; [unrolled: 1-line block ×16, first 2 shown]
.LBB26_2:
	s_or_b64 exec, exec, s[2:3]
	v_or_b32_e32 v13, 0x100, v0
	v_cmp_gt_u32_e64 s[2:3], s33, v13
	s_and_saveexec_b64 s[6:7], s[2:3]
	s_cbranch_execz .LBB26_4
; %bb.3:
	global_load_ushort v13, v[17:18], off offset:512
	s_mov_b32 s8, 0x5040100
	s_waitcnt vmcnt(0)
	v_perm_b32 v1, v13, v1, s8
.LBB26_4:
	s_or_b64 exec, exec, s[6:7]
	v_or_b32_e32 v13, 0x200, v0
	v_cmp_gt_u32_e64 s[6:7], s33, v13
	s_and_saveexec_b64 s[8:9], s[6:7]
	s_cbranch_execz .LBB26_6
; %bb.5:
	global_load_ushort v13, v[17:18], off offset:1024
	s_mov_b32 s10, 0xffff
	s_waitcnt vmcnt(0)
	v_bfi_b32 v2, s10, v13, v2
.LBB26_6:
	s_or_b64 exec, exec, s[8:9]
	v_or_b32_e32 v13, 0x300, v0
	v_cmp_gt_u32_e64 s[8:9], s33, v13
	s_and_saveexec_b64 s[10:11], s[8:9]
	s_cbranch_execz .LBB26_8
; %bb.7:
	global_load_ushort v13, v[17:18], off offset:1536
	s_mov_b32 s12, 0x5040100
	s_waitcnt vmcnt(0)
	v_perm_b32 v2, v13, v2, s12
.LBB26_8:
	s_or_b64 exec, exec, s[10:11]
	v_or_b32_e32 v13, 0x400, v0
	v_cmp_gt_u32_e64 s[10:11], s33, v13
	s_and_saveexec_b64 s[12:13], s[10:11]
	s_cbranch_execz .LBB26_10
; %bb.9:
	global_load_ushort v13, v[17:18], off offset:2048
	s_mov_b32 s14, 0xffff
	s_waitcnt vmcnt(0)
	v_bfi_b32 v3, s14, v13, v3
.LBB26_10:
	;; [unrolled: 22-line block ×3, first 2 shown]
	s_or_b64 exec, exec, s[16:17]
	v_or_b32_e32 v13, 0x700, v0
	v_cmp_gt_u32_e64 s[16:17], s33, v13
	s_and_saveexec_b64 s[18:19], s[16:17]
	s_cbranch_execz .LBB26_16
; %bb.15:
	global_load_ushort v13, v[17:18], off offset:3584
	s_mov_b32 s20, 0x5040100
	s_waitcnt vmcnt(0)
	v_perm_b32 v4, v13, v4, s20
.LBB26_16:
	s_or_b64 exec, exec, s[18:19]
	v_or_b32_e32 v13, 0x800, v0
	v_cmp_gt_u32_e64 s[18:19], s33, v13
	s_and_saveexec_b64 s[20:21], s[18:19]
	s_cbranch_execz .LBB26_18
; %bb.17:
	v_add_co_u32_e32 v13, vcc, 0x1000, v17
	v_addc_co_u32_e32 v14, vcc, 0, v18, vcc
	global_load_ushort v13, v[13:14], off
	s_mov_b32 s22, 0xffff
	s_waitcnt vmcnt(0)
	v_bfi_b32 v5, s22, v13, v5
.LBB26_18:
	s_or_b64 exec, exec, s[20:21]
	v_or_b32_e32 v13, 0x900, v0
	v_cmp_gt_u32_e64 s[20:21], s33, v13
	s_and_saveexec_b64 s[22:23], s[20:21]
	s_cbranch_execz .LBB26_20
; %bb.19:
	v_add_co_u32_e32 v13, vcc, 0x1000, v17
	v_addc_co_u32_e32 v14, vcc, 0, v18, vcc
	global_load_ushort v13, v[13:14], off offset:512
	s_mov_b32 s24, 0x5040100
	s_waitcnt vmcnt(0)
	v_perm_b32 v5, v13, v5, s24
.LBB26_20:
	s_or_b64 exec, exec, s[22:23]
	v_or_b32_e32 v13, 0xa00, v0
	v_cmp_gt_u32_e64 s[22:23], s33, v13
	s_and_saveexec_b64 s[24:25], s[22:23]
	s_cbranch_execz .LBB26_22
; %bb.21:
	v_add_co_u32_e32 v13, vcc, 0x1000, v17
	v_addc_co_u32_e32 v14, vcc, 0, v18, vcc
	global_load_ushort v13, v[13:14], off offset:1024
	s_mov_b32 s26, 0xffff
	s_waitcnt vmcnt(0)
	v_bfi_b32 v6, s26, v13, v6
.LBB26_22:
	s_or_b64 exec, exec, s[24:25]
	v_or_b32_e32 v13, 0xb00, v0
	v_cmp_gt_u32_e64 s[24:25], s33, v13
	s_and_saveexec_b64 s[26:27], s[24:25]
	s_cbranch_execz .LBB26_24
; %bb.23:
	v_add_co_u32_e32 v13, vcc, 0x1000, v17
	v_addc_co_u32_e32 v14, vcc, 0, v18, vcc
	global_load_ushort v13, v[13:14], off offset:1536
	s_mov_b32 s28, 0x5040100
	s_waitcnt vmcnt(0)
	v_perm_b32 v6, v13, v6, s28
.LBB26_24:
	s_or_b64 exec, exec, s[26:27]
	v_or_b32_e32 v13, 0xc00, v0
	v_cmp_gt_u32_e64 s[26:27], s33, v13
	s_and_saveexec_b64 s[28:29], s[26:27]
	s_cbranch_execz .LBB26_26
; %bb.25:
	v_add_co_u32_e32 v13, vcc, 0x1000, v17
	v_addc_co_u32_e32 v14, vcc, 0, v18, vcc
	global_load_ushort v13, v[13:14], off offset:2048
	s_mov_b32 s30, 0xffff
	s_waitcnt vmcnt(0)
	v_bfi_b32 v7, s30, v13, v7
.LBB26_26:
	;; [unrolled: 26-line block ×3, first 2 shown]
	s_or_b64 exec, exec, s[34:35]
	v_or_b32_e32 v13, 0xf00, v0
	v_cmp_gt_u32_e64 s[34:35], s33, v13
	s_and_saveexec_b64 s[36:37], s[34:35]
	s_cbranch_execz .LBB26_32
; %bb.31:
	v_add_co_u32_e32 v13, vcc, 0x1000, v17
	v_addc_co_u32_e32 v14, vcc, 0, v18, vcc
	global_load_ushort v13, v[13:14], off offset:3584
	s_mov_b32 s38, 0x5040100
	s_waitcnt vmcnt(0)
	v_perm_b32 v8, v13, v8, s38
.LBB26_32:
	s_or_b64 exec, exec, s[36:37]
	v_or_b32_e32 v13, 0x1000, v0
	v_cmp_gt_u32_e64 s[36:37], s33, v13
	s_and_saveexec_b64 s[38:39], s[36:37]
	s_cbranch_execz .LBB26_34
; %bb.33:
	v_add_co_u32_e32 v13, vcc, 0x2000, v17
	v_addc_co_u32_e32 v14, vcc, 0, v18, vcc
	global_load_ushort v13, v[13:14], off
	s_mov_b32 s40, 0xffff
	s_waitcnt vmcnt(0)
	v_bfi_b32 v9, s40, v13, v9
.LBB26_34:
	s_or_b64 exec, exec, s[38:39]
	v_or_b32_e32 v13, 0x1100, v0
	v_cmp_gt_u32_e64 s[38:39], s33, v13
	s_and_saveexec_b64 s[40:41], s[38:39]
	s_cbranch_execz .LBB26_36
; %bb.35:
	v_add_co_u32_e32 v13, vcc, 0x2000, v17
	v_addc_co_u32_e32 v14, vcc, 0, v18, vcc
	global_load_ushort v13, v[13:14], off offset:512
	s_mov_b32 s42, 0x5040100
	s_waitcnt vmcnt(0)
	v_perm_b32 v9, v13, v9, s42
.LBB26_36:
	s_or_b64 exec, exec, s[40:41]
	v_or_b32_e32 v13, 0x1200, v0
	v_cmp_gt_u32_e64 s[40:41], s33, v13
	s_and_saveexec_b64 s[42:43], s[40:41]
	s_cbranch_execz .LBB26_38
; %bb.37:
	v_add_co_u32_e32 v13, vcc, 0x2000, v17
	v_addc_co_u32_e32 v14, vcc, 0, v18, vcc
	global_load_ushort v13, v[13:14], off offset:1024
	s_mov_b32 s44, 0xffff
	s_waitcnt vmcnt(0)
	v_bfi_b32 v10, s44, v13, v10
.LBB26_38:
	s_or_b64 exec, exec, s[42:43]
	v_or_b32_e32 v13, 0x1300, v0
	v_cmp_gt_u32_e64 s[42:43], s33, v13
	s_and_saveexec_b64 s[44:45], s[42:43]
	s_cbranch_execz .LBB26_40
; %bb.39:
	v_add_co_u32_e32 v13, vcc, 0x2000, v17
	v_addc_co_u32_e32 v14, vcc, 0, v18, vcc
	global_load_ushort v13, v[13:14], off offset:1536
	s_mov_b32 s46, 0x5040100
	s_waitcnt vmcnt(0)
	v_perm_b32 v10, v13, v10, s46
.LBB26_40:
	s_or_b64 exec, exec, s[44:45]
	v_or_b32_e32 v13, 0x1400, v0
	v_cmp_gt_u32_e64 s[44:45], s33, v13
	s_and_saveexec_b64 s[46:47], s[44:45]
	s_cbranch_execz .LBB26_42
; %bb.41:
	v_add_co_u32_e32 v13, vcc, 0x2000, v17
	v_addc_co_u32_e32 v14, vcc, 0, v18, vcc
	global_load_ushort v13, v[13:14], off offset:2048
	s_mov_b32 s48, 0xffff
	s_waitcnt vmcnt(0)
	v_bfi_b32 v11, s48, v13, v11
.LBB26_42:
	s_or_b64 exec, exec, s[46:47]
	v_or_b32_e32 v13, 0x1500, v0
	v_cmp_gt_u32_e64 s[46:47], s33, v13
	s_and_saveexec_b64 s[48:49], s[46:47]
	s_cbranch_execz .LBB26_44
; %bb.43:
	v_add_co_u32_e32 v13, vcc, 0x2000, v17
	v_addc_co_u32_e32 v14, vcc, 0, v18, vcc
	global_load_ushort v13, v[13:14], off offset:2560
	s_mov_b32 s50, 0x5040100
	s_waitcnt vmcnt(0)
	v_perm_b32 v11, v13, v11, s50
.LBB26_44:
	s_or_b64 exec, exec, s[48:49]
	v_or_b32_e32 v13, 0x1600, v0
	v_cmp_gt_u32_e64 s[48:49], s33, v13
	s_and_saveexec_b64 s[50:51], s[48:49]
	s_cbranch_execz .LBB26_46
; %bb.45:
	v_add_co_u32_e32 v13, vcc, 0x2000, v17
	v_addc_co_u32_e32 v14, vcc, 0, v18, vcc
	global_load_ushort v13, v[13:14], off offset:3072
	s_mov_b32 s52, 0xffff
	s_waitcnt vmcnt(0)
	v_bfi_b32 v12, s52, v13, v12
.LBB26_46:
	s_or_b64 exec, exec, s[50:51]
	v_or_b32_e32 v13, 0x1700, v0
	v_cmp_gt_u32_e64 s[50:51], s33, v13
	s_and_saveexec_b64 s[52:53], s[50:51]
	s_cbranch_execz .LBB26_48
; %bb.47:
	v_add_co_u32_e32 v13, vcc, 0x2000, v17
	v_addc_co_u32_e32 v14, vcc, 0, v18, vcc
	global_load_ushort v13, v[13:14], off offset:3584
	s_mov_b32 s33, 0x5040100
	s_waitcnt vmcnt(0)
	v_perm_b32 v12, v13, v12, s33
.LBB26_48:
	s_or_b64 exec, exec, s[52:53]
	ds_write_b16 v19, v20
	ds_write_b16_d16_hi v19, v1 offset:512
	ds_write_b16 v19, v2 offset:1024
	ds_write_b16_d16_hi v19, v2 offset:1536
	ds_write_b16 v19, v3 offset:2048
	;; [unrolled: 2-line block ×11, first 2 shown]
	ds_write_b16_d16_hi v19, v12 offset:11776
	v_mad_u32_u24 v5, v0, 46, v19
	s_waitcnt lgkmcnt(0)
	s_barrier
	ds_read_b128 v[1:4], v5
	ds_read_b128 v[9:12], v5 offset:16
	ds_read_b128 v[5:8], v5 offset:32
	v_lshrrev_b32_e32 v37, 4, v0
	v_and_b32_e32 v37, 14, v37
	s_waitcnt lgkmcnt(2)
	v_max_i16_sdwa v13, v1, v1 dst_sel:DWORD dst_unused:UNUSED_PAD src0_sel:DWORD src1_sel:WORD_1
	v_max_i16_e32 v14, v13, v2
	v_max_i16_sdwa v16, v14, v2 dst_sel:DWORD dst_unused:UNUSED_PAD src0_sel:DWORD src1_sel:WORD_1
	v_max_i16_e32 v18, v16, v3
	;; [unrolled: 2-line block ×3, first 2 shown]
	v_max_i16_sdwa v27, v24, v4 dst_sel:DWORD dst_unused:UNUSED_PAD src0_sel:DWORD src1_sel:WORD_1
	s_waitcnt lgkmcnt(1)
	v_max_i16_e32 v15, v27, v9
	v_max_i16_sdwa v17, v15, v9 dst_sel:DWORD dst_unused:UNUSED_PAD src0_sel:DWORD src1_sel:WORD_1
	v_max_i16_e32 v20, v17, v10
	v_max_i16_sdwa v23, v20, v10 dst_sel:DWORD dst_unused:UNUSED_PAD src0_sel:DWORD src1_sel:WORD_1
	;; [unrolled: 2-line block ×4, first 2 shown]
	s_waitcnt lgkmcnt(0)
	v_max_i16_e32 v22, v33, v5
	v_max_i16_sdwa v25, v22, v5 dst_sel:DWORD dst_unused:UNUSED_PAD src0_sel:DWORD src1_sel:WORD_1
	v_max_i16_e32 v28, v25, v6
	v_max_i16_sdwa v30, v28, v6 dst_sel:DWORD dst_unused:UNUSED_PAD src0_sel:DWORD src1_sel:WORD_1
	;; [unrolled: 2-line block ×4, first 2 shown]
	v_add_u32_e32 v37, v19, v37
	v_cmp_gt_u32_e32 vcc, 64, v0
	s_barrier
	ds_write_b16 v37, v36
	s_waitcnt lgkmcnt(0)
	s_barrier
	s_and_saveexec_b64 s[52:53], vcc
	s_cbranch_execz .LBB26_50
; %bb.49:
	v_lshrrev_b32_e32 v37, 2, v0
	v_and_b32_e32 v37, 62, v37
	v_lshl_add_u32 v39, v0, 3, v37
	ds_read_b64 v[37:38], v39
	v_mbcnt_lo_u32_b32 v40, -1, 0
	v_mbcnt_hi_u32_b32 v40, -1, v40
	v_and_b32_e32 v41, 15, v40
	v_cmp_eq_u32_e32 vcc, 0, v41
	s_waitcnt lgkmcnt(0)
	v_lshrrev_b32_e32 v42, 16, v38
	v_max_i16_sdwa v43, v37, v37 dst_sel:DWORD dst_unused:UNUSED_PAD src0_sel:DWORD src1_sel:WORD_1
	v_max3_i16 v43, v43, v38, v42
	v_and_b32_e32 v44, 0xffff, v43
	s_mov_b32 s33, 0x5040100
	s_nop 0
	v_mov_b32_dpp v44, v44 row_shr:1 row_mask:0xf bank_mask:0xf
	v_max_i16_e32 v44, v44, v43
	v_cndmask_b32_e32 v43, v44, v43, vcc
	v_and_b32_e32 v44, 0xffff, v43
	v_cmp_lt_u32_e32 vcc, 1, v41
	s_nop 0
	v_mov_b32_dpp v44, v44 row_shr:2 row_mask:0xf bank_mask:0xf
	v_max_i16_e32 v44, v44, v43
	v_cndmask_b32_e32 v43, v43, v44, vcc
	v_and_b32_e32 v44, 0xffff, v43
	v_cmp_lt_u32_e32 vcc, 3, v41
	;; [unrolled: 6-line block ×3, first 2 shown]
	s_nop 0
	v_mov_b32_dpp v44, v44 row_shr:8 row_mask:0xf bank_mask:0xf
	v_max_i16_e32 v44, v44, v43
	v_cndmask_b32_e32 v41, v43, v44, vcc
	v_and_b32_e32 v43, 0xffff, v41
	v_and_b32_e32 v44, 16, v40
	v_cmp_eq_u32_e32 vcc, 0, v44
	v_mov_b32_dpp v43, v43 row_bcast:15 row_mask:0xf bank_mask:0xf
	v_max_i16_e32 v43, v43, v41
	v_cndmask_b32_e32 v41, v43, v41, vcc
	v_and_b32_e32 v43, 0xffff, v41
	v_cmp_lt_u32_e32 vcc, 31, v40
	v_and_b32_e32 v44, 64, v40
	v_mov_b32_dpp v43, v43 row_bcast:31 row_mask:0xf bank_mask:0xf
	v_max_i16_e32 v43, v43, v41
	v_cndmask_b32_e32 v41, v41, v43, vcc
	v_add_u32_e32 v43, -1, v40
	v_cmp_lt_i32_e32 vcc, v43, v44
	v_cndmask_b32_e32 v40, v43, v40, vcc
	v_lshlrev_b32_e32 v40, 2, v40
	v_and_b32_e32 v41, 0xffff, v41
	ds_bpermute_b32 v40, v40, v41
	v_cmp_eq_u32_e32 vcc, 0, v0
	s_waitcnt lgkmcnt(0)
	v_max_i16_e32 v40, v40, v37
	v_cndmask_b32_e32 v40, v40, v36, vcc
	v_max_i16_sdwa v37, v40, v37 dst_sel:DWORD dst_unused:UNUSED_PAD src0_sel:DWORD src1_sel:WORD_1
	v_max_i16_e32 v38, v37, v38
	v_max_i16_e32 v41, v38, v42
	v_perm_b32 v37, v37, v40, s33
	v_perm_b32 v38, v41, v38, s33
	ds_write_b64 v39, v[37:38]
.LBB26_50:
	s_or_b64 exec, exec, s[52:53]
	v_mul_u32_u24_e32 v37, 46, v0
	v_cmp_ne_u32_e32 vcc, 0, v0
	s_waitcnt lgkmcnt(0)
	s_barrier
	s_and_saveexec_b64 s[52:53], vcc
	s_cbranch_execz .LBB26_52
; %bb.51:
	v_add_u32_e32 v13, -1, v0
	v_lshrrev_b32_e32 v14, 4, v13
	v_and_b32_e32 v14, 0xffffffe, v14
	v_lshl_add_u32 v13, v13, 1, v14
	ds_read_u16 v13, v13
	s_waitcnt lgkmcnt(0)
	v_max_i16_e32 v38, v13, v1
	v_max_i16_sdwa v13, v38, v1 dst_sel:DWORD dst_unused:UNUSED_PAD src0_sel:DWORD src1_sel:WORD_1
	v_max_i16_e32 v14, v13, v2
	v_max_i16_sdwa v16, v14, v2 dst_sel:DWORD dst_unused:UNUSED_PAD src0_sel:DWORD src1_sel:WORD_1
	;; [unrolled: 2-line block ×12, first 2 shown]
	v_mov_b32_e32 v1, v38
.LBB26_52:
	s_or_b64 exec, exec, s[52:53]
	s_mov_b32 s33, 0x5040100
	v_add_u32_e32 v5, v19, v37
	v_perm_b32 v4, v27, v24, s33
	v_perm_b32 v3, v21, v18, s33
	;; [unrolled: 1-line block ×4, first 2 shown]
	s_barrier
	ds_write_b128 v5, v[1:4]
	v_perm_b32 v4, v33, v31, s33
	v_perm_b32 v3, v29, v26, s33
	;; [unrolled: 1-line block ×4, first 2 shown]
	ds_write_b128 v5, v[1:4] offset:16
	v_perm_b32 v4, v36, v35, s33
	v_perm_b32 v3, v34, v32, s33
	;; [unrolled: 1-line block ×4, first 2 shown]
	ds_write_b128 v5, v[1:4] offset:32
	s_waitcnt lgkmcnt(0)
	s_barrier
	ds_read_u16 v25, v19 offset:512
	ds_read_u16 v24, v19 offset:1024
	;; [unrolled: 1-line block ×23, first 2 shown]
	s_load_dwordx2 s[4:5], s[4:5], 0x20
	v_lshlrev_b32_e32 v0, 2, v0
	s_waitcnt lgkmcnt(0)
	v_mov_b32_e32 v1, s5
	v_add_co_u32_e32 v0, vcc, s4, v0
	v_addc_co_u32_e32 v1, vcc, 0, v1, vcc
	s_and_saveexec_b64 s[4:5], s[0:1]
	s_cbranch_execnz .LBB26_77
; %bb.53:
	s_or_b64 exec, exec, s[4:5]
	s_and_saveexec_b64 s[0:1], s[2:3]
	s_cbranch_execnz .LBB26_78
.LBB26_54:
	s_or_b64 exec, exec, s[0:1]
	s_and_saveexec_b64 s[0:1], s[6:7]
	s_cbranch_execnz .LBB26_79
.LBB26_55:
	s_or_b64 exec, exec, s[0:1]
	s_and_saveexec_b64 s[0:1], s[8:9]
	s_cbranch_execnz .LBB26_80
.LBB26_56:
	s_or_b64 exec, exec, s[0:1]
	s_and_saveexec_b64 s[0:1], s[10:11]
	s_cbranch_execnz .LBB26_81
.LBB26_57:
	s_or_b64 exec, exec, s[0:1]
	s_and_saveexec_b64 s[0:1], s[12:13]
	s_cbranch_execnz .LBB26_82
.LBB26_58:
	s_or_b64 exec, exec, s[0:1]
	s_and_saveexec_b64 s[0:1], s[14:15]
	s_cbranch_execnz .LBB26_83
.LBB26_59:
	s_or_b64 exec, exec, s[0:1]
	s_and_saveexec_b64 s[0:1], s[16:17]
	s_cbranch_execnz .LBB26_84
.LBB26_60:
	s_or_b64 exec, exec, s[0:1]
	s_and_saveexec_b64 s[0:1], s[18:19]
	s_cbranch_execnz .LBB26_85
.LBB26_61:
	s_or_b64 exec, exec, s[0:1]
	s_and_saveexec_b64 s[0:1], s[20:21]
	s_cbranch_execnz .LBB26_86
.LBB26_62:
	s_or_b64 exec, exec, s[0:1]
	s_and_saveexec_b64 s[0:1], s[22:23]
	s_cbranch_execnz .LBB26_87
.LBB26_63:
	s_or_b64 exec, exec, s[0:1]
	s_and_saveexec_b64 s[0:1], s[24:25]
	s_cbranch_execnz .LBB26_88
.LBB26_64:
	s_or_b64 exec, exec, s[0:1]
	s_and_saveexec_b64 s[0:1], s[26:27]
	s_cbranch_execnz .LBB26_89
.LBB26_65:
	s_or_b64 exec, exec, s[0:1]
	s_and_saveexec_b64 s[0:1], s[28:29]
	s_cbranch_execnz .LBB26_90
.LBB26_66:
	s_or_b64 exec, exec, s[0:1]
	s_and_saveexec_b64 s[0:1], s[30:31]
	s_cbranch_execnz .LBB26_91
.LBB26_67:
	s_or_b64 exec, exec, s[0:1]
	s_and_saveexec_b64 s[0:1], s[34:35]
	s_cbranch_execnz .LBB26_92
.LBB26_68:
	s_or_b64 exec, exec, s[0:1]
	s_and_saveexec_b64 s[0:1], s[36:37]
	s_cbranch_execnz .LBB26_93
.LBB26_69:
	s_or_b64 exec, exec, s[0:1]
	s_and_saveexec_b64 s[0:1], s[38:39]
	s_cbranch_execnz .LBB26_94
.LBB26_70:
	s_or_b64 exec, exec, s[0:1]
	s_and_saveexec_b64 s[0:1], s[40:41]
	s_cbranch_execnz .LBB26_95
.LBB26_71:
	s_or_b64 exec, exec, s[0:1]
	s_and_saveexec_b64 s[0:1], s[42:43]
	s_cbranch_execnz .LBB26_96
.LBB26_72:
	s_or_b64 exec, exec, s[0:1]
	s_and_saveexec_b64 s[0:1], s[44:45]
	s_cbranch_execnz .LBB26_97
.LBB26_73:
	s_or_b64 exec, exec, s[0:1]
	s_and_saveexec_b64 s[0:1], s[46:47]
	s_cbranch_execnz .LBB26_98
.LBB26_74:
	s_or_b64 exec, exec, s[0:1]
	s_and_saveexec_b64 s[0:1], s[48:49]
	s_cbranch_execnz .LBB26_99
.LBB26_75:
	s_or_b64 exec, exec, s[0:1]
	s_and_saveexec_b64 s[0:1], s[50:51]
	s_cbranch_execnz .LBB26_100
.LBB26_76:
	s_endpgm
.LBB26_77:
	ds_read_i16 v19, v19
	s_waitcnt lgkmcnt(0)
	v_cvt_f32_i32_e32 v19, v19
	global_store_dword v[0:1], v19, off
	s_or_b64 exec, exec, s[4:5]
	s_and_saveexec_b64 s[0:1], s[2:3]
	s_cbranch_execz .LBB26_54
.LBB26_78:
	v_cvt_f32_i32_sdwa v19, sext(v25) dst_sel:DWORD dst_unused:UNUSED_PAD src0_sel:WORD_0
	global_store_dword v[0:1], v19, off offset:1024
	s_or_b64 exec, exec, s[0:1]
	s_and_saveexec_b64 s[0:1], s[6:7]
	s_cbranch_execz .LBB26_55
.LBB26_79:
	v_cvt_f32_i32_sdwa v19, sext(v24) dst_sel:DWORD dst_unused:UNUSED_PAD src0_sel:WORD_0
	global_store_dword v[0:1], v19, off offset:2048
	s_or_b64 exec, exec, s[0:1]
	s_and_saveexec_b64 s[0:1], s[8:9]
	s_cbranch_execz .LBB26_56
.LBB26_80:
	v_cvt_f32_i32_sdwa v19, sext(v23) dst_sel:DWORD dst_unused:UNUSED_PAD src0_sel:WORD_0
	global_store_dword v[0:1], v19, off offset:3072
	s_or_b64 exec, exec, s[0:1]
	s_and_saveexec_b64 s[0:1], s[10:11]
	s_cbranch_execz .LBB26_57
.LBB26_81:
	v_cvt_f32_i32_sdwa v19, sext(v22) dst_sel:DWORD dst_unused:UNUSED_PAD src0_sel:WORD_0
	v_add_co_u32_e32 v22, vcc, 0x1000, v0
	v_addc_co_u32_e32 v23, vcc, 0, v1, vcc
	global_store_dword v[22:23], v19, off
	s_or_b64 exec, exec, s[0:1]
	s_and_saveexec_b64 s[0:1], s[12:13]
	s_cbranch_execz .LBB26_58
.LBB26_82:
	v_cvt_f32_i32_sdwa v19, sext(v21) dst_sel:DWORD dst_unused:UNUSED_PAD src0_sel:WORD_0
	v_add_co_u32_e32 v21, vcc, 0x1000, v0
	v_addc_co_u32_e32 v22, vcc, 0, v1, vcc
	global_store_dword v[21:22], v19, off offset:1024
	s_or_b64 exec, exec, s[0:1]
	s_and_saveexec_b64 s[0:1], s[14:15]
	s_cbranch_execz .LBB26_59
.LBB26_83:
	v_cvt_f32_i32_sdwa v21, sext(v20) dst_sel:DWORD dst_unused:UNUSED_PAD src0_sel:WORD_0
	v_add_co_u32_e32 v19, vcc, 0x1000, v0
	v_addc_co_u32_e32 v20, vcc, 0, v1, vcc
	global_store_dword v[19:20], v21, off offset:2048
	s_or_b64 exec, exec, s[0:1]
	s_and_saveexec_b64 s[0:1], s[16:17]
	s_cbranch_execz .LBB26_60
.LBB26_84:
	v_cvt_f32_i32_sdwa v20, sext(v18) dst_sel:DWORD dst_unused:UNUSED_PAD src0_sel:WORD_0
	v_add_co_u32_e32 v18, vcc, 0x1000, v0
	v_addc_co_u32_e32 v19, vcc, 0, v1, vcc
	global_store_dword v[18:19], v20, off offset:3072
	s_or_b64 exec, exec, s[0:1]
	s_and_saveexec_b64 s[0:1], s[18:19]
	s_cbranch_execz .LBB26_61
.LBB26_85:
	v_cvt_f32_i32_sdwa v19, sext(v17) dst_sel:DWORD dst_unused:UNUSED_PAD src0_sel:WORD_0
	v_add_co_u32_e32 v17, vcc, 0x2000, v0
	v_addc_co_u32_e32 v18, vcc, 0, v1, vcc
	global_store_dword v[17:18], v19, off
	s_or_b64 exec, exec, s[0:1]
	s_and_saveexec_b64 s[0:1], s[20:21]
	s_cbranch_execz .LBB26_62
.LBB26_86:
	v_cvt_f32_i32_sdwa v18, sext(v16) dst_sel:DWORD dst_unused:UNUSED_PAD src0_sel:WORD_0
	v_add_co_u32_e32 v16, vcc, 0x2000, v0
	v_addc_co_u32_e32 v17, vcc, 0, v1, vcc
	global_store_dword v[16:17], v18, off offset:1024
	s_or_b64 exec, exec, s[0:1]
	s_and_saveexec_b64 s[0:1], s[22:23]
	s_cbranch_execz .LBB26_63
.LBB26_87:
	v_cvt_f32_i32_sdwa v17, sext(v15) dst_sel:DWORD dst_unused:UNUSED_PAD src0_sel:WORD_0
	v_add_co_u32_e32 v15, vcc, 0x2000, v0
	v_addc_co_u32_e32 v16, vcc, 0, v1, vcc
	global_store_dword v[15:16], v17, off offset:2048
	s_or_b64 exec, exec, s[0:1]
	s_and_saveexec_b64 s[0:1], s[24:25]
	s_cbranch_execz .LBB26_64
.LBB26_88:
	v_cvt_f32_i32_sdwa v16, sext(v14) dst_sel:DWORD dst_unused:UNUSED_PAD src0_sel:WORD_0
	v_add_co_u32_e32 v14, vcc, 0x2000, v0
	v_addc_co_u32_e32 v15, vcc, 0, v1, vcc
	global_store_dword v[14:15], v16, off offset:3072
	s_or_b64 exec, exec, s[0:1]
	s_and_saveexec_b64 s[0:1], s[26:27]
	s_cbranch_execz .LBB26_65
.LBB26_89:
	v_cvt_f32_i32_sdwa v15, sext(v13) dst_sel:DWORD dst_unused:UNUSED_PAD src0_sel:WORD_0
	v_add_co_u32_e32 v13, vcc, 0x3000, v0
	v_addc_co_u32_e32 v14, vcc, 0, v1, vcc
	global_store_dword v[13:14], v15, off
	s_or_b64 exec, exec, s[0:1]
	s_and_saveexec_b64 s[0:1], s[28:29]
	s_cbranch_execz .LBB26_66
.LBB26_90:
	v_cvt_f32_i32_sdwa v14, sext(v12) dst_sel:DWORD dst_unused:UNUSED_PAD src0_sel:WORD_0
	v_add_co_u32_e32 v12, vcc, 0x3000, v0
	v_addc_co_u32_e32 v13, vcc, 0, v1, vcc
	global_store_dword v[12:13], v14, off offset:1024
	s_or_b64 exec, exec, s[0:1]
	s_and_saveexec_b64 s[0:1], s[30:31]
	s_cbranch_execz .LBB26_67
.LBB26_91:
	v_cvt_f32_i32_sdwa v13, sext(v11) dst_sel:DWORD dst_unused:UNUSED_PAD src0_sel:WORD_0
	v_add_co_u32_e32 v11, vcc, 0x3000, v0
	v_addc_co_u32_e32 v12, vcc, 0, v1, vcc
	global_store_dword v[11:12], v13, off offset:2048
	s_or_b64 exec, exec, s[0:1]
	s_and_saveexec_b64 s[0:1], s[34:35]
	s_cbranch_execz .LBB26_68
.LBB26_92:
	v_cvt_f32_i32_sdwa v12, sext(v10) dst_sel:DWORD dst_unused:UNUSED_PAD src0_sel:WORD_0
	v_add_co_u32_e32 v10, vcc, 0x3000, v0
	v_addc_co_u32_e32 v11, vcc, 0, v1, vcc
	global_store_dword v[10:11], v12, off offset:3072
	s_or_b64 exec, exec, s[0:1]
	s_and_saveexec_b64 s[0:1], s[36:37]
	s_cbranch_execz .LBB26_69
.LBB26_93:
	v_cvt_f32_i32_sdwa v11, sext(v9) dst_sel:DWORD dst_unused:UNUSED_PAD src0_sel:WORD_0
	v_add_co_u32_e32 v9, vcc, 0x4000, v0
	v_addc_co_u32_e32 v10, vcc, 0, v1, vcc
	global_store_dword v[9:10], v11, off
	s_or_b64 exec, exec, s[0:1]
	s_and_saveexec_b64 s[0:1], s[38:39]
	s_cbranch_execz .LBB26_70
.LBB26_94:
	v_cvt_f32_i32_sdwa v10, sext(v8) dst_sel:DWORD dst_unused:UNUSED_PAD src0_sel:WORD_0
	v_add_co_u32_e32 v8, vcc, 0x4000, v0
	v_addc_co_u32_e32 v9, vcc, 0, v1, vcc
	global_store_dword v[8:9], v10, off offset:1024
	s_or_b64 exec, exec, s[0:1]
	s_and_saveexec_b64 s[0:1], s[40:41]
	s_cbranch_execz .LBB26_71
.LBB26_95:
	v_cvt_f32_i32_sdwa v9, sext(v7) dst_sel:DWORD dst_unused:UNUSED_PAD src0_sel:WORD_0
	v_add_co_u32_e32 v7, vcc, 0x4000, v0
	v_addc_co_u32_e32 v8, vcc, 0, v1, vcc
	global_store_dword v[7:8], v9, off offset:2048
	s_or_b64 exec, exec, s[0:1]
	s_and_saveexec_b64 s[0:1], s[42:43]
	s_cbranch_execz .LBB26_72
.LBB26_96:
	v_cvt_f32_i32_sdwa v8, sext(v6) dst_sel:DWORD dst_unused:UNUSED_PAD src0_sel:WORD_0
	v_add_co_u32_e32 v6, vcc, 0x4000, v0
	v_addc_co_u32_e32 v7, vcc, 0, v1, vcc
	global_store_dword v[6:7], v8, off offset:3072
	s_or_b64 exec, exec, s[0:1]
	s_and_saveexec_b64 s[0:1], s[44:45]
	s_cbranch_execz .LBB26_73
.LBB26_97:
	v_cvt_f32_i32_sdwa v7, sext(v5) dst_sel:DWORD dst_unused:UNUSED_PAD src0_sel:WORD_0
	v_add_co_u32_e32 v5, vcc, 0x5000, v0
	v_addc_co_u32_e32 v6, vcc, 0, v1, vcc
	global_store_dword v[5:6], v7, off
	s_or_b64 exec, exec, s[0:1]
	s_and_saveexec_b64 s[0:1], s[46:47]
	s_cbranch_execz .LBB26_74
.LBB26_98:
	v_cvt_f32_i32_sdwa v6, sext(v4) dst_sel:DWORD dst_unused:UNUSED_PAD src0_sel:WORD_0
	v_add_co_u32_e32 v4, vcc, 0x5000, v0
	v_addc_co_u32_e32 v5, vcc, 0, v1, vcc
	global_store_dword v[4:5], v6, off offset:1024
	s_or_b64 exec, exec, s[0:1]
	s_and_saveexec_b64 s[0:1], s[48:49]
	s_cbranch_execz .LBB26_75
.LBB26_99:
	v_cvt_f32_i32_sdwa v5, sext(v3) dst_sel:DWORD dst_unused:UNUSED_PAD src0_sel:WORD_0
	v_add_co_u32_e32 v3, vcc, 0x5000, v0
	v_addc_co_u32_e32 v4, vcc, 0, v1, vcc
	global_store_dword v[3:4], v5, off offset:2048
	s_or_b64 exec, exec, s[0:1]
	s_and_saveexec_b64 s[0:1], s[50:51]
	s_cbranch_execz .LBB26_76
.LBB26_100:
	v_cvt_f32_i32_sdwa v2, sext(v2) dst_sel:DWORD dst_unused:UNUSED_PAD src0_sel:WORD_0
	v_add_co_u32_e32 v0, vcc, 0x5000, v0
	v_addc_co_u32_e32 v1, vcc, 0, v1, vcc
	global_store_dword v[0:1], v2, off offset:3072
	s_endpgm
	.section	.rodata,"a",@progbits
	.p2align	6, 0x0
	.amdhsa_kernel _ZN7rocprim6detail18single_scan_kernelILb0ENS0_19wrapped_scan_configINS_14default_configEsEEN6hipcub22TransformInputIteratorIsNS5_6CastOpIsEEPslEEPfNS5_3MaxEssEEvT1_mT4_T2_T3_
		.amdhsa_group_segment_fixed_size 12288
		.amdhsa_private_segment_fixed_size 0
		.amdhsa_kernarg_size 44
		.amdhsa_user_sgpr_count 6
		.amdhsa_user_sgpr_private_segment_buffer 1
		.amdhsa_user_sgpr_dispatch_ptr 0
		.amdhsa_user_sgpr_queue_ptr 0
		.amdhsa_user_sgpr_kernarg_segment_ptr 1
		.amdhsa_user_sgpr_dispatch_id 0
		.amdhsa_user_sgpr_flat_scratch_init 0
		.amdhsa_user_sgpr_private_segment_size 0
		.amdhsa_uses_dynamic_stack 0
		.amdhsa_system_sgpr_private_segment_wavefront_offset 0
		.amdhsa_system_sgpr_workgroup_id_x 1
		.amdhsa_system_sgpr_workgroup_id_y 0
		.amdhsa_system_sgpr_workgroup_id_z 0
		.amdhsa_system_sgpr_workgroup_info 0
		.amdhsa_system_vgpr_workitem_id 0
		.amdhsa_next_free_vgpr 45
		.amdhsa_next_free_sgpr 98
		.amdhsa_reserve_vcc 1
		.amdhsa_reserve_flat_scratch 0
		.amdhsa_float_round_mode_32 0
		.amdhsa_float_round_mode_16_64 0
		.amdhsa_float_denorm_mode_32 3
		.amdhsa_float_denorm_mode_16_64 3
		.amdhsa_dx10_clamp 1
		.amdhsa_ieee_mode 1
		.amdhsa_fp16_overflow 0
		.amdhsa_exception_fp_ieee_invalid_op 0
		.amdhsa_exception_fp_denorm_src 0
		.amdhsa_exception_fp_ieee_div_zero 0
		.amdhsa_exception_fp_ieee_overflow 0
		.amdhsa_exception_fp_ieee_underflow 0
		.amdhsa_exception_fp_ieee_inexact 0
		.amdhsa_exception_int_div_zero 0
	.end_amdhsa_kernel
	.section	.text._ZN7rocprim6detail18single_scan_kernelILb0ENS0_19wrapped_scan_configINS_14default_configEsEEN6hipcub22TransformInputIteratorIsNS5_6CastOpIsEEPslEEPfNS5_3MaxEssEEvT1_mT4_T2_T3_,"axG",@progbits,_ZN7rocprim6detail18single_scan_kernelILb0ENS0_19wrapped_scan_configINS_14default_configEsEEN6hipcub22TransformInputIteratorIsNS5_6CastOpIsEEPslEEPfNS5_3MaxEssEEvT1_mT4_T2_T3_,comdat
.Lfunc_end26:
	.size	_ZN7rocprim6detail18single_scan_kernelILb0ENS0_19wrapped_scan_configINS_14default_configEsEEN6hipcub22TransformInputIteratorIsNS5_6CastOpIsEEPslEEPfNS5_3MaxEssEEvT1_mT4_T2_T3_, .Lfunc_end26-_ZN7rocprim6detail18single_scan_kernelILb0ENS0_19wrapped_scan_configINS_14default_configEsEEN6hipcub22TransformInputIteratorIsNS5_6CastOpIsEEPslEEPfNS5_3MaxEssEEvT1_mT4_T2_T3_
                                        ; -- End function
	.set _ZN7rocprim6detail18single_scan_kernelILb0ENS0_19wrapped_scan_configINS_14default_configEsEEN6hipcub22TransformInputIteratorIsNS5_6CastOpIsEEPslEEPfNS5_3MaxEssEEvT1_mT4_T2_T3_.num_vgpr, 45
	.set _ZN7rocprim6detail18single_scan_kernelILb0ENS0_19wrapped_scan_configINS_14default_configEsEEN6hipcub22TransformInputIteratorIsNS5_6CastOpIsEEPslEEPfNS5_3MaxEssEEvT1_mT4_T2_T3_.num_agpr, 0
	.set _ZN7rocprim6detail18single_scan_kernelILb0ENS0_19wrapped_scan_configINS_14default_configEsEEN6hipcub22TransformInputIteratorIsNS5_6CastOpIsEEPslEEPfNS5_3MaxEssEEvT1_mT4_T2_T3_.numbered_sgpr, 54
	.set _ZN7rocprim6detail18single_scan_kernelILb0ENS0_19wrapped_scan_configINS_14default_configEsEEN6hipcub22TransformInputIteratorIsNS5_6CastOpIsEEPslEEPfNS5_3MaxEssEEvT1_mT4_T2_T3_.num_named_barrier, 0
	.set _ZN7rocprim6detail18single_scan_kernelILb0ENS0_19wrapped_scan_configINS_14default_configEsEEN6hipcub22TransformInputIteratorIsNS5_6CastOpIsEEPslEEPfNS5_3MaxEssEEvT1_mT4_T2_T3_.private_seg_size, 0
	.set _ZN7rocprim6detail18single_scan_kernelILb0ENS0_19wrapped_scan_configINS_14default_configEsEEN6hipcub22TransformInputIteratorIsNS5_6CastOpIsEEPslEEPfNS5_3MaxEssEEvT1_mT4_T2_T3_.uses_vcc, 1
	.set _ZN7rocprim6detail18single_scan_kernelILb0ENS0_19wrapped_scan_configINS_14default_configEsEEN6hipcub22TransformInputIteratorIsNS5_6CastOpIsEEPslEEPfNS5_3MaxEssEEvT1_mT4_T2_T3_.uses_flat_scratch, 0
	.set _ZN7rocprim6detail18single_scan_kernelILb0ENS0_19wrapped_scan_configINS_14default_configEsEEN6hipcub22TransformInputIteratorIsNS5_6CastOpIsEEPslEEPfNS5_3MaxEssEEvT1_mT4_T2_T3_.has_dyn_sized_stack, 0
	.set _ZN7rocprim6detail18single_scan_kernelILb0ENS0_19wrapped_scan_configINS_14default_configEsEEN6hipcub22TransformInputIteratorIsNS5_6CastOpIsEEPslEEPfNS5_3MaxEssEEvT1_mT4_T2_T3_.has_recursion, 0
	.set _ZN7rocprim6detail18single_scan_kernelILb0ENS0_19wrapped_scan_configINS_14default_configEsEEN6hipcub22TransformInputIteratorIsNS5_6CastOpIsEEPslEEPfNS5_3MaxEssEEvT1_mT4_T2_T3_.has_indirect_call, 0
	.section	.AMDGPU.csdata,"",@progbits
; Kernel info:
; codeLenInByte = 4304
; TotalNumSgprs: 58
; NumVgprs: 45
; ScratchSize: 0
; MemoryBound: 0
; FloatMode: 240
; IeeeMode: 1
; LDSByteSize: 12288 bytes/workgroup (compile time only)
; SGPRBlocks: 12
; VGPRBlocks: 11
; NumSGPRsForWavesPerEU: 102
; NumVGPRsForWavesPerEU: 45
; Occupancy: 5
; WaveLimiterHint : 0
; COMPUTE_PGM_RSRC2:SCRATCH_EN: 0
; COMPUTE_PGM_RSRC2:USER_SGPR: 6
; COMPUTE_PGM_RSRC2:TRAP_HANDLER: 0
; COMPUTE_PGM_RSRC2:TGID_X_EN: 1
; COMPUTE_PGM_RSRC2:TGID_Y_EN: 0
; COMPUTE_PGM_RSRC2:TGID_Z_EN: 0
; COMPUTE_PGM_RSRC2:TIDIG_COMP_CNT: 0
	.section	.text._ZN7rocprim6detail31init_lookback_scan_state_kernelINS0_19lookback_scan_stateImLb1ELb1EEEEEvT_jjPNS4_10value_typeE,"axG",@progbits,_ZN7rocprim6detail31init_lookback_scan_state_kernelINS0_19lookback_scan_stateImLb1ELb1EEEEEvT_jjPNS4_10value_typeE,comdat
	.protected	_ZN7rocprim6detail31init_lookback_scan_state_kernelINS0_19lookback_scan_stateImLb1ELb1EEEEEvT_jjPNS4_10value_typeE ; -- Begin function _ZN7rocprim6detail31init_lookback_scan_state_kernelINS0_19lookback_scan_stateImLb1ELb1EEEEEvT_jjPNS4_10value_typeE
	.globl	_ZN7rocprim6detail31init_lookback_scan_state_kernelINS0_19lookback_scan_stateImLb1ELb1EEEEEvT_jjPNS4_10value_typeE
	.p2align	8
	.type	_ZN7rocprim6detail31init_lookback_scan_state_kernelINS0_19lookback_scan_stateImLb1ELb1EEEEEvT_jjPNS4_10value_typeE,@function
_ZN7rocprim6detail31init_lookback_scan_state_kernelINS0_19lookback_scan_stateImLb1ELb1EEEEEvT_jjPNS4_10value_typeE: ; @_ZN7rocprim6detail31init_lookback_scan_state_kernelINS0_19lookback_scan_stateImLb1ELb1EEEEEvT_jjPNS4_10value_typeE
; %bb.0:
	s_load_dword s7, s[4:5], 0x24
	s_load_dwordx2 s[8:9], s[4:5], 0x10
	s_load_dwordx4 s[0:3], s[4:5], 0x0
	s_waitcnt lgkmcnt(0)
	s_and_b32 s4, s7, 0xffff
	s_mul_i32 s6, s6, s4
	s_cmp_eq_u64 s[8:9], 0
	v_add_u32_e32 v0, s6, v0
	s_cbranch_scc1 .LBB27_10
; %bb.1:
	s_cmp_lt_u32 s3, s2
	s_cselect_b32 s4, s3, 0
	s_mov_b32 s7, 0
	v_cmp_eq_u32_e32 vcc, s4, v0
	s_and_saveexec_b64 s[4:5], vcc
	s_cbranch_execz .LBB27_9
; %bb.2:
	s_add_i32 s6, s3, 64
	s_lshl_b64 s[6:7], s[6:7], 4
	s_add_u32 s12, s0, s6
	s_addc_u32 s13, s1, s7
	v_mov_b32_e32 v1, s12
	v_mov_b32_e32 v2, s13
	;;#ASMSTART
	global_load_dwordx4 v[1:4], v[1:2] off glc	
s_waitcnt vmcnt(0)
	;;#ASMEND
	v_and_b32_e32 v4, 0xff, v3
	v_mov_b32_e32 v5, 0
	v_cmp_eq_u64_e32 vcc, 0, v[4:5]
	s_mov_b64 s[10:11], 0
	s_and_saveexec_b64 s[6:7], vcc
	s_cbranch_execz .LBB27_8
; %bb.3:
	v_mov_b32_e32 v6, s12
	s_mov_b32 s3, 1
	v_mov_b32_e32 v7, s13
.LBB27_4:                               ; =>This Loop Header: Depth=1
                                        ;     Child Loop BB27_5 Depth 2
	s_mov_b32 s12, s3
.LBB27_5:                               ;   Parent Loop BB27_4 Depth=1
                                        ; =>  This Inner Loop Header: Depth=2
	s_add_i32 s12, s12, -1
	s_cmp_eq_u32 s12, 0
	s_sleep 1
	s_cbranch_scc0 .LBB27_5
; %bb.6:                                ;   in Loop: Header=BB27_4 Depth=1
	s_cmp_lt_u32 s3, 32
	;;#ASMSTART
	global_load_dwordx4 v[1:4], v[6:7] off glc	
s_waitcnt vmcnt(0)
	;;#ASMEND
	s_cselect_b64 s[12:13], -1, 0
	v_and_b32_e32 v4, 0xff, v3
	s_cmp_lg_u64 s[12:13], 0
	v_cmp_ne_u64_e32 vcc, 0, v[4:5]
	s_addc_u32 s3, s3, 0
	s_or_b64 s[10:11], vcc, s[10:11]
	s_andn2_b64 exec, exec, s[10:11]
	s_cbranch_execnz .LBB27_4
; %bb.7:
	s_or_b64 exec, exec, s[10:11]
.LBB27_8:
	s_or_b64 exec, exec, s[6:7]
	v_mov_b32_e32 v3, 0
	global_store_dwordx2 v3, v[1:2], s[8:9]
.LBB27_9:
	s_or_b64 exec, exec, s[4:5]
.LBB27_10:
	v_cmp_gt_u32_e32 vcc, s2, v0
	s_and_saveexec_b64 s[2:3], vcc
	s_cbranch_execnz .LBB27_13
; %bb.11:
	s_or_b64 exec, exec, s[2:3]
	v_cmp_gt_u32_e32 vcc, 64, v0
	s_and_saveexec_b64 s[2:3], vcc
	s_cbranch_execnz .LBB27_14
.LBB27_12:
	s_endpgm
.LBB27_13:
	v_add_u32_e32 v1, 64, v0
	v_mov_b32_e32 v2, 0
	v_lshlrev_b64 v[3:4], 4, v[1:2]
	v_mov_b32_e32 v1, s1
	v_add_co_u32_e32 v5, vcc, s0, v3
	v_addc_co_u32_e32 v6, vcc, v1, v4, vcc
	v_mov_b32_e32 v1, v2
	v_mov_b32_e32 v3, v2
	;; [unrolled: 1-line block ×3, first 2 shown]
	global_store_dwordx4 v[5:6], v[1:4], off
	s_or_b64 exec, exec, s[2:3]
	v_cmp_gt_u32_e32 vcc, 64, v0
	s_and_saveexec_b64 s[2:3], vcc
	s_cbranch_execz .LBB27_12
.LBB27_14:
	v_mov_b32_e32 v1, 0
	v_lshlrev_b64 v[2:3], 4, v[0:1]
	v_mov_b32_e32 v0, s1
	v_add_co_u32_e32 v4, vcc, s0, v2
	v_addc_co_u32_e32 v5, vcc, v0, v3, vcc
	v_mov_b32_e32 v2, 0xff
	v_mov_b32_e32 v0, v1
	;; [unrolled: 1-line block ×3, first 2 shown]
	global_store_dwordx4 v[4:5], v[0:3], off
	s_endpgm
	.section	.rodata,"a",@progbits
	.p2align	6, 0x0
	.amdhsa_kernel _ZN7rocprim6detail31init_lookback_scan_state_kernelINS0_19lookback_scan_stateImLb1ELb1EEEEEvT_jjPNS4_10value_typeE
		.amdhsa_group_segment_fixed_size 0
		.amdhsa_private_segment_fixed_size 0
		.amdhsa_kernarg_size 280
		.amdhsa_user_sgpr_count 6
		.amdhsa_user_sgpr_private_segment_buffer 1
		.amdhsa_user_sgpr_dispatch_ptr 0
		.amdhsa_user_sgpr_queue_ptr 0
		.amdhsa_user_sgpr_kernarg_segment_ptr 1
		.amdhsa_user_sgpr_dispatch_id 0
		.amdhsa_user_sgpr_flat_scratch_init 0
		.amdhsa_user_sgpr_private_segment_size 0
		.amdhsa_uses_dynamic_stack 0
		.amdhsa_system_sgpr_private_segment_wavefront_offset 0
		.amdhsa_system_sgpr_workgroup_id_x 1
		.amdhsa_system_sgpr_workgroup_id_y 0
		.amdhsa_system_sgpr_workgroup_id_z 0
		.amdhsa_system_sgpr_workgroup_info 0
		.amdhsa_system_vgpr_workitem_id 0
		.amdhsa_next_free_vgpr 8
		.amdhsa_next_free_sgpr 14
		.amdhsa_reserve_vcc 1
		.amdhsa_reserve_flat_scratch 0
		.amdhsa_float_round_mode_32 0
		.amdhsa_float_round_mode_16_64 0
		.amdhsa_float_denorm_mode_32 3
		.amdhsa_float_denorm_mode_16_64 3
		.amdhsa_dx10_clamp 1
		.amdhsa_ieee_mode 1
		.amdhsa_fp16_overflow 0
		.amdhsa_exception_fp_ieee_invalid_op 0
		.amdhsa_exception_fp_denorm_src 0
		.amdhsa_exception_fp_ieee_div_zero 0
		.amdhsa_exception_fp_ieee_overflow 0
		.amdhsa_exception_fp_ieee_underflow 0
		.amdhsa_exception_fp_ieee_inexact 0
		.amdhsa_exception_int_div_zero 0
	.end_amdhsa_kernel
	.section	.text._ZN7rocprim6detail31init_lookback_scan_state_kernelINS0_19lookback_scan_stateImLb1ELb1EEEEEvT_jjPNS4_10value_typeE,"axG",@progbits,_ZN7rocprim6detail31init_lookback_scan_state_kernelINS0_19lookback_scan_stateImLb1ELb1EEEEEvT_jjPNS4_10value_typeE,comdat
.Lfunc_end27:
	.size	_ZN7rocprim6detail31init_lookback_scan_state_kernelINS0_19lookback_scan_stateImLb1ELb1EEEEEvT_jjPNS4_10value_typeE, .Lfunc_end27-_ZN7rocprim6detail31init_lookback_scan_state_kernelINS0_19lookback_scan_stateImLb1ELb1EEEEEvT_jjPNS4_10value_typeE
                                        ; -- End function
	.set _ZN7rocprim6detail31init_lookback_scan_state_kernelINS0_19lookback_scan_stateImLb1ELb1EEEEEvT_jjPNS4_10value_typeE.num_vgpr, 8
	.set _ZN7rocprim6detail31init_lookback_scan_state_kernelINS0_19lookback_scan_stateImLb1ELb1EEEEEvT_jjPNS4_10value_typeE.num_agpr, 0
	.set _ZN7rocprim6detail31init_lookback_scan_state_kernelINS0_19lookback_scan_stateImLb1ELb1EEEEEvT_jjPNS4_10value_typeE.numbered_sgpr, 14
	.set _ZN7rocprim6detail31init_lookback_scan_state_kernelINS0_19lookback_scan_stateImLb1ELb1EEEEEvT_jjPNS4_10value_typeE.num_named_barrier, 0
	.set _ZN7rocprim6detail31init_lookback_scan_state_kernelINS0_19lookback_scan_stateImLb1ELb1EEEEEvT_jjPNS4_10value_typeE.private_seg_size, 0
	.set _ZN7rocprim6detail31init_lookback_scan_state_kernelINS0_19lookback_scan_stateImLb1ELb1EEEEEvT_jjPNS4_10value_typeE.uses_vcc, 1
	.set _ZN7rocprim6detail31init_lookback_scan_state_kernelINS0_19lookback_scan_stateImLb1ELb1EEEEEvT_jjPNS4_10value_typeE.uses_flat_scratch, 0
	.set _ZN7rocprim6detail31init_lookback_scan_state_kernelINS0_19lookback_scan_stateImLb1ELb1EEEEEvT_jjPNS4_10value_typeE.has_dyn_sized_stack, 0
	.set _ZN7rocprim6detail31init_lookback_scan_state_kernelINS0_19lookback_scan_stateImLb1ELb1EEEEEvT_jjPNS4_10value_typeE.has_recursion, 0
	.set _ZN7rocprim6detail31init_lookback_scan_state_kernelINS0_19lookback_scan_stateImLb1ELb1EEEEEvT_jjPNS4_10value_typeE.has_indirect_call, 0
	.section	.AMDGPU.csdata,"",@progbits
; Kernel info:
; codeLenInByte = 404
; TotalNumSgprs: 18
; NumVgprs: 8
; ScratchSize: 0
; MemoryBound: 0
; FloatMode: 240
; IeeeMode: 1
; LDSByteSize: 0 bytes/workgroup (compile time only)
; SGPRBlocks: 2
; VGPRBlocks: 1
; NumSGPRsForWavesPerEU: 18
; NumVGPRsForWavesPerEU: 8
; Occupancy: 10
; WaveLimiterHint : 0
; COMPUTE_PGM_RSRC2:SCRATCH_EN: 0
; COMPUTE_PGM_RSRC2:USER_SGPR: 6
; COMPUTE_PGM_RSRC2:TRAP_HANDLER: 0
; COMPUTE_PGM_RSRC2:TGID_X_EN: 1
; COMPUTE_PGM_RSRC2:TGID_Y_EN: 0
; COMPUTE_PGM_RSRC2:TGID_Z_EN: 0
; COMPUTE_PGM_RSRC2:TIDIG_COMP_CNT: 0
	.section	.text._ZN7rocprim6detail31init_lookback_scan_state_kernelINS0_19lookback_scan_stateImLb0ELb1EEEEEvT_jjPNS4_10value_typeE,"axG",@progbits,_ZN7rocprim6detail31init_lookback_scan_state_kernelINS0_19lookback_scan_stateImLb0ELb1EEEEEvT_jjPNS4_10value_typeE,comdat
	.protected	_ZN7rocprim6detail31init_lookback_scan_state_kernelINS0_19lookback_scan_stateImLb0ELb1EEEEEvT_jjPNS4_10value_typeE ; -- Begin function _ZN7rocprim6detail31init_lookback_scan_state_kernelINS0_19lookback_scan_stateImLb0ELb1EEEEEvT_jjPNS4_10value_typeE
	.globl	_ZN7rocprim6detail31init_lookback_scan_state_kernelINS0_19lookback_scan_stateImLb0ELb1EEEEEvT_jjPNS4_10value_typeE
	.p2align	8
	.type	_ZN7rocprim6detail31init_lookback_scan_state_kernelINS0_19lookback_scan_stateImLb0ELb1EEEEEvT_jjPNS4_10value_typeE,@function
_ZN7rocprim6detail31init_lookback_scan_state_kernelINS0_19lookback_scan_stateImLb0ELb1EEEEEvT_jjPNS4_10value_typeE: ; @_ZN7rocprim6detail31init_lookback_scan_state_kernelINS0_19lookback_scan_stateImLb0ELb1EEEEEvT_jjPNS4_10value_typeE
; %bb.0:
	s_load_dword s7, s[4:5], 0x24
	s_load_dwordx2 s[8:9], s[4:5], 0x10
	s_load_dwordx4 s[0:3], s[4:5], 0x0
	s_waitcnt lgkmcnt(0)
	s_and_b32 s4, s7, 0xffff
	s_mul_i32 s6, s6, s4
	s_cmp_eq_u64 s[8:9], 0
	v_add_u32_e32 v0, s6, v0
	s_cbranch_scc1 .LBB28_8
; %bb.1:
	s_cmp_lt_u32 s3, s2
	s_cselect_b32 s4, s3, 0
	s_mov_b32 s7, 0
	v_cmp_eq_u32_e32 vcc, s4, v0
	s_and_saveexec_b64 s[4:5], vcc
	s_cbranch_execz .LBB28_7
; %bb.2:
	s_add_i32 s6, s3, 64
	s_lshl_b64 s[6:7], s[6:7], 4
	s_add_u32 s12, s0, s6
	s_addc_u32 s13, s1, s7
	v_mov_b32_e32 v1, s12
	v_mov_b32_e32 v2, s13
	;;#ASMSTART
	global_load_dwordx4 v[1:4], v[1:2] off glc	
s_waitcnt vmcnt(0)
	;;#ASMEND
	v_and_b32_e32 v4, 0xff, v3
	v_mov_b32_e32 v5, 0
	v_cmp_eq_u64_e32 vcc, 0, v[4:5]
	s_mov_b64 s[10:11], 0
	s_and_saveexec_b64 s[6:7], vcc
	s_cbranch_execz .LBB28_6
; %bb.3:
	v_mov_b32_e32 v6, s12
	v_mov_b32_e32 v7, s13
.LBB28_4:                               ; =>This Inner Loop Header: Depth=1
	;;#ASMSTART
	global_load_dwordx4 v[1:4], v[6:7] off glc	
s_waitcnt vmcnt(0)
	;;#ASMEND
	v_and_b32_e32 v4, 0xff, v3
	v_cmp_ne_u64_e32 vcc, 0, v[4:5]
	s_or_b64 s[10:11], vcc, s[10:11]
	s_andn2_b64 exec, exec, s[10:11]
	s_cbranch_execnz .LBB28_4
; %bb.5:
	s_or_b64 exec, exec, s[10:11]
.LBB28_6:
	s_or_b64 exec, exec, s[6:7]
	v_mov_b32_e32 v3, 0
	global_store_dwordx2 v3, v[1:2], s[8:9]
.LBB28_7:
	s_or_b64 exec, exec, s[4:5]
.LBB28_8:
	v_cmp_gt_u32_e32 vcc, s2, v0
	s_and_saveexec_b64 s[2:3], vcc
	s_cbranch_execnz .LBB28_11
; %bb.9:
	s_or_b64 exec, exec, s[2:3]
	v_cmp_gt_u32_e32 vcc, 64, v0
	s_and_saveexec_b64 s[2:3], vcc
	s_cbranch_execnz .LBB28_12
.LBB28_10:
	s_endpgm
.LBB28_11:
	v_add_u32_e32 v1, 64, v0
	v_mov_b32_e32 v2, 0
	v_lshlrev_b64 v[3:4], 4, v[1:2]
	v_mov_b32_e32 v1, s1
	v_add_co_u32_e32 v5, vcc, s0, v3
	v_addc_co_u32_e32 v6, vcc, v1, v4, vcc
	v_mov_b32_e32 v1, v2
	v_mov_b32_e32 v3, v2
	;; [unrolled: 1-line block ×3, first 2 shown]
	global_store_dwordx4 v[5:6], v[1:4], off
	s_or_b64 exec, exec, s[2:3]
	v_cmp_gt_u32_e32 vcc, 64, v0
	s_and_saveexec_b64 s[2:3], vcc
	s_cbranch_execz .LBB28_10
.LBB28_12:
	v_mov_b32_e32 v1, 0
	v_lshlrev_b64 v[2:3], 4, v[0:1]
	v_mov_b32_e32 v0, s1
	v_add_co_u32_e32 v4, vcc, s0, v2
	v_addc_co_u32_e32 v5, vcc, v0, v3, vcc
	v_mov_b32_e32 v2, 0xff
	v_mov_b32_e32 v0, v1
	;; [unrolled: 1-line block ×3, first 2 shown]
	global_store_dwordx4 v[4:5], v[0:3], off
	s_endpgm
	.section	.rodata,"a",@progbits
	.p2align	6, 0x0
	.amdhsa_kernel _ZN7rocprim6detail31init_lookback_scan_state_kernelINS0_19lookback_scan_stateImLb0ELb1EEEEEvT_jjPNS4_10value_typeE
		.amdhsa_group_segment_fixed_size 0
		.amdhsa_private_segment_fixed_size 0
		.amdhsa_kernarg_size 280
		.amdhsa_user_sgpr_count 6
		.amdhsa_user_sgpr_private_segment_buffer 1
		.amdhsa_user_sgpr_dispatch_ptr 0
		.amdhsa_user_sgpr_queue_ptr 0
		.amdhsa_user_sgpr_kernarg_segment_ptr 1
		.amdhsa_user_sgpr_dispatch_id 0
		.amdhsa_user_sgpr_flat_scratch_init 0
		.amdhsa_user_sgpr_private_segment_size 0
		.amdhsa_uses_dynamic_stack 0
		.amdhsa_system_sgpr_private_segment_wavefront_offset 0
		.amdhsa_system_sgpr_workgroup_id_x 1
		.amdhsa_system_sgpr_workgroup_id_y 0
		.amdhsa_system_sgpr_workgroup_id_z 0
		.amdhsa_system_sgpr_workgroup_info 0
		.amdhsa_system_vgpr_workitem_id 0
		.amdhsa_next_free_vgpr 8
		.amdhsa_next_free_sgpr 14
		.amdhsa_reserve_vcc 1
		.amdhsa_reserve_flat_scratch 0
		.amdhsa_float_round_mode_32 0
		.amdhsa_float_round_mode_16_64 0
		.amdhsa_float_denorm_mode_32 3
		.amdhsa_float_denorm_mode_16_64 3
		.amdhsa_dx10_clamp 1
		.amdhsa_ieee_mode 1
		.amdhsa_fp16_overflow 0
		.amdhsa_exception_fp_ieee_invalid_op 0
		.amdhsa_exception_fp_denorm_src 0
		.amdhsa_exception_fp_ieee_div_zero 0
		.amdhsa_exception_fp_ieee_overflow 0
		.amdhsa_exception_fp_ieee_underflow 0
		.amdhsa_exception_fp_ieee_inexact 0
		.amdhsa_exception_int_div_zero 0
	.end_amdhsa_kernel
	.section	.text._ZN7rocprim6detail31init_lookback_scan_state_kernelINS0_19lookback_scan_stateImLb0ELb1EEEEEvT_jjPNS4_10value_typeE,"axG",@progbits,_ZN7rocprim6detail31init_lookback_scan_state_kernelINS0_19lookback_scan_stateImLb0ELb1EEEEEvT_jjPNS4_10value_typeE,comdat
.Lfunc_end28:
	.size	_ZN7rocprim6detail31init_lookback_scan_state_kernelINS0_19lookback_scan_stateImLb0ELb1EEEEEvT_jjPNS4_10value_typeE, .Lfunc_end28-_ZN7rocprim6detail31init_lookback_scan_state_kernelINS0_19lookback_scan_stateImLb0ELb1EEEEEvT_jjPNS4_10value_typeE
                                        ; -- End function
	.set _ZN7rocprim6detail31init_lookback_scan_state_kernelINS0_19lookback_scan_stateImLb0ELb1EEEEEvT_jjPNS4_10value_typeE.num_vgpr, 8
	.set _ZN7rocprim6detail31init_lookback_scan_state_kernelINS0_19lookback_scan_stateImLb0ELb1EEEEEvT_jjPNS4_10value_typeE.num_agpr, 0
	.set _ZN7rocprim6detail31init_lookback_scan_state_kernelINS0_19lookback_scan_stateImLb0ELb1EEEEEvT_jjPNS4_10value_typeE.numbered_sgpr, 14
	.set _ZN7rocprim6detail31init_lookback_scan_state_kernelINS0_19lookback_scan_stateImLb0ELb1EEEEEvT_jjPNS4_10value_typeE.num_named_barrier, 0
	.set _ZN7rocprim6detail31init_lookback_scan_state_kernelINS0_19lookback_scan_stateImLb0ELb1EEEEEvT_jjPNS4_10value_typeE.private_seg_size, 0
	.set _ZN7rocprim6detail31init_lookback_scan_state_kernelINS0_19lookback_scan_stateImLb0ELb1EEEEEvT_jjPNS4_10value_typeE.uses_vcc, 1
	.set _ZN7rocprim6detail31init_lookback_scan_state_kernelINS0_19lookback_scan_stateImLb0ELb1EEEEEvT_jjPNS4_10value_typeE.uses_flat_scratch, 0
	.set _ZN7rocprim6detail31init_lookback_scan_state_kernelINS0_19lookback_scan_stateImLb0ELb1EEEEEvT_jjPNS4_10value_typeE.has_dyn_sized_stack, 0
	.set _ZN7rocprim6detail31init_lookback_scan_state_kernelINS0_19lookback_scan_stateImLb0ELb1EEEEEvT_jjPNS4_10value_typeE.has_recursion, 0
	.set _ZN7rocprim6detail31init_lookback_scan_state_kernelINS0_19lookback_scan_stateImLb0ELb1EEEEEvT_jjPNS4_10value_typeE.has_indirect_call, 0
	.section	.AMDGPU.csdata,"",@progbits
; Kernel info:
; codeLenInByte = 364
; TotalNumSgprs: 18
; NumVgprs: 8
; ScratchSize: 0
; MemoryBound: 0
; FloatMode: 240
; IeeeMode: 1
; LDSByteSize: 0 bytes/workgroup (compile time only)
; SGPRBlocks: 2
; VGPRBlocks: 1
; NumSGPRsForWavesPerEU: 18
; NumVGPRsForWavesPerEU: 8
; Occupancy: 10
; WaveLimiterHint : 0
; COMPUTE_PGM_RSRC2:SCRATCH_EN: 0
; COMPUTE_PGM_RSRC2:USER_SGPR: 6
; COMPUTE_PGM_RSRC2:TRAP_HANDLER: 0
; COMPUTE_PGM_RSRC2:TGID_X_EN: 1
; COMPUTE_PGM_RSRC2:TGID_Y_EN: 0
; COMPUTE_PGM_RSRC2:TGID_Z_EN: 0
; COMPUTE_PGM_RSRC2:TIDIG_COMP_CNT: 0
	.section	.text._ZN7rocprim6detail20lookback_scan_kernelILNS0_25lookback_scan_determinismE0ELb0ENS0_19wrapped_scan_configINS_14default_configEmEEPmS6_N6hipcub3SumEmmNS0_19lookback_scan_stateImLb1ELb1EEEEEvT2_T3_mT5_T4_T7_jPT6_SH_bb,"axG",@progbits,_ZN7rocprim6detail20lookback_scan_kernelILNS0_25lookback_scan_determinismE0ELb0ENS0_19wrapped_scan_configINS_14default_configEmEEPmS6_N6hipcub3SumEmmNS0_19lookback_scan_stateImLb1ELb1EEEEEvT2_T3_mT5_T4_T7_jPT6_SH_bb,comdat
	.protected	_ZN7rocprim6detail20lookback_scan_kernelILNS0_25lookback_scan_determinismE0ELb0ENS0_19wrapped_scan_configINS_14default_configEmEEPmS6_N6hipcub3SumEmmNS0_19lookback_scan_stateImLb1ELb1EEEEEvT2_T3_mT5_T4_T7_jPT6_SH_bb ; -- Begin function _ZN7rocprim6detail20lookback_scan_kernelILNS0_25lookback_scan_determinismE0ELb0ENS0_19wrapped_scan_configINS_14default_configEmEEPmS6_N6hipcub3SumEmmNS0_19lookback_scan_stateImLb1ELb1EEEEEvT2_T3_mT5_T4_T7_jPT6_SH_bb
	.globl	_ZN7rocprim6detail20lookback_scan_kernelILNS0_25lookback_scan_determinismE0ELb0ENS0_19wrapped_scan_configINS_14default_configEmEEPmS6_N6hipcub3SumEmmNS0_19lookback_scan_stateImLb1ELb1EEEEEvT2_T3_mT5_T4_T7_jPT6_SH_bb
	.p2align	8
	.type	_ZN7rocprim6detail20lookback_scan_kernelILNS0_25lookback_scan_determinismE0ELb0ENS0_19wrapped_scan_configINS_14default_configEmEEPmS6_N6hipcub3SumEmmNS0_19lookback_scan_stateImLb1ELb1EEEEEvT2_T3_mT5_T4_T7_jPT6_SH_bb,@function
_ZN7rocprim6detail20lookback_scan_kernelILNS0_25lookback_scan_determinismE0ELb0ENS0_19wrapped_scan_configINS_14default_configEmEEPmS6_N6hipcub3SumEmmNS0_19lookback_scan_stateImLb1ELb1EEEEEvT2_T3_mT5_T4_T7_jPT6_SH_bb: ; @_ZN7rocprim6detail20lookback_scan_kernelILNS0_25lookback_scan_determinismE0ELb0ENS0_19wrapped_scan_configINS_14default_configEmEEPmS6_N6hipcub3SumEmmNS0_19lookback_scan_stateImLb1ELb1EEEEEvT2_T3_mT5_T4_T7_jPT6_SH_bb
; %bb.0:
	s_endpgm
	.section	.rodata,"a",@progbits
	.p2align	6, 0x0
	.amdhsa_kernel _ZN7rocprim6detail20lookback_scan_kernelILNS0_25lookback_scan_determinismE0ELb0ENS0_19wrapped_scan_configINS_14default_configEmEEPmS6_N6hipcub3SumEmmNS0_19lookback_scan_stateImLb1ELb1EEEEEvT2_T3_mT5_T4_T7_jPT6_SH_bb
		.amdhsa_group_segment_fixed_size 0
		.amdhsa_private_segment_fixed_size 0
		.amdhsa_kernarg_size 76
		.amdhsa_user_sgpr_count 6
		.amdhsa_user_sgpr_private_segment_buffer 1
		.amdhsa_user_sgpr_dispatch_ptr 0
		.amdhsa_user_sgpr_queue_ptr 0
		.amdhsa_user_sgpr_kernarg_segment_ptr 1
		.amdhsa_user_sgpr_dispatch_id 0
		.amdhsa_user_sgpr_flat_scratch_init 0
		.amdhsa_user_sgpr_private_segment_size 0
		.amdhsa_uses_dynamic_stack 0
		.amdhsa_system_sgpr_private_segment_wavefront_offset 0
		.amdhsa_system_sgpr_workgroup_id_x 1
		.amdhsa_system_sgpr_workgroup_id_y 0
		.amdhsa_system_sgpr_workgroup_id_z 0
		.amdhsa_system_sgpr_workgroup_info 0
		.amdhsa_system_vgpr_workitem_id 0
		.amdhsa_next_free_vgpr 1
		.amdhsa_next_free_sgpr 0
		.amdhsa_reserve_vcc 0
		.amdhsa_reserve_flat_scratch 0
		.amdhsa_float_round_mode_32 0
		.amdhsa_float_round_mode_16_64 0
		.amdhsa_float_denorm_mode_32 3
		.amdhsa_float_denorm_mode_16_64 3
		.amdhsa_dx10_clamp 1
		.amdhsa_ieee_mode 1
		.amdhsa_fp16_overflow 0
		.amdhsa_exception_fp_ieee_invalid_op 0
		.amdhsa_exception_fp_denorm_src 0
		.amdhsa_exception_fp_ieee_div_zero 0
		.amdhsa_exception_fp_ieee_overflow 0
		.amdhsa_exception_fp_ieee_underflow 0
		.amdhsa_exception_fp_ieee_inexact 0
		.amdhsa_exception_int_div_zero 0
	.end_amdhsa_kernel
	.section	.text._ZN7rocprim6detail20lookback_scan_kernelILNS0_25lookback_scan_determinismE0ELb0ENS0_19wrapped_scan_configINS_14default_configEmEEPmS6_N6hipcub3SumEmmNS0_19lookback_scan_stateImLb1ELb1EEEEEvT2_T3_mT5_T4_T7_jPT6_SH_bb,"axG",@progbits,_ZN7rocprim6detail20lookback_scan_kernelILNS0_25lookback_scan_determinismE0ELb0ENS0_19wrapped_scan_configINS_14default_configEmEEPmS6_N6hipcub3SumEmmNS0_19lookback_scan_stateImLb1ELb1EEEEEvT2_T3_mT5_T4_T7_jPT6_SH_bb,comdat
.Lfunc_end29:
	.size	_ZN7rocprim6detail20lookback_scan_kernelILNS0_25lookback_scan_determinismE0ELb0ENS0_19wrapped_scan_configINS_14default_configEmEEPmS6_N6hipcub3SumEmmNS0_19lookback_scan_stateImLb1ELb1EEEEEvT2_T3_mT5_T4_T7_jPT6_SH_bb, .Lfunc_end29-_ZN7rocprim6detail20lookback_scan_kernelILNS0_25lookback_scan_determinismE0ELb0ENS0_19wrapped_scan_configINS_14default_configEmEEPmS6_N6hipcub3SumEmmNS0_19lookback_scan_stateImLb1ELb1EEEEEvT2_T3_mT5_T4_T7_jPT6_SH_bb
                                        ; -- End function
	.set _ZN7rocprim6detail20lookback_scan_kernelILNS0_25lookback_scan_determinismE0ELb0ENS0_19wrapped_scan_configINS_14default_configEmEEPmS6_N6hipcub3SumEmmNS0_19lookback_scan_stateImLb1ELb1EEEEEvT2_T3_mT5_T4_T7_jPT6_SH_bb.num_vgpr, 0
	.set _ZN7rocprim6detail20lookback_scan_kernelILNS0_25lookback_scan_determinismE0ELb0ENS0_19wrapped_scan_configINS_14default_configEmEEPmS6_N6hipcub3SumEmmNS0_19lookback_scan_stateImLb1ELb1EEEEEvT2_T3_mT5_T4_T7_jPT6_SH_bb.num_agpr, 0
	.set _ZN7rocprim6detail20lookback_scan_kernelILNS0_25lookback_scan_determinismE0ELb0ENS0_19wrapped_scan_configINS_14default_configEmEEPmS6_N6hipcub3SumEmmNS0_19lookback_scan_stateImLb1ELb1EEEEEvT2_T3_mT5_T4_T7_jPT6_SH_bb.numbered_sgpr, 0
	.set _ZN7rocprim6detail20lookback_scan_kernelILNS0_25lookback_scan_determinismE0ELb0ENS0_19wrapped_scan_configINS_14default_configEmEEPmS6_N6hipcub3SumEmmNS0_19lookback_scan_stateImLb1ELb1EEEEEvT2_T3_mT5_T4_T7_jPT6_SH_bb.num_named_barrier, 0
	.set _ZN7rocprim6detail20lookback_scan_kernelILNS0_25lookback_scan_determinismE0ELb0ENS0_19wrapped_scan_configINS_14default_configEmEEPmS6_N6hipcub3SumEmmNS0_19lookback_scan_stateImLb1ELb1EEEEEvT2_T3_mT5_T4_T7_jPT6_SH_bb.private_seg_size, 0
	.set _ZN7rocprim6detail20lookback_scan_kernelILNS0_25lookback_scan_determinismE0ELb0ENS0_19wrapped_scan_configINS_14default_configEmEEPmS6_N6hipcub3SumEmmNS0_19lookback_scan_stateImLb1ELb1EEEEEvT2_T3_mT5_T4_T7_jPT6_SH_bb.uses_vcc, 0
	.set _ZN7rocprim6detail20lookback_scan_kernelILNS0_25lookback_scan_determinismE0ELb0ENS0_19wrapped_scan_configINS_14default_configEmEEPmS6_N6hipcub3SumEmmNS0_19lookback_scan_stateImLb1ELb1EEEEEvT2_T3_mT5_T4_T7_jPT6_SH_bb.uses_flat_scratch, 0
	.set _ZN7rocprim6detail20lookback_scan_kernelILNS0_25lookback_scan_determinismE0ELb0ENS0_19wrapped_scan_configINS_14default_configEmEEPmS6_N6hipcub3SumEmmNS0_19lookback_scan_stateImLb1ELb1EEEEEvT2_T3_mT5_T4_T7_jPT6_SH_bb.has_dyn_sized_stack, 0
	.set _ZN7rocprim6detail20lookback_scan_kernelILNS0_25lookback_scan_determinismE0ELb0ENS0_19wrapped_scan_configINS_14default_configEmEEPmS6_N6hipcub3SumEmmNS0_19lookback_scan_stateImLb1ELb1EEEEEvT2_T3_mT5_T4_T7_jPT6_SH_bb.has_recursion, 0
	.set _ZN7rocprim6detail20lookback_scan_kernelILNS0_25lookback_scan_determinismE0ELb0ENS0_19wrapped_scan_configINS_14default_configEmEEPmS6_N6hipcub3SumEmmNS0_19lookback_scan_stateImLb1ELb1EEEEEvT2_T3_mT5_T4_T7_jPT6_SH_bb.has_indirect_call, 0
	.section	.AMDGPU.csdata,"",@progbits
; Kernel info:
; codeLenInByte = 4
; TotalNumSgprs: 4
; NumVgprs: 0
; ScratchSize: 0
; MemoryBound: 0
; FloatMode: 240
; IeeeMode: 1
; LDSByteSize: 0 bytes/workgroup (compile time only)
; SGPRBlocks: 0
; VGPRBlocks: 0
; NumSGPRsForWavesPerEU: 4
; NumVGPRsForWavesPerEU: 1
; Occupancy: 10
; WaveLimiterHint : 0
; COMPUTE_PGM_RSRC2:SCRATCH_EN: 0
; COMPUTE_PGM_RSRC2:USER_SGPR: 6
; COMPUTE_PGM_RSRC2:TRAP_HANDLER: 0
; COMPUTE_PGM_RSRC2:TGID_X_EN: 1
; COMPUTE_PGM_RSRC2:TGID_Y_EN: 0
; COMPUTE_PGM_RSRC2:TGID_Z_EN: 0
; COMPUTE_PGM_RSRC2:TIDIG_COMP_CNT: 0
	.section	.text._ZN7rocprim6detail20lookback_scan_kernelILNS0_25lookback_scan_determinismE0ELb0ENS0_19wrapped_scan_configINS_14default_configEmEEPmS6_N6hipcub3SumEmmNS0_19lookback_scan_stateImLb0ELb1EEEEEvT2_T3_mT5_T4_T7_jPT6_SH_bb,"axG",@progbits,_ZN7rocprim6detail20lookback_scan_kernelILNS0_25lookback_scan_determinismE0ELb0ENS0_19wrapped_scan_configINS_14default_configEmEEPmS6_N6hipcub3SumEmmNS0_19lookback_scan_stateImLb0ELb1EEEEEvT2_T3_mT5_T4_T7_jPT6_SH_bb,comdat
	.protected	_ZN7rocprim6detail20lookback_scan_kernelILNS0_25lookback_scan_determinismE0ELb0ENS0_19wrapped_scan_configINS_14default_configEmEEPmS6_N6hipcub3SumEmmNS0_19lookback_scan_stateImLb0ELb1EEEEEvT2_T3_mT5_T4_T7_jPT6_SH_bb ; -- Begin function _ZN7rocprim6detail20lookback_scan_kernelILNS0_25lookback_scan_determinismE0ELb0ENS0_19wrapped_scan_configINS_14default_configEmEEPmS6_N6hipcub3SumEmmNS0_19lookback_scan_stateImLb0ELb1EEEEEvT2_T3_mT5_T4_T7_jPT6_SH_bb
	.globl	_ZN7rocprim6detail20lookback_scan_kernelILNS0_25lookback_scan_determinismE0ELb0ENS0_19wrapped_scan_configINS_14default_configEmEEPmS6_N6hipcub3SumEmmNS0_19lookback_scan_stateImLb0ELb1EEEEEvT2_T3_mT5_T4_T7_jPT6_SH_bb
	.p2align	8
	.type	_ZN7rocprim6detail20lookback_scan_kernelILNS0_25lookback_scan_determinismE0ELb0ENS0_19wrapped_scan_configINS_14default_configEmEEPmS6_N6hipcub3SumEmmNS0_19lookback_scan_stateImLb0ELb1EEEEEvT2_T3_mT5_T4_T7_jPT6_SH_bb,@function
_ZN7rocprim6detail20lookback_scan_kernelILNS0_25lookback_scan_determinismE0ELb0ENS0_19wrapped_scan_configINS_14default_configEmEEPmS6_N6hipcub3SumEmmNS0_19lookback_scan_stateImLb0ELb1EEEEEvT2_T3_mT5_T4_T7_jPT6_SH_bb: ; @_ZN7rocprim6detail20lookback_scan_kernelILNS0_25lookback_scan_determinismE0ELb0ENS0_19wrapped_scan_configINS_14default_configEmEEPmS6_N6hipcub3SumEmmNS0_19lookback_scan_stateImLb0ELb1EEEEEvT2_T3_mT5_T4_T7_jPT6_SH_bb
; %bb.0:
	s_load_dword s7, s[4:5], 0x30
	s_load_dwordx4 s[0:3], s[4:5], 0x0
	s_load_dwordx2 s[8:9], s[4:5], 0x10
	s_mul_i32 s10, s6, 0x380
	s_mov_b32 s11, 0
	s_waitcnt lgkmcnt(0)
	s_add_i32 s7, s7, -1
	s_mul_i32 s12, s7, 0x380
	s_sub_u32 s18, s8, s12
	s_subb_u32 s19, s9, 0
	s_cmp_lg_u32 s6, s7
	s_cselect_b64 s[12:13], -1, 0
	s_lshl_b64 s[14:15], s[10:11], 3
	s_add_u32 s10, s0, s14
	s_addc_u32 s11, s1, s15
	s_mov_b64 s[0:1], -1
	s_and_b64 vcc, exec, s[12:13]
	v_lshlrev_b32_e32 v43, 3, v0
	s_cbranch_vccz .LBB30_2
; %bb.1:
	v_mov_b32_e32 v1, s11
	v_add_co_u32_e32 v17, vcc, s10, v43
	v_addc_co_u32_e32 v18, vcc, 0, v1, vcc
	v_add_co_u32_e32 v17, vcc, 0x1000, v17
	v_addc_co_u32_e32 v18, vcc, 0, v18, vcc
	global_load_dwordx2 v[1:2], v43, s[10:11]
	global_load_dwordx2 v[3:4], v43, s[10:11] offset:512
	global_load_dwordx2 v[5:6], v43, s[10:11] offset:1024
	;; [unrolled: 1-line block ×7, first 2 shown]
	global_load_dwordx2 v[19:20], v[17:18], off
	global_load_dwordx2 v[21:22], v[17:18], off offset:512
	global_load_dwordx2 v[23:24], v[17:18], off offset:1024
	;; [unrolled: 1-line block ×5, first 2 shown]
	s_mov_b64 s[0:1], 0
	s_waitcnt vmcnt(12)
	ds_write2st64_b64 v43, v[1:2], v[3:4] offset1:1
	s_waitcnt vmcnt(10)
	ds_write2st64_b64 v43, v[5:6], v[7:8] offset0:2 offset1:3
	s_waitcnt vmcnt(8)
	ds_write2st64_b64 v43, v[9:10], v[11:12] offset0:4 offset1:5
	;; [unrolled: 2-line block ×6, first 2 shown]
	s_waitcnt lgkmcnt(0)
	; wave barrier
.LBB30_2:
	s_andn2_b64 vcc, exec, s[0:1]
	v_cmp_gt_u32_e64 s[0:1], s18, v0
	s_cbranch_vccnz .LBB30_32
; %bb.3:
	s_load_dwordx2 s[8:9], s[10:11], 0x0
	v_mov_b32_e32 v1, s11
	v_add_co_u32_e32 v3, vcc, s10, v43
	v_addc_co_u32_e32 v4, vcc, 0, v1, vcc
	s_waitcnt lgkmcnt(0)
	v_mov_b32_e32 v1, s8
	v_mov_b32_e32 v2, s9
	s_and_saveexec_b64 s[10:11], s[0:1]
	s_cbranch_execz .LBB30_5
; %bb.4:
	global_load_dwordx2 v[1:2], v[3:4], off
.LBB30_5:
	s_or_b64 exec, exec, s[10:11]
	v_or_b32_e32 v5, 64, v0
	v_cmp_gt_u32_e32 vcc, s18, v5
	v_mov_b32_e32 v5, s8
	v_mov_b32_e32 v6, s9
	s_and_saveexec_b64 s[0:1], vcc
	s_cbranch_execz .LBB30_7
; %bb.6:
	global_load_dwordx2 v[5:6], v[3:4], off offset:512
.LBB30_7:
	s_or_b64 exec, exec, s[0:1]
	v_or_b32_e32 v7, 0x80, v0
	v_cmp_gt_u32_e32 vcc, s18, v7
	v_mov_b32_e32 v7, s8
	v_mov_b32_e32 v8, s9
	s_and_saveexec_b64 s[0:1], vcc
	s_cbranch_execz .LBB30_9
; %bb.8:
	global_load_dwordx2 v[7:8], v[3:4], off offset:1024
.LBB30_9:
	;; [unrolled: 10-line block ×7, first 2 shown]
	s_or_b64 exec, exec, s[0:1]
	v_or_b32_e32 v19, 0x200, v0
	v_cmp_gt_u32_e32 vcc, s18, v19
	v_mov_b32_e32 v20, s9
	v_mov_b32_e32 v19, s8
	s_and_saveexec_b64 s[0:1], vcc
	s_cbranch_execz .LBB30_21
; %bb.20:
	v_add_co_u32_e32 v19, vcc, 0x1000, v3
	v_addc_co_u32_e32 v20, vcc, 0, v4, vcc
	global_load_dwordx2 v[19:20], v[19:20], off
.LBB30_21:
	s_or_b64 exec, exec, s[0:1]
	v_or_b32_e32 v21, 0x240, v0
	v_cmp_gt_u32_e32 vcc, s18, v21
	v_mov_b32_e32 v22, s9
	v_mov_b32_e32 v21, s8
	s_and_saveexec_b64 s[0:1], vcc
	s_cbranch_execz .LBB30_23
; %bb.22:
	v_add_co_u32_e32 v21, vcc, 0x1000, v3
	v_addc_co_u32_e32 v22, vcc, 0, v4, vcc
	global_load_dwordx2 v[21:22], v[21:22], off offset:512
.LBB30_23:
	s_or_b64 exec, exec, s[0:1]
	v_or_b32_e32 v23, 0x280, v0
	v_cmp_gt_u32_e32 vcc, s18, v23
	v_mov_b32_e32 v24, s9
	v_mov_b32_e32 v23, s8
	s_and_saveexec_b64 s[0:1], vcc
	s_cbranch_execz .LBB30_25
; %bb.24:
	v_add_co_u32_e32 v23, vcc, 0x1000, v3
	v_addc_co_u32_e32 v24, vcc, 0, v4, vcc
	global_load_dwordx2 v[23:24], v[23:24], off offset:1024
.LBB30_25:
	;; [unrolled: 12-line block ×5, first 2 shown]
	s_or_b64 exec, exec, s[0:1]
	s_waitcnt vmcnt(0)
	ds_write2st64_b64 v43, v[1:2], v[5:6] offset1:1
	ds_write2st64_b64 v43, v[7:8], v[9:10] offset0:2 offset1:3
	ds_write2st64_b64 v43, v[11:12], v[13:14] offset0:4 offset1:5
	;; [unrolled: 1-line block ×6, first 2 shown]
	s_waitcnt lgkmcnt(0)
	; wave barrier
.LBB30_32:
	v_mul_u32_u24_e32 v44, 0x70, v0
	ds_read_b128 v[25:28], v44
	ds_read_b128 v[21:24], v44 offset:16
	ds_read_b128 v[17:20], v44 offset:32
	;; [unrolled: 1-line block ×6, first 2 shown]
	s_load_dwordx2 s[16:17], s[4:5], 0x28
	s_cmp_lg_u32 s6, 0
	v_mbcnt_lo_u32_b32 v45, -1, 0
	s_waitcnt lgkmcnt(0)
	; wave barrier
	s_cbranch_scc0 .LBB30_86
; %bb.33:
	v_add_co_u32_e32 v29, vcc, v27, v25
	v_addc_co_u32_e32 v30, vcc, v28, v26, vcc
	v_add_co_u32_e32 v29, vcc, v29, v21
	v_addc_co_u32_e32 v30, vcc, v30, v22, vcc
	;; [unrolled: 2-line block ×13, first 2 shown]
	v_mbcnt_hi_u32_b32 v40, -1, v45
	v_and_b32_e32 v33, 15, v40
	v_mov_b32_e32 v32, v30
	v_mov_b32_dpp v35, v29 row_shr:1 row_mask:0xf bank_mask:0xf
	v_mov_b32_dpp v34, v30 row_shr:1 row_mask:0xf bank_mask:0xf
	v_cmp_ne_u32_e32 vcc, 0, v33
	v_mov_b32_e32 v31, v29
	s_and_saveexec_b64 s[0:1], vcc
; %bb.34:
	v_add_co_u32_e32 v29, vcc, v29, v35
	v_addc_co_u32_e32 v30, vcc, 0, v30, vcc
	v_add_co_u32_e32 v31, vcc, 0, v29
	v_addc_co_u32_e32 v32, vcc, v34, v30, vcc
	v_mov_b32_e32 v30, v32
; %bb.35:
	s_or_b64 exec, exec, s[0:1]
	v_mov_b32_dpp v35, v29 row_shr:2 row_mask:0xf bank_mask:0xf
	v_mov_b32_dpp v34, v30 row_shr:2 row_mask:0xf bank_mask:0xf
	v_cmp_lt_u32_e32 vcc, 1, v33
	s_and_saveexec_b64 s[0:1], vcc
; %bb.36:
	v_add_co_u32_e32 v29, vcc, v31, v35
	v_addc_co_u32_e32 v30, vcc, 0, v32, vcc
	v_add_co_u32_e32 v31, vcc, 0, v29
	v_addc_co_u32_e32 v32, vcc, v34, v30, vcc
	v_mov_b32_e32 v30, v32
; %bb.37:
	s_or_b64 exec, exec, s[0:1]
	v_mov_b32_dpp v35, v29 row_shr:4 row_mask:0xf bank_mask:0xf
	v_mov_b32_dpp v34, v30 row_shr:4 row_mask:0xf bank_mask:0xf
	v_cmp_lt_u32_e32 vcc, 3, v33
	;; [unrolled: 12-line block ×3, first 2 shown]
	s_and_saveexec_b64 s[0:1], vcc
; %bb.40:
	v_add_co_u32_e32 v29, vcc, v31, v35
	v_addc_co_u32_e32 v30, vcc, 0, v32, vcc
	v_add_co_u32_e32 v31, vcc, 0, v29
	v_addc_co_u32_e32 v32, vcc, v34, v30, vcc
	v_mov_b32_e32 v30, v32
; %bb.41:
	s_or_b64 exec, exec, s[0:1]
	v_and_b32_e32 v35, 16, v40
	v_mov_b32_dpp v34, v29 row_bcast:15 row_mask:0xf bank_mask:0xf
	v_mov_b32_dpp v33, v30 row_bcast:15 row_mask:0xf bank_mask:0xf
	v_cmp_ne_u32_e32 vcc, 0, v35
	s_and_saveexec_b64 s[0:1], vcc
; %bb.42:
	v_add_co_u32_e32 v29, vcc, v31, v34
	v_addc_co_u32_e32 v30, vcc, 0, v32, vcc
	v_add_co_u32_e32 v31, vcc, 0, v29
	v_addc_co_u32_e32 v32, vcc, v33, v30, vcc
	v_mov_b32_e32 v30, v32
; %bb.43:
	s_or_b64 exec, exec, s[0:1]
	v_mov_b32_dpp v34, v29 row_bcast:31 row_mask:0xf bank_mask:0xf
	v_mov_b32_dpp v33, v30 row_bcast:31 row_mask:0xf bank_mask:0xf
	v_cmp_lt_u32_e32 vcc, 31, v40
	s_and_saveexec_b64 s[0:1], vcc
; %bb.44:
	v_add_co_u32_e32 v29, vcc, v31, v34
	v_addc_co_u32_e32 v30, vcc, 0, v32, vcc
	v_add_co_u32_e32 v31, vcc, 0, v29
	v_addc_co_u32_e32 v32, vcc, v33, v30, vcc
	v_mov_b32_e32 v30, v32
; %bb.45:
	s_or_b64 exec, exec, s[0:1]
	v_cmp_eq_u32_e32 vcc, 63, v0
	s_and_saveexec_b64 s[0:1], vcc
; %bb.46:
	v_mov_b32_e32 v33, 0
	ds_write_b64 v33, v[31:32]
; %bb.47:
	s_or_b64 exec, exec, s[0:1]
	v_subrev_co_u32_e64 v31, s[0:1], 1, v40
	v_and_b32_e32 v32, 64, v40
	v_cmp_lt_i32_e32 vcc, v31, v32
	v_cndmask_b32_e32 v31, v31, v40, vcc
	v_lshlrev_b32_e32 v31, 2, v31
	v_mov_b32_e32 v32, 0
	s_waitcnt lgkmcnt(0)
	; wave barrier
	ds_bpermute_b32 v46, v31, v29
	ds_bpermute_b32 v47, v31, v30
	ds_read_b64 v[29:30], v32
	s_and_saveexec_b64 s[8:9], s[0:1]
	s_cbranch_execz .LBB30_49
; %bb.48:
	s_add_i32 s10, s6, 64
	s_mov_b32 s11, 0
	s_lshl_b64 s[10:11], s[10:11], 4
	s_add_u32 s10, s16, s10
	s_addc_u32 s11, s17, s11
	v_mov_b32_e32 v34, s11
	v_mov_b32_e32 v31, 1
	;; [unrolled: 1-line block ×3, first 2 shown]
	s_waitcnt lgkmcnt(0)
	;;#ASMSTART
	global_store_dwordx4 v[33:34], v[29:32] off	
s_waitcnt vmcnt(0)
	;;#ASMEND
.LBB30_49:
	s_or_b64 exec, exec, s[8:9]
	v_xad_u32 v37, v40, -1, s6
	v_add_u32_e32 v31, 64, v37
	v_lshlrev_b64 v[33:34], 4, v[31:32]
	v_mov_b32_e32 v31, s17
	v_add_co_u32_e32 v38, vcc, s16, v33
	v_addc_co_u32_e32 v39, vcc, v31, v34, vcc
	;;#ASMSTART
	global_load_dwordx4 v[33:36], v[38:39] off glc	
s_waitcnt vmcnt(0)
	;;#ASMEND
	v_cmp_eq_u16_sdwa s[10:11], v35, v32 src0_sel:BYTE_0 src1_sel:DWORD
	s_and_saveexec_b64 s[8:9], s[10:11]
	s_cbranch_execz .LBB30_53
; %bb.50:
	s_mov_b64 s[10:11], 0
	v_mov_b32_e32 v31, 0
.LBB30_51:                              ; =>This Inner Loop Header: Depth=1
	;;#ASMSTART
	global_load_dwordx4 v[33:36], v[38:39] off glc	
s_waitcnt vmcnt(0)
	;;#ASMEND
	v_cmp_ne_u16_sdwa s[20:21], v35, v31 src0_sel:BYTE_0 src1_sel:DWORD
	s_or_b64 s[10:11], s[20:21], s[10:11]
	s_andn2_b64 exec, exec, s[10:11]
	s_cbranch_execnz .LBB30_51
; %bb.52:
	s_or_b64 exec, exec, s[10:11]
.LBB30_53:
	s_or_b64 exec, exec, s[8:9]
	v_and_b32_e32 v39, 63, v40
	v_mov_b32_e32 v36, 2
	v_lshlrev_b64 v[31:32], v40, -1
	v_cmp_ne_u32_e32 vcc, 63, v39
	v_cmp_eq_u16_sdwa s[8:9], v35, v36 src0_sel:BYTE_0 src1_sel:DWORD
	v_addc_co_u32_e32 v41, vcc, 0, v40, vcc
	v_and_b32_e32 v36, s9, v32
	v_lshlrev_b32_e32 v48, 2, v41
	v_or_b32_e32 v36, 0x80000000, v36
	ds_bpermute_b32 v42, v48, v33
	ds_bpermute_b32 v41, v48, v34
	v_and_b32_e32 v38, s8, v31
	v_ffbl_b32_e32 v36, v36
	v_add_u32_e32 v36, 32, v36
	v_ffbl_b32_e32 v38, v38
	v_min_u32_e32 v36, v38, v36
	v_add_u32_e32 v49, 1, v40
	v_cmp_le_u32_e32 vcc, v49, v36
	v_mov_b32_e32 v38, v33
	s_and_saveexec_b64 s[8:9], vcc
	s_cbranch_execz .LBB30_55
; %bb.54:
	s_waitcnt lgkmcnt(1)
	v_add_co_u32_e32 v38, vcc, v33, v42
	v_addc_co_u32_e32 v34, vcc, 0, v34, vcc
	v_add_co_u32_e32 v33, vcc, 0, v38
	s_waitcnt lgkmcnt(0)
	v_addc_co_u32_e32 v34, vcc, v41, v34, vcc
.LBB30_55:
	s_or_b64 exec, exec, s[8:9]
	v_cmp_gt_u32_e32 vcc, 62, v39
	s_waitcnt lgkmcnt(0)
	v_cndmask_b32_e64 v41, 0, 2, vcc
	v_add_lshl_u32 v50, v41, v40, 2
	ds_bpermute_b32 v42, v50, v38
	ds_bpermute_b32 v41, v50, v34
	v_add_u32_e32 v51, 2, v40
	v_cmp_le_u32_e32 vcc, v51, v36
	s_and_saveexec_b64 s[8:9], vcc
	s_cbranch_execz .LBB30_57
; %bb.56:
	s_waitcnt lgkmcnt(1)
	v_add_co_u32_e32 v38, vcc, v33, v42
	v_addc_co_u32_e32 v34, vcc, 0, v34, vcc
	v_add_co_u32_e32 v33, vcc, 0, v38
	s_waitcnt lgkmcnt(0)
	v_addc_co_u32_e32 v34, vcc, v41, v34, vcc
.LBB30_57:
	s_or_b64 exec, exec, s[8:9]
	v_cmp_gt_u32_e32 vcc, 60, v39
	s_waitcnt lgkmcnt(0)
	v_cndmask_b32_e64 v41, 0, 4, vcc
	v_add_lshl_u32 v52, v41, v40, 2
	ds_bpermute_b32 v42, v52, v38
	ds_bpermute_b32 v41, v52, v34
	v_add_u32_e32 v53, 4, v40
	v_cmp_le_u32_e32 vcc, v53, v36
	;; [unrolled: 19-line block ×3, first 2 shown]
	s_and_saveexec_b64 s[8:9], vcc
	s_cbranch_execz .LBB30_61
; %bb.60:
	s_waitcnt lgkmcnt(1)
	v_add_co_u32_e32 v38, vcc, v33, v42
	v_addc_co_u32_e32 v34, vcc, 0, v34, vcc
	v_add_co_u32_e32 v33, vcc, 0, v38
	s_waitcnt lgkmcnt(0)
	v_addc_co_u32_e32 v34, vcc, v41, v34, vcc
.LBB30_61:
	s_or_b64 exec, exec, s[8:9]
	v_cmp_gt_u32_e32 vcc, 48, v39
	v_cndmask_b32_e64 v39, 0, 16, vcc
	v_add_lshl_u32 v56, v39, v40, 2
	s_waitcnt lgkmcnt(0)
	ds_bpermute_b32 v41, v56, v38
	ds_bpermute_b32 v39, v56, v34
	v_add_u32_e32 v57, 16, v40
	v_cmp_le_u32_e32 vcc, v57, v36
	s_and_saveexec_b64 s[8:9], vcc
	s_cbranch_execz .LBB30_63
; %bb.62:
	s_waitcnt lgkmcnt(1)
	v_add_co_u32_e32 v38, vcc, v33, v41
	v_addc_co_u32_e32 v34, vcc, 0, v34, vcc
	v_add_co_u32_e32 v33, vcc, 0, v38
	s_waitcnt lgkmcnt(0)
	v_addc_co_u32_e32 v34, vcc, v39, v34, vcc
.LBB30_63:
	s_or_b64 exec, exec, s[8:9]
	s_waitcnt lgkmcnt(0)
	v_mov_b32_e32 v39, 0x80
	v_lshl_or_b32 v58, v40, 2, v39
	ds_bpermute_b32 v39, v58, v38
	v_add_u32_e32 v59, 32, v40
	ds_bpermute_b32 v40, v58, v34
	v_mov_b32_e32 v38, 0
	v_mov_b32_e32 v60, 2
	s_waitcnt lgkmcnt(1)
	v_add_co_u32_e32 v39, vcc, v33, v39
	v_addc_co_u32_e32 v41, vcc, 0, v34, vcc
	v_add_co_u32_e32 v39, vcc, 0, v39
	s_waitcnt lgkmcnt(0)
	v_addc_co_u32_e32 v40, vcc, v41, v40, vcc
	v_cmp_gt_u32_e32 vcc, v59, v36
	v_cndmask_b32_e32 v34, v40, v34, vcc
	v_cndmask_b32_e32 v33, v39, v33, vcc
	s_branch .LBB30_66
.LBB30_64:                              ;   in Loop: Header=BB30_66 Depth=1
	s_or_b64 exec, exec, s[8:9]
	ds_bpermute_b32 v41, v58, v41
	s_waitcnt lgkmcnt(1)
	ds_bpermute_b32 v42, v58, v34
	v_subrev_u32_e32 v37, 64, v37
	s_mov_b64 s[8:9], 0
	s_waitcnt lgkmcnt(1)
	v_add_co_u32_e32 v41, vcc, v33, v41
	v_addc_co_u32_e32 v61, vcc, 0, v34, vcc
	v_add_co_u32_e32 v41, vcc, 0, v41
	s_waitcnt lgkmcnt(0)
	v_addc_co_u32_e32 v42, vcc, v61, v42, vcc
	v_cmp_gt_u32_e32 vcc, v59, v36
	v_cndmask_b32_e32 v33, v41, v33, vcc
	v_cndmask_b32_e32 v34, v42, v34, vcc
	v_add_co_u32_e32 v33, vcc, v33, v39
	v_addc_co_u32_e32 v34, vcc, v34, v40, vcc
.LBB30_65:                              ;   in Loop: Header=BB30_66 Depth=1
	s_and_b64 vcc, exec, s[8:9]
	s_cbranch_vccnz .LBB30_81
.LBB30_66:                              ; =>This Loop Header: Depth=1
                                        ;     Child Loop BB30_69 Depth 2
	v_mov_b32_e32 v40, v34
	v_cmp_ne_u16_sdwa s[8:9], v35, v60 src0_sel:BYTE_0 src1_sel:DWORD
	v_mov_b32_e32 v39, v33
	s_cmp_lg_u64 s[8:9], exec
	s_mov_b64 s[8:9], -1
                                        ; implicit-def: $vgpr33_vgpr34
                                        ; implicit-def: $vgpr35
	s_cbranch_scc1 .LBB30_65
; %bb.67:                               ;   in Loop: Header=BB30_66 Depth=1
	v_lshlrev_b64 v[33:34], 4, v[37:38]
	v_mov_b32_e32 v35, s17
	v_add_co_u32_e32 v41, vcc, s16, v33
	v_addc_co_u32_e32 v42, vcc, v35, v34, vcc
	;;#ASMSTART
	global_load_dwordx4 v[33:36], v[41:42] off glc	
s_waitcnt vmcnt(0)
	;;#ASMEND
	v_cmp_eq_u16_sdwa s[10:11], v35, v38 src0_sel:BYTE_0 src1_sel:DWORD
	s_and_saveexec_b64 s[8:9], s[10:11]
	s_cbranch_execz .LBB30_71
; %bb.68:                               ;   in Loop: Header=BB30_66 Depth=1
	s_mov_b64 s[10:11], 0
.LBB30_69:                              ;   Parent Loop BB30_66 Depth=1
                                        ; =>  This Inner Loop Header: Depth=2
	;;#ASMSTART
	global_load_dwordx4 v[33:36], v[41:42] off glc	
s_waitcnt vmcnt(0)
	;;#ASMEND
	v_cmp_ne_u16_sdwa s[20:21], v35, v38 src0_sel:BYTE_0 src1_sel:DWORD
	s_or_b64 s[10:11], s[20:21], s[10:11]
	s_andn2_b64 exec, exec, s[10:11]
	s_cbranch_execnz .LBB30_69
; %bb.70:                               ;   in Loop: Header=BB30_66 Depth=1
	s_or_b64 exec, exec, s[10:11]
.LBB30_71:                              ;   in Loop: Header=BB30_66 Depth=1
	s_or_b64 exec, exec, s[8:9]
	v_cmp_eq_u16_sdwa s[8:9], v35, v60 src0_sel:BYTE_0 src1_sel:DWORD
	v_and_b32_e32 v36, s9, v32
	v_or_b32_e32 v36, 0x80000000, v36
	ds_bpermute_b32 v61, v48, v33
	ds_bpermute_b32 v42, v48, v34
	v_and_b32_e32 v41, s8, v31
	v_ffbl_b32_e32 v36, v36
	v_add_u32_e32 v36, 32, v36
	v_ffbl_b32_e32 v41, v41
	v_min_u32_e32 v36, v41, v36
	v_cmp_le_u32_e32 vcc, v49, v36
	v_mov_b32_e32 v41, v33
	s_and_saveexec_b64 s[8:9], vcc
	s_cbranch_execz .LBB30_73
; %bb.72:                               ;   in Loop: Header=BB30_66 Depth=1
	s_waitcnt lgkmcnt(1)
	v_add_co_u32_e32 v41, vcc, v33, v61
	v_addc_co_u32_e32 v34, vcc, 0, v34, vcc
	v_add_co_u32_e32 v33, vcc, 0, v41
	s_waitcnt lgkmcnt(0)
	v_addc_co_u32_e32 v34, vcc, v42, v34, vcc
.LBB30_73:                              ;   in Loop: Header=BB30_66 Depth=1
	s_or_b64 exec, exec, s[8:9]
	s_waitcnt lgkmcnt(1)
	ds_bpermute_b32 v61, v50, v41
	s_waitcnt lgkmcnt(1)
	ds_bpermute_b32 v42, v50, v34
	v_cmp_le_u32_e32 vcc, v51, v36
	s_and_saveexec_b64 s[8:9], vcc
	s_cbranch_execz .LBB30_75
; %bb.74:                               ;   in Loop: Header=BB30_66 Depth=1
	s_waitcnt lgkmcnt(1)
	v_add_co_u32_e32 v41, vcc, v33, v61
	v_addc_co_u32_e32 v34, vcc, 0, v34, vcc
	v_add_co_u32_e32 v33, vcc, 0, v41
	s_waitcnt lgkmcnt(0)
	v_addc_co_u32_e32 v34, vcc, v42, v34, vcc
.LBB30_75:                              ;   in Loop: Header=BB30_66 Depth=1
	s_or_b64 exec, exec, s[8:9]
	s_waitcnt lgkmcnt(1)
	ds_bpermute_b32 v61, v52, v41
	s_waitcnt lgkmcnt(1)
	ds_bpermute_b32 v42, v52, v34
	v_cmp_le_u32_e32 vcc, v53, v36
	;; [unrolled: 16-line block ×4, first 2 shown]
	s_and_saveexec_b64 s[8:9], vcc
	s_cbranch_execz .LBB30_64
; %bb.80:                               ;   in Loop: Header=BB30_66 Depth=1
	s_waitcnt lgkmcnt(1)
	v_add_co_u32_e32 v41, vcc, v33, v61
	v_addc_co_u32_e32 v34, vcc, 0, v34, vcc
	v_add_co_u32_e32 v33, vcc, 0, v41
	s_waitcnt lgkmcnt(0)
	v_addc_co_u32_e32 v34, vcc, v42, v34, vcc
	s_branch .LBB30_64
.LBB30_81:
	s_and_saveexec_b64 s[8:9], s[0:1]
	s_cbranch_execz .LBB30_83
; %bb.82:
	s_add_i32 s0, s6, 64
	s_mov_b32 s1, 0
	s_lshl_b64 s[0:1], s[0:1], 4
	s_add_u32 s0, s16, s0
	s_addc_u32 s1, s17, s1
	v_add_co_u32_e32 v29, vcc, v39, v29
	v_mov_b32_e32 v34, s1
	v_addc_co_u32_e32 v30, vcc, v40, v30, vcc
	v_mov_b32_e32 v31, 2
	v_mov_b32_e32 v32, 0
	;; [unrolled: 1-line block ×3, first 2 shown]
	;;#ASMSTART
	global_store_dwordx4 v[33:34], v[29:32] off	
s_waitcnt vmcnt(0)
	;;#ASMEND
.LBB30_83:
	s_or_b64 exec, exec, s[8:9]
	v_cmp_eq_u32_e32 vcc, 0, v0
	s_and_saveexec_b64 s[0:1], vcc
; %bb.84:
	v_mov_b32_e32 v29, 0
	ds_write_b64 v29, v[39:40]
; %bb.85:
	s_or_b64 exec, exec, s[0:1]
	v_mov_b32_e32 v29, 0
	s_waitcnt lgkmcnt(0)
	; wave barrier
	ds_read_b64 v[29:30], v29
	v_cndmask_b32_e64 v32, v46, 0, vcc
	v_cndmask_b32_e64 v31, v47, 0, vcc
	v_add_co_u32_e32 v32, vcc, v32, v25
	v_addc_co_u32_e32 v31, vcc, v31, v26, vcc
	s_waitcnt lgkmcnt(0)
	v_add_co_u32_e32 v29, vcc, v32, v29
	v_addc_co_u32_e32 v30, vcc, v31, v30, vcc
	s_load_dwordx4 s[8:11], s[4:5], 0x38
	s_branch .LBB30_106
.LBB30_86:
                                        ; implicit-def: $vgpr29_vgpr30
	s_load_dwordx4 s[8:11], s[4:5], 0x38
	s_cbranch_execz .LBB30_106
; %bb.87:
	s_load_dword s0, s[4:5], 0x48
	v_cmp_eq_u32_e32 vcc, 0, v0
	s_waitcnt lgkmcnt(0)
	s_bitcmp1_b32 s0, 0
	s_cselect_b64 s[0:1], -1, 0
	s_and_b64 s[0:1], vcc, s[0:1]
	s_and_saveexec_b64 s[6:7], s[0:1]
	s_cbranch_execz .LBB30_89
; %bb.88:
	v_mov_b32_e32 v29, 0
	global_load_dwordx2 v[29:30], v29, s[8:9]
	s_waitcnt vmcnt(0)
	v_add_co_u32_e64 v25, s[0:1], v29, v25
	v_addc_co_u32_e64 v26, s[0:1], v30, v26, s[0:1]
.LBB30_89:
	s_or_b64 exec, exec, s[6:7]
	v_add_co_u32_e64 v29, s[0:1], v21, v27
	v_addc_co_u32_e64 v30, s[0:1], v22, v28, s[0:1]
	v_add_co_u32_e64 v29, s[0:1], v29, v23
	v_addc_co_u32_e64 v30, s[0:1], v30, v24, s[0:1]
	;; [unrolled: 2-line block ×13, first 2 shown]
	v_mbcnt_hi_u32_b32 v33, -1, v45
	v_and_b32_e32 v34, 15, v33
	v_mov_b32_e32 v32, v30
	v_mov_b32_dpp v36, v29 row_shr:1 row_mask:0xf bank_mask:0xf
	v_mov_b32_dpp v35, v30 row_shr:1 row_mask:0xf bank_mask:0xf
	v_cmp_ne_u32_e64 s[0:1], 0, v34
	v_mov_b32_e32 v31, v29
	s_and_saveexec_b64 s[6:7], s[0:1]
; %bb.90:
	v_add_co_u32_e64 v29, s[0:1], v29, v36
	v_addc_co_u32_e64 v30, s[0:1], 0, v30, s[0:1]
	v_add_co_u32_e64 v31, s[0:1], 0, v29
	v_addc_co_u32_e64 v32, s[0:1], v35, v30, s[0:1]
	v_mov_b32_e32 v30, v32
; %bb.91:
	s_or_b64 exec, exec, s[6:7]
	v_mov_b32_dpp v36, v29 row_shr:2 row_mask:0xf bank_mask:0xf
	v_mov_b32_dpp v35, v30 row_shr:2 row_mask:0xf bank_mask:0xf
	v_cmp_lt_u32_e64 s[0:1], 1, v34
	s_and_saveexec_b64 s[6:7], s[0:1]
; %bb.92:
	v_add_co_u32_e64 v29, s[0:1], v31, v36
	v_addc_co_u32_e64 v30, s[0:1], 0, v32, s[0:1]
	v_add_co_u32_e64 v31, s[0:1], 0, v29
	v_addc_co_u32_e64 v32, s[0:1], v35, v30, s[0:1]
	v_mov_b32_e32 v30, v32
; %bb.93:
	s_or_b64 exec, exec, s[6:7]
	v_mov_b32_dpp v36, v29 row_shr:4 row_mask:0xf bank_mask:0xf
	v_mov_b32_dpp v35, v30 row_shr:4 row_mask:0xf bank_mask:0xf
	v_cmp_lt_u32_e64 s[0:1], 3, v34
	;; [unrolled: 12-line block ×3, first 2 shown]
	s_and_saveexec_b64 s[6:7], s[0:1]
; %bb.96:
	v_add_co_u32_e64 v29, s[0:1], v31, v36
	v_addc_co_u32_e64 v30, s[0:1], 0, v32, s[0:1]
	v_add_co_u32_e64 v31, s[0:1], 0, v29
	v_addc_co_u32_e64 v32, s[0:1], v35, v30, s[0:1]
	v_mov_b32_e32 v30, v32
; %bb.97:
	s_or_b64 exec, exec, s[6:7]
	v_and_b32_e32 v36, 16, v33
	v_mov_b32_dpp v35, v29 row_bcast:15 row_mask:0xf bank_mask:0xf
	v_mov_b32_dpp v34, v30 row_bcast:15 row_mask:0xf bank_mask:0xf
	v_cmp_ne_u32_e64 s[0:1], 0, v36
	s_and_saveexec_b64 s[6:7], s[0:1]
; %bb.98:
	v_add_co_u32_e64 v29, s[0:1], v31, v35
	v_addc_co_u32_e64 v30, s[0:1], 0, v32, s[0:1]
	v_add_co_u32_e64 v31, s[0:1], 0, v29
	v_addc_co_u32_e64 v32, s[0:1], v34, v30, s[0:1]
	v_mov_b32_e32 v30, v32
; %bb.99:
	s_or_b64 exec, exec, s[6:7]
	v_mov_b32_dpp v35, v29 row_bcast:31 row_mask:0xf bank_mask:0xf
	v_mov_b32_dpp v34, v30 row_bcast:31 row_mask:0xf bank_mask:0xf
	v_cmp_lt_u32_e64 s[0:1], 31, v33
	s_and_saveexec_b64 s[6:7], s[0:1]
; %bb.100:
	v_add_co_u32_e64 v29, s[0:1], v31, v35
	v_addc_co_u32_e64 v30, s[0:1], 0, v32, s[0:1]
	v_add_co_u32_e64 v31, s[0:1], 0, v29
	v_addc_co_u32_e64 v32, s[0:1], v34, v30, s[0:1]
	v_mov_b32_e32 v30, v32
; %bb.101:
	s_or_b64 exec, exec, s[6:7]
	v_cmp_eq_u32_e64 s[0:1], 63, v0
	s_and_saveexec_b64 s[6:7], s[0:1]
; %bb.102:
	v_mov_b32_e32 v34, 0
	ds_write_b64 v34, v[31:32]
; %bb.103:
	s_or_b64 exec, exec, s[6:7]
	v_add_u32_e32 v31, -1, v33
	v_and_b32_e32 v32, 64, v33
	v_cmp_lt_i32_e64 s[0:1], v31, v32
	v_cndmask_b32_e64 v31, v31, v33, s[0:1]
	v_lshlrev_b32_e32 v31, 2, v31
	ds_bpermute_b32 v29, v31, v29
	ds_bpermute_b32 v30, v31, v30
	s_waitcnt lgkmcnt(0)
	; wave barrier
	v_cndmask_b32_e64 v29, v29, 0, vcc
	v_cndmask_b32_e64 v30, v30, 0, vcc
	v_add_co_u32_e64 v29, s[0:1], v29, v25
	v_addc_co_u32_e64 v30, s[0:1], v30, v26, s[0:1]
	s_and_saveexec_b64 s[0:1], vcc
	s_cbranch_execz .LBB30_105
; %bb.104:
	s_add_u32 s6, s16, 0x400
	s_addc_u32 s7, s17, 0
	v_mov_b32_e32 v34, 0
	v_mov_b32_e32 v26, s7
	ds_read_b64 v[31:32], v34
	v_mov_b32_e32 v33, 2
	v_mov_b32_e32 v25, s6
	s_waitcnt lgkmcnt(0)
	;;#ASMSTART
	global_store_dwordx4 v[25:26], v[31:34] off	
s_waitcnt vmcnt(0)
	;;#ASMEND
.LBB30_105:
	s_or_b64 exec, exec, s[0:1]
.LBB30_106:
	v_add_co_u32_e32 v31, vcc, v29, v27
	v_addc_co_u32_e32 v32, vcc, v30, v28, vcc
	v_add_co_u32_e32 v21, vcc, v31, v21
	v_addc_co_u32_e32 v22, vcc, v32, v22, vcc
	;; [unrolled: 2-line block ×13, first 2 shown]
	s_add_u32 s0, s2, s14
	s_addc_u32 s1, s3, s15
	s_mov_b64 s[2:3], -1
	s_and_b64 vcc, exec, s[12:13]
	s_waitcnt lgkmcnt(0)
	; wave barrier
	s_cbranch_vccz .LBB30_108
; %bb.107:
	ds_write_b128 v44, v[29:32]
	ds_write_b128 v44, v[21:24] offset:16
	ds_write_b128 v44, v[17:20] offset:32
	;; [unrolled: 1-line block ×6, first 2 shown]
	s_waitcnt lgkmcnt(0)
	; wave barrier
	ds_read2st64_b64 v[25:28], v43 offset1:1
	ds_read2st64_b64 v[33:36], v43 offset0:2 offset1:3
	ds_read2st64_b64 v[37:40], v43 offset0:4 offset1:5
	;; [unrolled: 1-line block ×6, first 2 shown]
	v_mov_b32_e32 v41, s1
	v_add_co_u32_e32 v42, vcc, s0, v43
	v_addc_co_u32_e32 v41, vcc, 0, v41, vcc
	s_waitcnt lgkmcnt(6)
	global_store_dwordx2 v43, v[25:26], s[0:1]
	global_store_dwordx2 v43, v[27:28], s[0:1] offset:512
	s_waitcnt lgkmcnt(5)
	global_store_dwordx2 v43, v[33:34], s[0:1] offset:1024
	global_store_dwordx2 v43, v[35:36], s[0:1] offset:1536
	s_waitcnt lgkmcnt(4)
	global_store_dwordx2 v43, v[37:38], s[0:1] offset:2048
	global_store_dwordx2 v43, v[39:40], s[0:1] offset:2560
	s_waitcnt lgkmcnt(3)
	global_store_dwordx2 v43, v[45:46], s[0:1] offset:3072
	global_store_dwordx2 v43, v[47:48], s[0:1] offset:3584
	v_add_co_u32_e32 v25, vcc, 0x1000, v42
	v_addc_co_u32_e32 v26, vcc, 0, v41, vcc
	s_waitcnt lgkmcnt(2)
	global_store_dwordx2 v[25:26], v[49:50], off
	global_store_dwordx2 v[25:26], v[51:52], off offset:512
	s_waitcnt lgkmcnt(1)
	global_store_dwordx2 v[25:26], v[53:54], off offset:1024
	global_store_dwordx2 v[25:26], v[55:56], off offset:1536
	s_waitcnt lgkmcnt(0)
	global_store_dwordx2 v[25:26], v[57:58], off offset:2048
	global_store_dwordx2 v[25:26], v[59:60], off offset:2560
	s_mov_b64 s[2:3], 0
.LBB30_108:
	s_andn2_b64 vcc, exec, s[2:3]
	s_cbranch_vccnz .LBB30_188
; %bb.109:
	ds_write_b128 v44, v[29:32]
	ds_write_b128 v44, v[21:24] offset:16
	ds_write_b128 v44, v[17:20] offset:32
	;; [unrolled: 1-line block ×6, first 2 shown]
	s_waitcnt lgkmcnt(0)
	; wave barrier
	ds_read2st64_b64 v[6:9], v43 offset1:1
	ds_read2st64_b64 v[10:13], v43 offset0:2 offset1:3
	ds_read2st64_b64 v[14:17], v43 offset0:4 offset1:5
	;; [unrolled: 1-line block ×6, first 2 shown]
	v_mov_b32_e32 v31, s1
	v_add_co_u32_e32 v30, vcc, s0, v43
	v_addc_co_u32_e32 v31, vcc, 0, v31, vcc
	v_mov_b32_e32 v1, 0
	v_cmp_gt_u32_e32 vcc, s18, v0
	s_and_saveexec_b64 s[0:1], vcc
	s_cbranch_execz .LBB30_111
; %bb.110:
	s_waitcnt lgkmcnt(6)
	global_store_dwordx2 v[30:31], v[6:7], off
.LBB30_111:
	s_or_b64 exec, exec, s[0:1]
	v_or_b32_e32 v32, 64, v0
	v_cmp_gt_u32_e32 vcc, s18, v32
	s_and_saveexec_b64 s[0:1], vcc
	s_cbranch_execz .LBB30_113
; %bb.112:
	s_waitcnt lgkmcnt(6)
	global_store_dwordx2 v[30:31], v[8:9], off offset:512
.LBB30_113:
	s_or_b64 exec, exec, s[0:1]
	v_or_b32_e32 v32, 0x80, v0
	v_cmp_gt_u32_e32 vcc, s18, v32
	s_and_saveexec_b64 s[0:1], vcc
	s_cbranch_execz .LBB30_115
; %bb.114:
	s_waitcnt lgkmcnt(5)
	global_store_dwordx2 v[30:31], v[10:11], off offset:1024
.LBB30_115:
	;; [unrolled: 9-line block ×7, first 2 shown]
	s_or_b64 exec, exec, s[0:1]
	v_or_b32_e32 v32, 0x200, v0
	v_cmp_gt_u32_e32 vcc, s18, v32
	s_and_saveexec_b64 s[0:1], vcc
	s_cbranch_execz .LBB30_127
; %bb.126:
	v_add_co_u32_e32 v32, vcc, 0x1000, v30
	v_addc_co_u32_e32 v33, vcc, 0, v31, vcc
	s_waitcnt lgkmcnt(2)
	global_store_dwordx2 v[32:33], v[22:23], off
.LBB30_127:
	s_or_b64 exec, exec, s[0:1]
	v_or_b32_e32 v32, 0x240, v0
	v_cmp_gt_u32_e32 vcc, s18, v32
	s_and_saveexec_b64 s[0:1], vcc
	s_cbranch_execz .LBB30_129
; %bb.128:
	v_add_co_u32_e32 v32, vcc, 0x1000, v30
	v_addc_co_u32_e32 v33, vcc, 0, v31, vcc
	s_waitcnt lgkmcnt(2)
	global_store_dwordx2 v[32:33], v[24:25], off offset:512
.LBB30_129:
	s_or_b64 exec, exec, s[0:1]
	v_or_b32_e32 v32, 0x280, v0
	v_cmp_gt_u32_e32 vcc, s18, v32
	s_and_saveexec_b64 s[0:1], vcc
	s_cbranch_execz .LBB30_131
; %bb.130:
	v_add_co_u32_e32 v32, vcc, 0x1000, v30
	v_addc_co_u32_e32 v33, vcc, 0, v31, vcc
	s_waitcnt lgkmcnt(1)
	global_store_dwordx2 v[32:33], v[18:19], off offset:1024
.LBB30_131:
	;; [unrolled: 11-line block ×5, first 2 shown]
	s_or_b64 exec, exec, s[0:1]
	s_load_dword s0, s[4:5], 0x48
	s_waitcnt lgkmcnt(0)
	s_bfe_u32 s0, s0, 0x10008
	s_cmp_eq_u32 s0, 0
	s_cbranch_scc1 .LBB30_188
; %bb.138:
	s_add_u32 s0, s18, -1
	s_addc_u32 s1, s19, -1
	s_lshr_b64 s[2:3], s[0:1], 1
	s_lshr_b32 s5, s1, 1
	s_mul_hi_u32 s3, s2, 0x49249249
	s_mul_i32 s4, s2, 0x49249249
	s_mul_i32 s7, s5, 0x24924925
	s_mul_hi_u32 s2, s2, 0x24924925
	s_mul_hi_u32 s6, s5, 0x24924925
	s_add_u32 s2, s7, s2
	s_addc_u32 s6, s6, 0
	s_add_u32 s2, s4, s2
	s_addc_u32 s2, s3, 0
	;; [unrolled: 2-line block ×3, first 2 shown]
	s_mul_hi_u32 s4, s5, 0x49249249
	s_mul_i32 s5, s5, 0x49249249
	s_add_u32 s2, s5, s2
	s_addc_u32 s3, s4, s3
	s_lshr_b64 s[2:3], s[2:3], 1
	v_cmp_eq_u64_e32 vcc, s[2:3], v[0:1]
	s_and_saveexec_b64 s[2:3], vcc
	s_cbranch_execz .LBB30_188
; %bb.139:
	v_mul_hi_u32_u24_e32 v1, 14, v0
	v_mul_u32_u24_e32 v0, 14, v0
	v_mov_b32_e32 v30, s1
	v_sub_co_u32_e32 v0, vcc, s0, v0
	v_subb_co_u32_e32 v1, vcc, v30, v1, vcc
	v_cmp_lt_i64_e32 vcc, 6, v[0:1]
	s_and_saveexec_b64 s[0:1], vcc
	s_xor_b64 s[0:1], exec, s[0:1]
	s_cbranch_execz .LBB30_165
; %bb.140:
	v_cmp_lt_i64_e32 vcc, 9, v[0:1]
	s_and_saveexec_b64 s[2:3], vcc
	s_xor_b64 s[2:3], exec, s[2:3]
	s_cbranch_execz .LBB30_154
; %bb.141:
	v_cmp_lt_i64_e32 vcc, 11, v[0:1]
	s_and_saveexec_b64 s[4:5], vcc
	s_xor_b64 s[4:5], exec, s[4:5]
	s_cbranch_execz .LBB30_147
; %bb.142:
	v_cmp_lt_i64_e32 vcc, 12, v[0:1]
	s_and_saveexec_b64 s[6:7], vcc
	s_xor_b64 s[6:7], exec, s[6:7]
	s_cbranch_execz .LBB30_144
; %bb.143:
	v_mov_b32_e32 v0, 0
	global_store_dwordx2 v0, v[28:29], s[10:11]
                                        ; implicit-def: $vgpr26_vgpr27_vgpr28_vgpr29
.LBB30_144:
	s_andn2_saveexec_b64 s[6:7], s[6:7]
	s_cbranch_execz .LBB30_146
; %bb.145:
	v_mov_b32_e32 v0, 0
	global_store_dwordx2 v0, v[26:27], s[10:11]
.LBB30_146:
	s_or_b64 exec, exec, s[6:7]
                                        ; implicit-def: $vgpr18_vgpr19_vgpr20_vgpr21
                                        ; implicit-def: $vgpr0_vgpr1
.LBB30_147:
	s_andn2_saveexec_b64 s[4:5], s[4:5]
	s_cbranch_execz .LBB30_153
; %bb.148:
	v_cmp_lt_i64_e32 vcc, 10, v[0:1]
	s_and_saveexec_b64 s[6:7], vcc
	s_xor_b64 s[6:7], exec, s[6:7]
	s_cbranch_execz .LBB30_150
; %bb.149:
	v_mov_b32_e32 v0, 0
	global_store_dwordx2 v0, v[20:21], s[10:11]
                                        ; implicit-def: $vgpr18_vgpr19_vgpr20_vgpr21
.LBB30_150:
	s_andn2_saveexec_b64 s[6:7], s[6:7]
	s_cbranch_execz .LBB30_152
; %bb.151:
	v_mov_b32_e32 v0, 0
	global_store_dwordx2 v0, v[18:19], s[10:11]
.LBB30_152:
	s_or_b64 exec, exec, s[6:7]
.LBB30_153:
	s_or_b64 exec, exec, s[4:5]
                                        ; implicit-def: $vgpr2_vgpr3_vgpr4_vgpr5
                                        ; implicit-def: $vgpr0_vgpr1
                                        ; implicit-def: $vgpr22_vgpr23_vgpr24_vgpr25
.LBB30_154:
	s_andn2_saveexec_b64 s[2:3], s[2:3]
	s_cbranch_execz .LBB30_164
; %bb.155:
	v_cmp_lt_i64_e32 vcc, 7, v[0:1]
	s_and_saveexec_b64 s[4:5], vcc
	s_xor_b64 s[4:5], exec, s[4:5]
	s_cbranch_execz .LBB30_161
; %bb.156:
	v_cmp_lt_i64_e32 vcc, 8, v[0:1]
	s_and_saveexec_b64 s[6:7], vcc
	s_xor_b64 s[6:7], exec, s[6:7]
	s_cbranch_execz .LBB30_158
; %bb.157:
	v_mov_b32_e32 v0, 0
	global_store_dwordx2 v0, v[24:25], s[10:11]
                                        ; implicit-def: $vgpr22_vgpr23_vgpr24_vgpr25
.LBB30_158:
	s_andn2_saveexec_b64 s[6:7], s[6:7]
	s_cbranch_execz .LBB30_160
; %bb.159:
	v_mov_b32_e32 v0, 0
	global_store_dwordx2 v0, v[22:23], s[10:11]
.LBB30_160:
	s_or_b64 exec, exec, s[6:7]
                                        ; implicit-def: $vgpr2_vgpr3_vgpr4_vgpr5
.LBB30_161:
	s_andn2_saveexec_b64 s[4:5], s[4:5]
	s_cbranch_execz .LBB30_163
; %bb.162:
	v_mov_b32_e32 v0, 0
	global_store_dwordx2 v0, v[4:5], s[10:11]
.LBB30_163:
	s_or_b64 exec, exec, s[4:5]
.LBB30_164:
	s_or_b64 exec, exec, s[2:3]
                                        ; implicit-def: $vgpr0_vgpr1
                                        ; implicit-def: $vgpr14_vgpr15_vgpr16_vgpr17
                                        ; implicit-def: $vgpr6_vgpr7_vgpr8_vgpr9
                                        ; implicit-def: $vgpr10_vgpr11_vgpr12_vgpr13
                                        ; implicit-def: $vgpr2_vgpr3_vgpr4_vgpr5
.LBB30_165:
	s_andn2_saveexec_b64 s[0:1], s[0:1]
	s_cbranch_execz .LBB30_188
; %bb.166:
	v_cmp_lt_i64_e32 vcc, 3, v[0:1]
	s_and_saveexec_b64 s[0:1], vcc
	s_xor_b64 s[0:1], exec, s[0:1]
	s_cbranch_execz .LBB30_176
; %bb.167:
	v_cmp_lt_i64_e32 vcc, 4, v[0:1]
	s_and_saveexec_b64 s[2:3], vcc
	s_xor_b64 s[2:3], exec, s[2:3]
	;; [unrolled: 5-line block ×3, first 2 shown]
	s_cbranch_execz .LBB30_170
; %bb.169:
	v_mov_b32_e32 v0, 0
	global_store_dwordx2 v0, v[2:3], s[10:11]
                                        ; implicit-def: $vgpr14_vgpr15_vgpr16_vgpr17
.LBB30_170:
	s_andn2_saveexec_b64 s[4:5], s[4:5]
	s_cbranch_execz .LBB30_172
; %bb.171:
	v_mov_b32_e32 v0, 0
	global_store_dwordx2 v0, v[16:17], s[10:11]
.LBB30_172:
	s_or_b64 exec, exec, s[4:5]
                                        ; implicit-def: $vgpr14_vgpr15_vgpr16_vgpr17
.LBB30_173:
	s_andn2_saveexec_b64 s[2:3], s[2:3]
	s_cbranch_execz .LBB30_175
; %bb.174:
	v_mov_b32_e32 v0, 0
	global_store_dwordx2 v0, v[14:15], s[10:11]
.LBB30_175:
	s_or_b64 exec, exec, s[2:3]
                                        ; implicit-def: $vgpr0_vgpr1
                                        ; implicit-def: $vgpr6_vgpr7_vgpr8_vgpr9
                                        ; implicit-def: $vgpr10_vgpr11_vgpr12_vgpr13
.LBB30_176:
	s_andn2_saveexec_b64 s[0:1], s[0:1]
	s_cbranch_execz .LBB30_188
; %bb.177:
	v_cmp_lt_i64_e32 vcc, 1, v[0:1]
	s_and_saveexec_b64 s[0:1], vcc
	s_xor_b64 s[0:1], exec, s[0:1]
	s_cbranch_execz .LBB30_183
; %bb.178:
	v_cmp_lt_i64_e32 vcc, 2, v[0:1]
	s_and_saveexec_b64 s[2:3], vcc
	s_xor_b64 s[2:3], exec, s[2:3]
	s_cbranch_execz .LBB30_180
; %bb.179:
	v_mov_b32_e32 v0, 0
	global_store_dwordx2 v0, v[12:13], s[10:11]
                                        ; implicit-def: $vgpr10_vgpr11_vgpr12_vgpr13
.LBB30_180:
	s_andn2_saveexec_b64 s[2:3], s[2:3]
	s_cbranch_execz .LBB30_182
; %bb.181:
	v_mov_b32_e32 v0, 0
	global_store_dwordx2 v0, v[10:11], s[10:11]
.LBB30_182:
	s_or_b64 exec, exec, s[2:3]
                                        ; implicit-def: $vgpr6_vgpr7_vgpr8_vgpr9
                                        ; implicit-def: $vgpr0_vgpr1
.LBB30_183:
	s_andn2_saveexec_b64 s[0:1], s[0:1]
	s_cbranch_execz .LBB30_188
; %bb.184:
	v_cmp_ne_u64_e32 vcc, 1, v[0:1]
	s_and_saveexec_b64 s[0:1], vcc
	s_xor_b64 s[0:1], exec, s[0:1]
	s_cbranch_execz .LBB30_186
; %bb.185:
	v_mov_b32_e32 v0, 0
	global_store_dwordx2 v0, v[6:7], s[10:11]
                                        ; implicit-def: $vgpr6_vgpr7_vgpr8_vgpr9
.LBB30_186:
	s_andn2_saveexec_b64 s[0:1], s[0:1]
	s_cbranch_execz .LBB30_188
; %bb.187:
	v_mov_b32_e32 v0, 0
	global_store_dwordx2 v0, v[8:9], s[10:11]
.LBB30_188:
	s_endpgm
	.section	.rodata,"a",@progbits
	.p2align	6, 0x0
	.amdhsa_kernel _ZN7rocprim6detail20lookback_scan_kernelILNS0_25lookback_scan_determinismE0ELb0ENS0_19wrapped_scan_configINS_14default_configEmEEPmS6_N6hipcub3SumEmmNS0_19lookback_scan_stateImLb0ELb1EEEEEvT2_T3_mT5_T4_T7_jPT6_SH_bb
		.amdhsa_group_segment_fixed_size 7168
		.amdhsa_private_segment_fixed_size 0
		.amdhsa_kernarg_size 76
		.amdhsa_user_sgpr_count 6
		.amdhsa_user_sgpr_private_segment_buffer 1
		.amdhsa_user_sgpr_dispatch_ptr 0
		.amdhsa_user_sgpr_queue_ptr 0
		.amdhsa_user_sgpr_kernarg_segment_ptr 1
		.amdhsa_user_sgpr_dispatch_id 0
		.amdhsa_user_sgpr_flat_scratch_init 0
		.amdhsa_user_sgpr_private_segment_size 0
		.amdhsa_uses_dynamic_stack 0
		.amdhsa_system_sgpr_private_segment_wavefront_offset 0
		.amdhsa_system_sgpr_workgroup_id_x 1
		.amdhsa_system_sgpr_workgroup_id_y 0
		.amdhsa_system_sgpr_workgroup_id_z 0
		.amdhsa_system_sgpr_workgroup_info 0
		.amdhsa_system_vgpr_workitem_id 0
		.amdhsa_next_free_vgpr 65
		.amdhsa_next_free_sgpr 98
		.amdhsa_reserve_vcc 1
		.amdhsa_reserve_flat_scratch 0
		.amdhsa_float_round_mode_32 0
		.amdhsa_float_round_mode_16_64 0
		.amdhsa_float_denorm_mode_32 3
		.amdhsa_float_denorm_mode_16_64 3
		.amdhsa_dx10_clamp 1
		.amdhsa_ieee_mode 1
		.amdhsa_fp16_overflow 0
		.amdhsa_exception_fp_ieee_invalid_op 0
		.amdhsa_exception_fp_denorm_src 0
		.amdhsa_exception_fp_ieee_div_zero 0
		.amdhsa_exception_fp_ieee_overflow 0
		.amdhsa_exception_fp_ieee_underflow 0
		.amdhsa_exception_fp_ieee_inexact 0
		.amdhsa_exception_int_div_zero 0
	.end_amdhsa_kernel
	.section	.text._ZN7rocprim6detail20lookback_scan_kernelILNS0_25lookback_scan_determinismE0ELb0ENS0_19wrapped_scan_configINS_14default_configEmEEPmS6_N6hipcub3SumEmmNS0_19lookback_scan_stateImLb0ELb1EEEEEvT2_T3_mT5_T4_T7_jPT6_SH_bb,"axG",@progbits,_ZN7rocprim6detail20lookback_scan_kernelILNS0_25lookback_scan_determinismE0ELb0ENS0_19wrapped_scan_configINS_14default_configEmEEPmS6_N6hipcub3SumEmmNS0_19lookback_scan_stateImLb0ELb1EEEEEvT2_T3_mT5_T4_T7_jPT6_SH_bb,comdat
.Lfunc_end30:
	.size	_ZN7rocprim6detail20lookback_scan_kernelILNS0_25lookback_scan_determinismE0ELb0ENS0_19wrapped_scan_configINS_14default_configEmEEPmS6_N6hipcub3SumEmmNS0_19lookback_scan_stateImLb0ELb1EEEEEvT2_T3_mT5_T4_T7_jPT6_SH_bb, .Lfunc_end30-_ZN7rocprim6detail20lookback_scan_kernelILNS0_25lookback_scan_determinismE0ELb0ENS0_19wrapped_scan_configINS_14default_configEmEEPmS6_N6hipcub3SumEmmNS0_19lookback_scan_stateImLb0ELb1EEEEEvT2_T3_mT5_T4_T7_jPT6_SH_bb
                                        ; -- End function
	.set _ZN7rocprim6detail20lookback_scan_kernelILNS0_25lookback_scan_determinismE0ELb0ENS0_19wrapped_scan_configINS_14default_configEmEEPmS6_N6hipcub3SumEmmNS0_19lookback_scan_stateImLb0ELb1EEEEEvT2_T3_mT5_T4_T7_jPT6_SH_bb.num_vgpr, 62
	.set _ZN7rocprim6detail20lookback_scan_kernelILNS0_25lookback_scan_determinismE0ELb0ENS0_19wrapped_scan_configINS_14default_configEmEEPmS6_N6hipcub3SumEmmNS0_19lookback_scan_stateImLb0ELb1EEEEEvT2_T3_mT5_T4_T7_jPT6_SH_bb.num_agpr, 0
	.set _ZN7rocprim6detail20lookback_scan_kernelILNS0_25lookback_scan_determinismE0ELb0ENS0_19wrapped_scan_configINS_14default_configEmEEPmS6_N6hipcub3SumEmmNS0_19lookback_scan_stateImLb0ELb1EEEEEvT2_T3_mT5_T4_T7_jPT6_SH_bb.numbered_sgpr, 22
	.set _ZN7rocprim6detail20lookback_scan_kernelILNS0_25lookback_scan_determinismE0ELb0ENS0_19wrapped_scan_configINS_14default_configEmEEPmS6_N6hipcub3SumEmmNS0_19lookback_scan_stateImLb0ELb1EEEEEvT2_T3_mT5_T4_T7_jPT6_SH_bb.num_named_barrier, 0
	.set _ZN7rocprim6detail20lookback_scan_kernelILNS0_25lookback_scan_determinismE0ELb0ENS0_19wrapped_scan_configINS_14default_configEmEEPmS6_N6hipcub3SumEmmNS0_19lookback_scan_stateImLb0ELb1EEEEEvT2_T3_mT5_T4_T7_jPT6_SH_bb.private_seg_size, 0
	.set _ZN7rocprim6detail20lookback_scan_kernelILNS0_25lookback_scan_determinismE0ELb0ENS0_19wrapped_scan_configINS_14default_configEmEEPmS6_N6hipcub3SumEmmNS0_19lookback_scan_stateImLb0ELb1EEEEEvT2_T3_mT5_T4_T7_jPT6_SH_bb.uses_vcc, 1
	.set _ZN7rocprim6detail20lookback_scan_kernelILNS0_25lookback_scan_determinismE0ELb0ENS0_19wrapped_scan_configINS_14default_configEmEEPmS6_N6hipcub3SumEmmNS0_19lookback_scan_stateImLb0ELb1EEEEEvT2_T3_mT5_T4_T7_jPT6_SH_bb.uses_flat_scratch, 0
	.set _ZN7rocprim6detail20lookback_scan_kernelILNS0_25lookback_scan_determinismE0ELb0ENS0_19wrapped_scan_configINS_14default_configEmEEPmS6_N6hipcub3SumEmmNS0_19lookback_scan_stateImLb0ELb1EEEEEvT2_T3_mT5_T4_T7_jPT6_SH_bb.has_dyn_sized_stack, 0
	.set _ZN7rocprim6detail20lookback_scan_kernelILNS0_25lookback_scan_determinismE0ELb0ENS0_19wrapped_scan_configINS_14default_configEmEEPmS6_N6hipcub3SumEmmNS0_19lookback_scan_stateImLb0ELb1EEEEEvT2_T3_mT5_T4_T7_jPT6_SH_bb.has_recursion, 0
	.set _ZN7rocprim6detail20lookback_scan_kernelILNS0_25lookback_scan_determinismE0ELb0ENS0_19wrapped_scan_configINS_14default_configEmEEPmS6_N6hipcub3SumEmmNS0_19lookback_scan_stateImLb0ELb1EEEEEvT2_T3_mT5_T4_T7_jPT6_SH_bb.has_indirect_call, 0
	.section	.AMDGPU.csdata,"",@progbits
; Kernel info:
; codeLenInByte = 5800
; TotalNumSgprs: 26
; NumVgprs: 62
; ScratchSize: 0
; MemoryBound: 0
; FloatMode: 240
; IeeeMode: 1
; LDSByteSize: 7168 bytes/workgroup (compile time only)
; SGPRBlocks: 12
; VGPRBlocks: 16
; NumSGPRsForWavesPerEU: 102
; NumVGPRsForWavesPerEU: 65
; Occupancy: 3
; WaveLimiterHint : 1
; COMPUTE_PGM_RSRC2:SCRATCH_EN: 0
; COMPUTE_PGM_RSRC2:USER_SGPR: 6
; COMPUTE_PGM_RSRC2:TRAP_HANDLER: 0
; COMPUTE_PGM_RSRC2:TGID_X_EN: 1
; COMPUTE_PGM_RSRC2:TGID_Y_EN: 0
; COMPUTE_PGM_RSRC2:TGID_Z_EN: 0
; COMPUTE_PGM_RSRC2:TIDIG_COMP_CNT: 0
	.section	.text._ZN7rocprim6detail16transform_kernelINS0_24wrapped_transform_configINS_14default_configEmEEmPmS5_NS_8identityImEEEEvT1_mT2_T3_,"axG",@progbits,_ZN7rocprim6detail16transform_kernelINS0_24wrapped_transform_configINS_14default_configEmEEmPmS5_NS_8identityImEEEEvT1_mT2_T3_,comdat
	.protected	_ZN7rocprim6detail16transform_kernelINS0_24wrapped_transform_configINS_14default_configEmEEmPmS5_NS_8identityImEEEEvT1_mT2_T3_ ; -- Begin function _ZN7rocprim6detail16transform_kernelINS0_24wrapped_transform_configINS_14default_configEmEEmPmS5_NS_8identityImEEEEvT1_mT2_T3_
	.globl	_ZN7rocprim6detail16transform_kernelINS0_24wrapped_transform_configINS_14default_configEmEEmPmS5_NS_8identityImEEEEvT1_mT2_T3_
	.p2align	8
	.type	_ZN7rocprim6detail16transform_kernelINS0_24wrapped_transform_configINS_14default_configEmEEmPmS5_NS_8identityImEEEEvT1_mT2_T3_,@function
_ZN7rocprim6detail16transform_kernelINS0_24wrapped_transform_configINS_14default_configEmEEmPmS5_NS_8identityImEEEEvT1_mT2_T3_: ; @_ZN7rocprim6detail16transform_kernelINS0_24wrapped_transform_configINS_14default_configEmEEmPmS5_NS_8identityImEEEEvT1_mT2_T3_
; %bb.0:
	s_load_dword s7, s[4:5], 0x20
	s_load_dwordx4 s[0:3], s[4:5], 0x0
	s_lshl_b32 s8, s6, 9
	s_waitcnt lgkmcnt(0)
	s_add_i32 s7, s7, -1
	s_cmp_lg_u32 s6, s7
	s_cselect_b64 s[6:7], -1, 0
	s_sub_i32 s2, s2, s8
	v_cmp_gt_u32_e32 vcc, s2, v0
	s_or_b64 s[2:3], vcc, s[6:7]
	s_and_saveexec_b64 s[6:7], s[2:3]
	s_cbranch_execz .LBB31_2
; %bb.1:
	s_load_dwordx2 s[2:3], s[4:5], 0x10
	s_mov_b32 s9, 0
	s_lshl_b64 s[4:5], s[8:9], 3
	v_lshlrev_b32_e32 v2, 3, v0
	s_waitcnt lgkmcnt(0)
	s_add_u32 s2, s2, s4
	s_addc_u32 s3, s3, s5
	s_add_u32 s0, s0, s4
	s_addc_u32 s1, s1, s5
	global_load_dwordx2 v[0:1], v2, s[0:1]
	s_waitcnt vmcnt(0)
	global_store_dwordx2 v2, v[0:1], s[2:3]
.LBB31_2:
	s_endpgm
	.section	.rodata,"a",@progbits
	.p2align	6, 0x0
	.amdhsa_kernel _ZN7rocprim6detail16transform_kernelINS0_24wrapped_transform_configINS_14default_configEmEEmPmS5_NS_8identityImEEEEvT1_mT2_T3_
		.amdhsa_group_segment_fixed_size 0
		.amdhsa_private_segment_fixed_size 0
		.amdhsa_kernarg_size 288
		.amdhsa_user_sgpr_count 6
		.amdhsa_user_sgpr_private_segment_buffer 1
		.amdhsa_user_sgpr_dispatch_ptr 0
		.amdhsa_user_sgpr_queue_ptr 0
		.amdhsa_user_sgpr_kernarg_segment_ptr 1
		.amdhsa_user_sgpr_dispatch_id 0
		.amdhsa_user_sgpr_flat_scratch_init 0
		.amdhsa_user_sgpr_private_segment_size 0
		.amdhsa_uses_dynamic_stack 0
		.amdhsa_system_sgpr_private_segment_wavefront_offset 0
		.amdhsa_system_sgpr_workgroup_id_x 1
		.amdhsa_system_sgpr_workgroup_id_y 0
		.amdhsa_system_sgpr_workgroup_id_z 0
		.amdhsa_system_sgpr_workgroup_info 0
		.amdhsa_system_vgpr_workitem_id 0
		.amdhsa_next_free_vgpr 3
		.amdhsa_next_free_sgpr 10
		.amdhsa_reserve_vcc 1
		.amdhsa_reserve_flat_scratch 0
		.amdhsa_float_round_mode_32 0
		.amdhsa_float_round_mode_16_64 0
		.amdhsa_float_denorm_mode_32 3
		.amdhsa_float_denorm_mode_16_64 3
		.amdhsa_dx10_clamp 1
		.amdhsa_ieee_mode 1
		.amdhsa_fp16_overflow 0
		.amdhsa_exception_fp_ieee_invalid_op 0
		.amdhsa_exception_fp_denorm_src 0
		.amdhsa_exception_fp_ieee_div_zero 0
		.amdhsa_exception_fp_ieee_overflow 0
		.amdhsa_exception_fp_ieee_underflow 0
		.amdhsa_exception_fp_ieee_inexact 0
		.amdhsa_exception_int_div_zero 0
	.end_amdhsa_kernel
	.section	.text._ZN7rocprim6detail16transform_kernelINS0_24wrapped_transform_configINS_14default_configEmEEmPmS5_NS_8identityImEEEEvT1_mT2_T3_,"axG",@progbits,_ZN7rocprim6detail16transform_kernelINS0_24wrapped_transform_configINS_14default_configEmEEmPmS5_NS_8identityImEEEEvT1_mT2_T3_,comdat
.Lfunc_end31:
	.size	_ZN7rocprim6detail16transform_kernelINS0_24wrapped_transform_configINS_14default_configEmEEmPmS5_NS_8identityImEEEEvT1_mT2_T3_, .Lfunc_end31-_ZN7rocprim6detail16transform_kernelINS0_24wrapped_transform_configINS_14default_configEmEEmPmS5_NS_8identityImEEEEvT1_mT2_T3_
                                        ; -- End function
	.set _ZN7rocprim6detail16transform_kernelINS0_24wrapped_transform_configINS_14default_configEmEEmPmS5_NS_8identityImEEEEvT1_mT2_T3_.num_vgpr, 3
	.set _ZN7rocprim6detail16transform_kernelINS0_24wrapped_transform_configINS_14default_configEmEEmPmS5_NS_8identityImEEEEvT1_mT2_T3_.num_agpr, 0
	.set _ZN7rocprim6detail16transform_kernelINS0_24wrapped_transform_configINS_14default_configEmEEmPmS5_NS_8identityImEEEEvT1_mT2_T3_.numbered_sgpr, 10
	.set _ZN7rocprim6detail16transform_kernelINS0_24wrapped_transform_configINS_14default_configEmEEmPmS5_NS_8identityImEEEEvT1_mT2_T3_.num_named_barrier, 0
	.set _ZN7rocprim6detail16transform_kernelINS0_24wrapped_transform_configINS_14default_configEmEEmPmS5_NS_8identityImEEEEvT1_mT2_T3_.private_seg_size, 0
	.set _ZN7rocprim6detail16transform_kernelINS0_24wrapped_transform_configINS_14default_configEmEEmPmS5_NS_8identityImEEEEvT1_mT2_T3_.uses_vcc, 1
	.set _ZN7rocprim6detail16transform_kernelINS0_24wrapped_transform_configINS_14default_configEmEEmPmS5_NS_8identityImEEEEvT1_mT2_T3_.uses_flat_scratch, 0
	.set _ZN7rocprim6detail16transform_kernelINS0_24wrapped_transform_configINS_14default_configEmEEmPmS5_NS_8identityImEEEEvT1_mT2_T3_.has_dyn_sized_stack, 0
	.set _ZN7rocprim6detail16transform_kernelINS0_24wrapped_transform_configINS_14default_configEmEEmPmS5_NS_8identityImEEEEvT1_mT2_T3_.has_recursion, 0
	.set _ZN7rocprim6detail16transform_kernelINS0_24wrapped_transform_configINS_14default_configEmEEmPmS5_NS_8identityImEEEEvT1_mT2_T3_.has_indirect_call, 0
	.section	.AMDGPU.csdata,"",@progbits
; Kernel info:
; codeLenInByte = 120
; TotalNumSgprs: 14
; NumVgprs: 3
; ScratchSize: 0
; MemoryBound: 0
; FloatMode: 240
; IeeeMode: 1
; LDSByteSize: 0 bytes/workgroup (compile time only)
; SGPRBlocks: 1
; VGPRBlocks: 0
; NumSGPRsForWavesPerEU: 14
; NumVGPRsForWavesPerEU: 3
; Occupancy: 10
; WaveLimiterHint : 0
; COMPUTE_PGM_RSRC2:SCRATCH_EN: 0
; COMPUTE_PGM_RSRC2:USER_SGPR: 6
; COMPUTE_PGM_RSRC2:TRAP_HANDLER: 0
; COMPUTE_PGM_RSRC2:TGID_X_EN: 1
; COMPUTE_PGM_RSRC2:TGID_Y_EN: 0
; COMPUTE_PGM_RSRC2:TGID_Z_EN: 0
; COMPUTE_PGM_RSRC2:TIDIG_COMP_CNT: 0
	.section	.text._ZN7rocprim6detail18single_scan_kernelILb0ENS0_19wrapped_scan_configINS_14default_configEmEEPmS5_N6hipcub3SumEmmEEvT1_mT4_T2_T3_,"axG",@progbits,_ZN7rocprim6detail18single_scan_kernelILb0ENS0_19wrapped_scan_configINS_14default_configEmEEPmS5_N6hipcub3SumEmmEEvT1_mT4_T2_T3_,comdat
	.protected	_ZN7rocprim6detail18single_scan_kernelILb0ENS0_19wrapped_scan_configINS_14default_configEmEEPmS5_N6hipcub3SumEmmEEvT1_mT4_T2_T3_ ; -- Begin function _ZN7rocprim6detail18single_scan_kernelILb0ENS0_19wrapped_scan_configINS_14default_configEmEEPmS5_N6hipcub3SumEmmEEvT1_mT4_T2_T3_
	.globl	_ZN7rocprim6detail18single_scan_kernelILb0ENS0_19wrapped_scan_configINS_14default_configEmEEPmS5_N6hipcub3SumEmmEEvT1_mT4_T2_T3_
	.p2align	8
	.type	_ZN7rocprim6detail18single_scan_kernelILb0ENS0_19wrapped_scan_configINS_14default_configEmEEPmS5_N6hipcub3SumEmmEEvT1_mT4_T2_T3_,@function
_ZN7rocprim6detail18single_scan_kernelILb0ENS0_19wrapped_scan_configINS_14default_configEmEEPmS5_N6hipcub3SumEmmEEvT1_mT4_T2_T3_: ; @_ZN7rocprim6detail18single_scan_kernelILb0ENS0_19wrapped_scan_configINS_14default_configEmEEPmS5_N6hipcub3SumEmmEEvT1_mT4_T2_T3_
; %bb.0:
	s_load_dwordx4 s[24:27], s[4:5], 0x0
	v_lshlrev_b32_e32 v33, 3, v0
	s_waitcnt lgkmcnt(0)
	s_load_dwordx2 s[30:31], s[24:25], 0x0
	v_mov_b32_e32 v1, s25
	v_add_co_u32_e32 v3, vcc, s24, v33
	v_addc_co_u32_e32 v4, vcc, 0, v1, vcc
	s_waitcnt lgkmcnt(0)
	v_mov_b32_e32 v1, s30
	v_cmp_gt_u32_e64 s[0:1], s26, v0
	v_mov_b32_e32 v2, s31
	s_and_saveexec_b64 s[2:3], s[0:1]
	s_cbranch_execz .LBB32_2
; %bb.1:
	global_load_dwordx2 v[1:2], v[3:4], off
.LBB32_2:
	s_or_b64 exec, exec, s[2:3]
	v_or_b32_e32 v5, 64, v0
	v_cmp_gt_u32_e64 s[2:3], s26, v5
	v_mov_b32_e32 v5, s30
	v_mov_b32_e32 v6, s31
	s_and_saveexec_b64 s[6:7], s[2:3]
	s_cbranch_execz .LBB32_4
; %bb.3:
	global_load_dwordx2 v[5:6], v[3:4], off offset:512
.LBB32_4:
	s_or_b64 exec, exec, s[6:7]
	v_or_b32_e32 v7, 0x80, v0
	v_cmp_gt_u32_e64 s[28:29], s26, v7
	v_mov_b32_e32 v7, s30
	v_mov_b32_e32 v8, s31
	s_and_saveexec_b64 s[6:7], s[28:29]
	s_cbranch_execz .LBB32_6
; %bb.5:
	global_load_dwordx2 v[7:8], v[3:4], off offset:1024
.LBB32_6:
	;; [unrolled: 10-line block ×7, first 2 shown]
	s_or_b64 exec, exec, s[16:17]
	v_or_b32_e32 v19, 0x200, v0
	v_cmp_gt_u32_e64 s[16:17], s26, v19
	v_mov_b32_e32 v19, s30
	v_mov_b32_e32 v20, s31
	s_and_saveexec_b64 s[18:19], s[16:17]
	s_cbranch_execz .LBB32_18
; %bb.17:
	v_add_co_u32_e32 v19, vcc, 0x1000, v3
	v_addc_co_u32_e32 v20, vcc, 0, v4, vcc
	global_load_dwordx2 v[19:20], v[19:20], off
.LBB32_18:
	s_or_b64 exec, exec, s[18:19]
	v_or_b32_e32 v21, 0x240, v0
	v_cmp_gt_u32_e64 s[18:19], s26, v21
	v_mov_b32_e32 v21, s30
	v_mov_b32_e32 v22, s31
	s_and_saveexec_b64 s[20:21], s[18:19]
	s_cbranch_execz .LBB32_20
; %bb.19:
	v_add_co_u32_e32 v21, vcc, 0x1000, v3
	v_addc_co_u32_e32 v22, vcc, 0, v4, vcc
	global_load_dwordx2 v[21:22], v[21:22], off offset:512
.LBB32_20:
	s_or_b64 exec, exec, s[20:21]
	v_or_b32_e32 v23, 0x280, v0
	v_cmp_gt_u32_e64 s[20:21], s26, v23
	v_mov_b32_e32 v23, s30
	v_mov_b32_e32 v24, s31
	s_and_saveexec_b64 s[22:23], s[20:21]
	s_cbranch_execz .LBB32_22
; %bb.21:
	v_add_co_u32_e32 v23, vcc, 0x1000, v3
	v_addc_co_u32_e32 v24, vcc, 0, v4, vcc
	global_load_dwordx2 v[23:24], v[23:24], off offset:1024
.LBB32_22:
	;; [unrolled: 12-line block ×5, first 2 shown]
	s_or_b64 exec, exec, s[30:31]
	s_movk_i32 s30, 0x68
	s_waitcnt vmcnt(0)
	ds_write2st64_b64 v33, v[1:2], v[5:6] offset1:1
	ds_write2st64_b64 v33, v[7:8], v[9:10] offset0:2 offset1:3
	ds_write2st64_b64 v33, v[11:12], v[13:14] offset0:4 offset1:5
	;; [unrolled: 1-line block ×6, first 2 shown]
	v_mad_u32_u24 v25, v0, s30, v33
	s_waitcnt lgkmcnt(0)
	; wave barrier
	ds_read_b128 v[13:16], v25
	ds_read_b128 v[9:12], v25 offset:16
	ds_read_b128 v[5:8], v25 offset:32
	;; [unrolled: 1-line block ×6, first 2 shown]
	s_waitcnt lgkmcnt(6)
	v_add_co_u32_e32 v29, vcc, v15, v13
	v_addc_co_u32_e32 v30, vcc, v16, v14, vcc
	s_waitcnt lgkmcnt(5)
	v_add_co_u32_e32 v29, vcc, v29, v9
	v_addc_co_u32_e32 v30, vcc, v30, v10, vcc
	v_add_co_u32_e32 v29, vcc, v29, v11
	v_addc_co_u32_e32 v30, vcc, v30, v12, vcc
	s_waitcnt lgkmcnt(4)
	v_add_co_u32_e32 v29, vcc, v29, v5
	v_addc_co_u32_e32 v30, vcc, v30, v6, vcc
	;; [unrolled: 5-line block ×6, first 2 shown]
	v_add_co_u32_e32 v29, vcc, v29, v27
	v_mbcnt_lo_u32_b32 v31, -1, 0
	v_addc_co_u32_e32 v30, vcc, v30, v28, vcc
	v_mbcnt_hi_u32_b32 v34, -1, v31
	v_and_b32_e32 v35, 15, v34
	v_mov_b32_e32 v32, v30
	v_mov_b32_dpp v37, v29 row_shr:1 row_mask:0xf bank_mask:0xf
	v_mov_b32_dpp v36, v30 row_shr:1 row_mask:0xf bank_mask:0xf
	v_cmp_ne_u32_e32 vcc, 0, v35
	v_mov_b32_e32 v31, v29
	; wave barrier
	s_and_saveexec_b64 s[30:31], vcc
; %bb.29:
	v_add_co_u32_e32 v29, vcc, v29, v37
	v_addc_co_u32_e32 v30, vcc, 0, v30, vcc
	v_add_co_u32_e32 v31, vcc, 0, v29
	v_addc_co_u32_e32 v32, vcc, v36, v30, vcc
	v_mov_b32_e32 v30, v32
; %bb.30:
	s_or_b64 exec, exec, s[30:31]
	v_mov_b32_dpp v37, v29 row_shr:2 row_mask:0xf bank_mask:0xf
	v_mov_b32_dpp v36, v30 row_shr:2 row_mask:0xf bank_mask:0xf
	v_cmp_lt_u32_e32 vcc, 1, v35
	s_and_saveexec_b64 s[30:31], vcc
; %bb.31:
	v_add_co_u32_e32 v29, vcc, v31, v37
	v_addc_co_u32_e32 v30, vcc, 0, v32, vcc
	v_add_co_u32_e32 v31, vcc, 0, v29
	v_addc_co_u32_e32 v32, vcc, v36, v30, vcc
	v_mov_b32_e32 v30, v32
; %bb.32:
	s_or_b64 exec, exec, s[30:31]
	v_mov_b32_dpp v37, v29 row_shr:4 row_mask:0xf bank_mask:0xf
	v_mov_b32_dpp v36, v30 row_shr:4 row_mask:0xf bank_mask:0xf
	v_cmp_lt_u32_e32 vcc, 3, v35
	;; [unrolled: 12-line block ×3, first 2 shown]
	s_and_saveexec_b64 s[30:31], vcc
; %bb.35:
	v_add_co_u32_e32 v29, vcc, v31, v37
	v_addc_co_u32_e32 v30, vcc, 0, v32, vcc
	v_add_co_u32_e32 v31, vcc, 0, v29
	v_addc_co_u32_e32 v32, vcc, v36, v30, vcc
	v_mov_b32_e32 v30, v32
; %bb.36:
	s_or_b64 exec, exec, s[30:31]
	v_and_b32_e32 v37, 16, v34
	v_mov_b32_dpp v36, v29 row_bcast:15 row_mask:0xf bank_mask:0xf
	v_mov_b32_dpp v35, v30 row_bcast:15 row_mask:0xf bank_mask:0xf
	v_cmp_ne_u32_e32 vcc, 0, v37
	s_and_saveexec_b64 s[30:31], vcc
; %bb.37:
	v_add_co_u32_e32 v29, vcc, v31, v36
	v_addc_co_u32_e32 v30, vcc, 0, v32, vcc
	v_add_co_u32_e32 v31, vcc, 0, v29
	v_addc_co_u32_e32 v32, vcc, v35, v30, vcc
	v_mov_b32_e32 v30, v32
; %bb.38:
	s_or_b64 exec, exec, s[30:31]
	v_mov_b32_dpp v36, v29 row_bcast:31 row_mask:0xf bank_mask:0xf
	v_mov_b32_dpp v35, v30 row_bcast:31 row_mask:0xf bank_mask:0xf
	v_cmp_lt_u32_e32 vcc, 31, v34
	s_and_saveexec_b64 s[30:31], vcc
; %bb.39:
	v_add_co_u32_e32 v29, vcc, v31, v36
	v_addc_co_u32_e32 v30, vcc, 0, v32, vcc
	v_add_co_u32_e32 v31, vcc, 0, v29
	v_addc_co_u32_e32 v32, vcc, v35, v30, vcc
	v_mov_b32_e32 v30, v32
; %bb.40:
	s_or_b64 exec, exec, s[30:31]
	v_mul_u32_u24_e32 v35, 0x68, v0
	v_cmp_eq_u32_e32 vcc, 63, v0
	s_and_saveexec_b64 s[30:31], vcc
; %bb.41:
	v_mov_b32_e32 v36, 0
	ds_write_b64 v36, v[31:32]
; %bb.42:
	s_or_b64 exec, exec, s[30:31]
	v_add_u32_e32 v31, -1, v34
	v_and_b32_e32 v32, 64, v34
	v_cmp_lt_i32_e32 vcc, v31, v32
	v_cndmask_b32_e32 v31, v31, v34, vcc
	v_lshlrev_b32_e32 v31, 2, v31
	ds_bpermute_b32 v29, v31, v29
	ds_bpermute_b32 v30, v31, v30
	v_cmp_ne_u32_e32 vcc, 0, v0
	s_waitcnt lgkmcnt(0)
	; wave barrier
	v_cndmask_b32_e32 v29, 0, v29, vcc
	v_cndmask_b32_e32 v30, 0, v30, vcc
	v_add_co_u32_e32 v13, vcc, v29, v13
	v_addc_co_u32_e32 v14, vcc, v30, v14, vcc
	v_add_co_u32_e32 v15, vcc, v13, v15
	v_addc_co_u32_e32 v16, vcc, v14, v16, vcc
	;; [unrolled: 2-line block ×13, first 2 shown]
	v_add_co_u32_e32 v27, vcc, v25, v27
	v_add_u32_e32 v29, v33, v35
	v_addc_co_u32_e32 v28, vcc, v26, v28, vcc
	; wave barrier
	ds_write_b128 v29, v[13:16]
	ds_write_b128 v29, v[9:12] offset:16
	ds_write_b128 v29, v[5:8] offset:32
	;; [unrolled: 1-line block ×6, first 2 shown]
	s_waitcnt lgkmcnt(0)
	; wave barrier
	ds_read2st64_b64 v[21:24], v33 offset0:1 offset1:2
	ds_read2st64_b64 v[17:20], v33 offset0:3 offset1:4
	;; [unrolled: 1-line block ×6, first 2 shown]
	ds_read_b64 v[25:26], v33 offset:6656
	s_load_dwordx2 s[4:5], s[4:5], 0x18
	v_lshlrev_b32_e32 v0, 3, v0
	s_waitcnt lgkmcnt(0)
	v_mov_b32_e32 v28, s5
	v_add_co_u32_e32 v27, vcc, s4, v0
	v_addc_co_u32_e32 v28, vcc, 0, v28, vcc
	s_and_saveexec_b64 s[4:5], s[0:1]
	s_cbranch_execnz .LBB32_57
; %bb.43:
	s_or_b64 exec, exec, s[4:5]
	s_and_saveexec_b64 s[0:1], s[2:3]
	s_cbranch_execnz .LBB32_58
.LBB32_44:
	s_or_b64 exec, exec, s[0:1]
	s_and_saveexec_b64 s[0:1], s[28:29]
	s_cbranch_execnz .LBB32_59
.LBB32_45:
	s_or_b64 exec, exec, s[0:1]
	s_and_saveexec_b64 s[0:1], s[6:7]
	s_cbranch_execnz .LBB32_60
.LBB32_46:
	s_or_b64 exec, exec, s[0:1]
	s_and_saveexec_b64 s[0:1], s[8:9]
	s_cbranch_execnz .LBB32_61
.LBB32_47:
	s_or_b64 exec, exec, s[0:1]
	s_and_saveexec_b64 s[0:1], s[10:11]
	s_cbranch_execnz .LBB32_62
.LBB32_48:
	s_or_b64 exec, exec, s[0:1]
	s_and_saveexec_b64 s[0:1], s[12:13]
	s_cbranch_execnz .LBB32_63
.LBB32_49:
	s_or_b64 exec, exec, s[0:1]
	s_and_saveexec_b64 s[0:1], s[14:15]
	s_cbranch_execnz .LBB32_64
.LBB32_50:
	s_or_b64 exec, exec, s[0:1]
	s_and_saveexec_b64 s[0:1], s[16:17]
	s_cbranch_execnz .LBB32_65
.LBB32_51:
	s_or_b64 exec, exec, s[0:1]
	s_and_saveexec_b64 s[0:1], s[18:19]
	s_cbranch_execnz .LBB32_66
.LBB32_52:
	s_or_b64 exec, exec, s[0:1]
	s_and_saveexec_b64 s[0:1], s[20:21]
	s_cbranch_execnz .LBB32_67
.LBB32_53:
	s_or_b64 exec, exec, s[0:1]
	s_and_saveexec_b64 s[0:1], s[22:23]
	s_cbranch_execnz .LBB32_68
.LBB32_54:
	s_or_b64 exec, exec, s[0:1]
	s_and_saveexec_b64 s[0:1], s[24:25]
	s_cbranch_execnz .LBB32_69
.LBB32_55:
	s_or_b64 exec, exec, s[0:1]
	s_and_saveexec_b64 s[0:1], s[26:27]
	s_cbranch_execnz .LBB32_70
.LBB32_56:
	s_endpgm
.LBB32_57:
	ds_read_b64 v[29:30], v33
	s_waitcnt lgkmcnt(0)
	global_store_dwordx2 v[27:28], v[29:30], off
	s_or_b64 exec, exec, s[4:5]
	s_and_saveexec_b64 s[0:1], s[2:3]
	s_cbranch_execz .LBB32_44
.LBB32_58:
	global_store_dwordx2 v[27:28], v[21:22], off offset:512
	s_or_b64 exec, exec, s[0:1]
	s_and_saveexec_b64 s[0:1], s[28:29]
	s_cbranch_execz .LBB32_45
.LBB32_59:
	global_store_dwordx2 v[27:28], v[23:24], off offset:1024
	s_or_b64 exec, exec, s[0:1]
	s_and_saveexec_b64 s[0:1], s[6:7]
	s_cbranch_execz .LBB32_46
.LBB32_60:
	global_store_dwordx2 v[27:28], v[17:18], off offset:1536
	s_or_b64 exec, exec, s[0:1]
	s_and_saveexec_b64 s[0:1], s[8:9]
	s_cbranch_execz .LBB32_47
.LBB32_61:
	global_store_dwordx2 v[27:28], v[19:20], off offset:2048
	s_or_b64 exec, exec, s[0:1]
	s_and_saveexec_b64 s[0:1], s[10:11]
	s_cbranch_execz .LBB32_48
.LBB32_62:
	global_store_dwordx2 v[27:28], v[13:14], off offset:2560
	s_or_b64 exec, exec, s[0:1]
	s_and_saveexec_b64 s[0:1], s[12:13]
	s_cbranch_execz .LBB32_49
.LBB32_63:
	global_store_dwordx2 v[27:28], v[15:16], off offset:3072
	s_or_b64 exec, exec, s[0:1]
	s_and_saveexec_b64 s[0:1], s[14:15]
	s_cbranch_execz .LBB32_50
.LBB32_64:
	global_store_dwordx2 v[27:28], v[9:10], off offset:3584
	s_or_b64 exec, exec, s[0:1]
	s_and_saveexec_b64 s[0:1], s[16:17]
	s_cbranch_execz .LBB32_51
.LBB32_65:
	v_add_co_u32_e32 v9, vcc, 0x1000, v27
	v_addc_co_u32_e32 v10, vcc, 0, v28, vcc
	global_store_dwordx2 v[9:10], v[11:12], off
	s_or_b64 exec, exec, s[0:1]
	s_and_saveexec_b64 s[0:1], s[18:19]
	s_cbranch_execz .LBB32_52
.LBB32_66:
	v_add_co_u32_e32 v9, vcc, 0x1000, v27
	v_addc_co_u32_e32 v10, vcc, 0, v28, vcc
	global_store_dwordx2 v[9:10], v[5:6], off offset:512
	s_or_b64 exec, exec, s[0:1]
	s_and_saveexec_b64 s[0:1], s[20:21]
	s_cbranch_execz .LBB32_53
.LBB32_67:
	v_add_co_u32_e32 v5, vcc, 0x1000, v27
	v_addc_co_u32_e32 v6, vcc, 0, v28, vcc
	global_store_dwordx2 v[5:6], v[7:8], off offset:1024
	s_or_b64 exec, exec, s[0:1]
	s_and_saveexec_b64 s[0:1], s[22:23]
	s_cbranch_execz .LBB32_54
.LBB32_68:
	v_add_co_u32_e32 v5, vcc, 0x1000, v27
	v_addc_co_u32_e32 v6, vcc, 0, v28, vcc
	global_store_dwordx2 v[5:6], v[1:2], off offset:1536
	s_or_b64 exec, exec, s[0:1]
	s_and_saveexec_b64 s[0:1], s[24:25]
	s_cbranch_execz .LBB32_55
.LBB32_69:
	v_add_co_u32_e32 v0, vcc, 0x1000, v27
	v_addc_co_u32_e32 v1, vcc, 0, v28, vcc
	global_store_dwordx2 v[0:1], v[3:4], off offset:2048
	s_or_b64 exec, exec, s[0:1]
	s_and_saveexec_b64 s[0:1], s[26:27]
	s_cbranch_execz .LBB32_56
.LBB32_70:
	v_add_co_u32_e32 v0, vcc, 0x1000, v27
	v_addc_co_u32_e32 v1, vcc, 0, v28, vcc
	global_store_dwordx2 v[0:1], v[25:26], off offset:2560
	s_endpgm
	.section	.rodata,"a",@progbits
	.p2align	6, 0x0
	.amdhsa_kernel _ZN7rocprim6detail18single_scan_kernelILb0ENS0_19wrapped_scan_configINS_14default_configEmEEPmS5_N6hipcub3SumEmmEEvT1_mT4_T2_T3_
		.amdhsa_group_segment_fixed_size 7168
		.amdhsa_private_segment_fixed_size 0
		.amdhsa_kernarg_size 36
		.amdhsa_user_sgpr_count 6
		.amdhsa_user_sgpr_private_segment_buffer 1
		.amdhsa_user_sgpr_dispatch_ptr 0
		.amdhsa_user_sgpr_queue_ptr 0
		.amdhsa_user_sgpr_kernarg_segment_ptr 1
		.amdhsa_user_sgpr_dispatch_id 0
		.amdhsa_user_sgpr_flat_scratch_init 0
		.amdhsa_user_sgpr_private_segment_size 0
		.amdhsa_uses_dynamic_stack 0
		.amdhsa_system_sgpr_private_segment_wavefront_offset 0
		.amdhsa_system_sgpr_workgroup_id_x 1
		.amdhsa_system_sgpr_workgroup_id_y 0
		.amdhsa_system_sgpr_workgroup_id_z 0
		.amdhsa_system_sgpr_workgroup_info 0
		.amdhsa_system_vgpr_workitem_id 0
		.amdhsa_next_free_vgpr 65
		.amdhsa_next_free_sgpr 98
		.amdhsa_reserve_vcc 1
		.amdhsa_reserve_flat_scratch 0
		.amdhsa_float_round_mode_32 0
		.amdhsa_float_round_mode_16_64 0
		.amdhsa_float_denorm_mode_32 3
		.amdhsa_float_denorm_mode_16_64 3
		.amdhsa_dx10_clamp 1
		.amdhsa_ieee_mode 1
		.amdhsa_fp16_overflow 0
		.amdhsa_exception_fp_ieee_invalid_op 0
		.amdhsa_exception_fp_denorm_src 0
		.amdhsa_exception_fp_ieee_div_zero 0
		.amdhsa_exception_fp_ieee_overflow 0
		.amdhsa_exception_fp_ieee_underflow 0
		.amdhsa_exception_fp_ieee_inexact 0
		.amdhsa_exception_int_div_zero 0
	.end_amdhsa_kernel
	.section	.text._ZN7rocprim6detail18single_scan_kernelILb0ENS0_19wrapped_scan_configINS_14default_configEmEEPmS5_N6hipcub3SumEmmEEvT1_mT4_T2_T3_,"axG",@progbits,_ZN7rocprim6detail18single_scan_kernelILb0ENS0_19wrapped_scan_configINS_14default_configEmEEPmS5_N6hipcub3SumEmmEEvT1_mT4_T2_T3_,comdat
.Lfunc_end32:
	.size	_ZN7rocprim6detail18single_scan_kernelILb0ENS0_19wrapped_scan_configINS_14default_configEmEEPmS5_N6hipcub3SumEmmEEvT1_mT4_T2_T3_, .Lfunc_end32-_ZN7rocprim6detail18single_scan_kernelILb0ENS0_19wrapped_scan_configINS_14default_configEmEEPmS5_N6hipcub3SumEmmEEvT1_mT4_T2_T3_
                                        ; -- End function
	.set _ZN7rocprim6detail18single_scan_kernelILb0ENS0_19wrapped_scan_configINS_14default_configEmEEPmS5_N6hipcub3SumEmmEEvT1_mT4_T2_T3_.num_vgpr, 38
	.set _ZN7rocprim6detail18single_scan_kernelILb0ENS0_19wrapped_scan_configINS_14default_configEmEEPmS5_N6hipcub3SumEmmEEvT1_mT4_T2_T3_.num_agpr, 0
	.set _ZN7rocprim6detail18single_scan_kernelILb0ENS0_19wrapped_scan_configINS_14default_configEmEEPmS5_N6hipcub3SumEmmEEvT1_mT4_T2_T3_.numbered_sgpr, 36
	.set _ZN7rocprim6detail18single_scan_kernelILb0ENS0_19wrapped_scan_configINS_14default_configEmEEPmS5_N6hipcub3SumEmmEEvT1_mT4_T2_T3_.num_named_barrier, 0
	.set _ZN7rocprim6detail18single_scan_kernelILb0ENS0_19wrapped_scan_configINS_14default_configEmEEPmS5_N6hipcub3SumEmmEEvT1_mT4_T2_T3_.private_seg_size, 0
	.set _ZN7rocprim6detail18single_scan_kernelILb0ENS0_19wrapped_scan_configINS_14default_configEmEEPmS5_N6hipcub3SumEmmEEvT1_mT4_T2_T3_.uses_vcc, 1
	.set _ZN7rocprim6detail18single_scan_kernelILb0ENS0_19wrapped_scan_configINS_14default_configEmEEPmS5_N6hipcub3SumEmmEEvT1_mT4_T2_T3_.uses_flat_scratch, 0
	.set _ZN7rocprim6detail18single_scan_kernelILb0ENS0_19wrapped_scan_configINS_14default_configEmEEPmS5_N6hipcub3SumEmmEEvT1_mT4_T2_T3_.has_dyn_sized_stack, 0
	.set _ZN7rocprim6detail18single_scan_kernelILb0ENS0_19wrapped_scan_configINS_14default_configEmEEPmS5_N6hipcub3SumEmmEEvT1_mT4_T2_T3_.has_recursion, 0
	.set _ZN7rocprim6detail18single_scan_kernelILb0ENS0_19wrapped_scan_configINS_14default_configEmEEPmS5_N6hipcub3SumEmmEEvT1_mT4_T2_T3_.has_indirect_call, 0
	.section	.AMDGPU.csdata,"",@progbits
; Kernel info:
; codeLenInByte = 2168
; TotalNumSgprs: 40
; NumVgprs: 38
; ScratchSize: 0
; MemoryBound: 0
; FloatMode: 240
; IeeeMode: 1
; LDSByteSize: 7168 bytes/workgroup (compile time only)
; SGPRBlocks: 12
; VGPRBlocks: 16
; NumSGPRsForWavesPerEU: 102
; NumVGPRsForWavesPerEU: 65
; Occupancy: 3
; WaveLimiterHint : 0
; COMPUTE_PGM_RSRC2:SCRATCH_EN: 0
; COMPUTE_PGM_RSRC2:USER_SGPR: 6
; COMPUTE_PGM_RSRC2:TRAP_HANDLER: 0
; COMPUTE_PGM_RSRC2:TGID_X_EN: 1
; COMPUTE_PGM_RSRC2:TGID_Y_EN: 0
; COMPUTE_PGM_RSRC2:TGID_Z_EN: 0
; COMPUTE_PGM_RSRC2:TIDIG_COMP_CNT: 0
	.section	.text._ZN7rocprim6detail31init_lookback_scan_state_kernelINS0_19lookback_scan_stateIyLb1ELb1EEEEEvT_jjPNS4_10value_typeE,"axG",@progbits,_ZN7rocprim6detail31init_lookback_scan_state_kernelINS0_19lookback_scan_stateIyLb1ELb1EEEEEvT_jjPNS4_10value_typeE,comdat
	.protected	_ZN7rocprim6detail31init_lookback_scan_state_kernelINS0_19lookback_scan_stateIyLb1ELb1EEEEEvT_jjPNS4_10value_typeE ; -- Begin function _ZN7rocprim6detail31init_lookback_scan_state_kernelINS0_19lookback_scan_stateIyLb1ELb1EEEEEvT_jjPNS4_10value_typeE
	.globl	_ZN7rocprim6detail31init_lookback_scan_state_kernelINS0_19lookback_scan_stateIyLb1ELb1EEEEEvT_jjPNS4_10value_typeE
	.p2align	8
	.type	_ZN7rocprim6detail31init_lookback_scan_state_kernelINS0_19lookback_scan_stateIyLb1ELb1EEEEEvT_jjPNS4_10value_typeE,@function
_ZN7rocprim6detail31init_lookback_scan_state_kernelINS0_19lookback_scan_stateIyLb1ELb1EEEEEvT_jjPNS4_10value_typeE: ; @_ZN7rocprim6detail31init_lookback_scan_state_kernelINS0_19lookback_scan_stateIyLb1ELb1EEEEEvT_jjPNS4_10value_typeE
; %bb.0:
	s_load_dword s7, s[4:5], 0x24
	s_load_dwordx2 s[8:9], s[4:5], 0x10
	s_load_dwordx4 s[0:3], s[4:5], 0x0
	s_waitcnt lgkmcnt(0)
	s_and_b32 s4, s7, 0xffff
	s_mul_i32 s6, s6, s4
	s_cmp_eq_u64 s[8:9], 0
	v_add_u32_e32 v0, s6, v0
	s_cbranch_scc1 .LBB33_10
; %bb.1:
	s_cmp_lt_u32 s3, s2
	s_cselect_b32 s4, s3, 0
	s_mov_b32 s7, 0
	v_cmp_eq_u32_e32 vcc, s4, v0
	s_and_saveexec_b64 s[4:5], vcc
	s_cbranch_execz .LBB33_9
; %bb.2:
	s_add_i32 s6, s3, 64
	s_lshl_b64 s[6:7], s[6:7], 4
	s_add_u32 s12, s0, s6
	s_addc_u32 s13, s1, s7
	v_mov_b32_e32 v1, s12
	v_mov_b32_e32 v2, s13
	;;#ASMSTART
	global_load_dwordx4 v[1:4], v[1:2] off glc	
s_waitcnt vmcnt(0)
	;;#ASMEND
	v_and_b32_e32 v4, 0xff, v3
	v_mov_b32_e32 v5, 0
	v_cmp_eq_u64_e32 vcc, 0, v[4:5]
	s_mov_b64 s[10:11], 0
	s_and_saveexec_b64 s[6:7], vcc
	s_cbranch_execz .LBB33_8
; %bb.3:
	v_mov_b32_e32 v6, s12
	s_mov_b32 s3, 1
	v_mov_b32_e32 v7, s13
.LBB33_4:                               ; =>This Loop Header: Depth=1
                                        ;     Child Loop BB33_5 Depth 2
	s_mov_b32 s12, s3
.LBB33_5:                               ;   Parent Loop BB33_4 Depth=1
                                        ; =>  This Inner Loop Header: Depth=2
	s_add_i32 s12, s12, -1
	s_cmp_eq_u32 s12, 0
	s_sleep 1
	s_cbranch_scc0 .LBB33_5
; %bb.6:                                ;   in Loop: Header=BB33_4 Depth=1
	s_cmp_lt_u32 s3, 32
	;;#ASMSTART
	global_load_dwordx4 v[1:4], v[6:7] off glc	
s_waitcnt vmcnt(0)
	;;#ASMEND
	s_cselect_b64 s[12:13], -1, 0
	v_and_b32_e32 v4, 0xff, v3
	s_cmp_lg_u64 s[12:13], 0
	v_cmp_ne_u64_e32 vcc, 0, v[4:5]
	s_addc_u32 s3, s3, 0
	s_or_b64 s[10:11], vcc, s[10:11]
	s_andn2_b64 exec, exec, s[10:11]
	s_cbranch_execnz .LBB33_4
; %bb.7:
	s_or_b64 exec, exec, s[10:11]
.LBB33_8:
	s_or_b64 exec, exec, s[6:7]
	v_mov_b32_e32 v3, 0
	global_store_dwordx2 v3, v[1:2], s[8:9]
.LBB33_9:
	s_or_b64 exec, exec, s[4:5]
.LBB33_10:
	v_cmp_gt_u32_e32 vcc, s2, v0
	s_and_saveexec_b64 s[2:3], vcc
	s_cbranch_execnz .LBB33_13
; %bb.11:
	s_or_b64 exec, exec, s[2:3]
	v_cmp_gt_u32_e32 vcc, 64, v0
	s_and_saveexec_b64 s[2:3], vcc
	s_cbranch_execnz .LBB33_14
.LBB33_12:
	s_endpgm
.LBB33_13:
	v_add_u32_e32 v1, 64, v0
	v_mov_b32_e32 v2, 0
	v_lshlrev_b64 v[3:4], 4, v[1:2]
	v_mov_b32_e32 v1, s1
	v_add_co_u32_e32 v5, vcc, s0, v3
	v_addc_co_u32_e32 v6, vcc, v1, v4, vcc
	v_mov_b32_e32 v1, v2
	v_mov_b32_e32 v3, v2
	;; [unrolled: 1-line block ×3, first 2 shown]
	global_store_dwordx4 v[5:6], v[1:4], off
	s_or_b64 exec, exec, s[2:3]
	v_cmp_gt_u32_e32 vcc, 64, v0
	s_and_saveexec_b64 s[2:3], vcc
	s_cbranch_execz .LBB33_12
.LBB33_14:
	v_mov_b32_e32 v1, 0
	v_lshlrev_b64 v[2:3], 4, v[0:1]
	v_mov_b32_e32 v0, s1
	v_add_co_u32_e32 v4, vcc, s0, v2
	v_addc_co_u32_e32 v5, vcc, v0, v3, vcc
	v_mov_b32_e32 v2, 0xff
	v_mov_b32_e32 v0, v1
	;; [unrolled: 1-line block ×3, first 2 shown]
	global_store_dwordx4 v[4:5], v[0:3], off
	s_endpgm
	.section	.rodata,"a",@progbits
	.p2align	6, 0x0
	.amdhsa_kernel _ZN7rocprim6detail31init_lookback_scan_state_kernelINS0_19lookback_scan_stateIyLb1ELb1EEEEEvT_jjPNS4_10value_typeE
		.amdhsa_group_segment_fixed_size 0
		.amdhsa_private_segment_fixed_size 0
		.amdhsa_kernarg_size 280
		.amdhsa_user_sgpr_count 6
		.amdhsa_user_sgpr_private_segment_buffer 1
		.amdhsa_user_sgpr_dispatch_ptr 0
		.amdhsa_user_sgpr_queue_ptr 0
		.amdhsa_user_sgpr_kernarg_segment_ptr 1
		.amdhsa_user_sgpr_dispatch_id 0
		.amdhsa_user_sgpr_flat_scratch_init 0
		.amdhsa_user_sgpr_private_segment_size 0
		.amdhsa_uses_dynamic_stack 0
		.amdhsa_system_sgpr_private_segment_wavefront_offset 0
		.amdhsa_system_sgpr_workgroup_id_x 1
		.amdhsa_system_sgpr_workgroup_id_y 0
		.amdhsa_system_sgpr_workgroup_id_z 0
		.amdhsa_system_sgpr_workgroup_info 0
		.amdhsa_system_vgpr_workitem_id 0
		.amdhsa_next_free_vgpr 8
		.amdhsa_next_free_sgpr 14
		.amdhsa_reserve_vcc 1
		.amdhsa_reserve_flat_scratch 0
		.amdhsa_float_round_mode_32 0
		.amdhsa_float_round_mode_16_64 0
		.amdhsa_float_denorm_mode_32 3
		.amdhsa_float_denorm_mode_16_64 3
		.amdhsa_dx10_clamp 1
		.amdhsa_ieee_mode 1
		.amdhsa_fp16_overflow 0
		.amdhsa_exception_fp_ieee_invalid_op 0
		.amdhsa_exception_fp_denorm_src 0
		.amdhsa_exception_fp_ieee_div_zero 0
		.amdhsa_exception_fp_ieee_overflow 0
		.amdhsa_exception_fp_ieee_underflow 0
		.amdhsa_exception_fp_ieee_inexact 0
		.amdhsa_exception_int_div_zero 0
	.end_amdhsa_kernel
	.section	.text._ZN7rocprim6detail31init_lookback_scan_state_kernelINS0_19lookback_scan_stateIyLb1ELb1EEEEEvT_jjPNS4_10value_typeE,"axG",@progbits,_ZN7rocprim6detail31init_lookback_scan_state_kernelINS0_19lookback_scan_stateIyLb1ELb1EEEEEvT_jjPNS4_10value_typeE,comdat
.Lfunc_end33:
	.size	_ZN7rocprim6detail31init_lookback_scan_state_kernelINS0_19lookback_scan_stateIyLb1ELb1EEEEEvT_jjPNS4_10value_typeE, .Lfunc_end33-_ZN7rocprim6detail31init_lookback_scan_state_kernelINS0_19lookback_scan_stateIyLb1ELb1EEEEEvT_jjPNS4_10value_typeE
                                        ; -- End function
	.set _ZN7rocprim6detail31init_lookback_scan_state_kernelINS0_19lookback_scan_stateIyLb1ELb1EEEEEvT_jjPNS4_10value_typeE.num_vgpr, 8
	.set _ZN7rocprim6detail31init_lookback_scan_state_kernelINS0_19lookback_scan_stateIyLb1ELb1EEEEEvT_jjPNS4_10value_typeE.num_agpr, 0
	.set _ZN7rocprim6detail31init_lookback_scan_state_kernelINS0_19lookback_scan_stateIyLb1ELb1EEEEEvT_jjPNS4_10value_typeE.numbered_sgpr, 14
	.set _ZN7rocprim6detail31init_lookback_scan_state_kernelINS0_19lookback_scan_stateIyLb1ELb1EEEEEvT_jjPNS4_10value_typeE.num_named_barrier, 0
	.set _ZN7rocprim6detail31init_lookback_scan_state_kernelINS0_19lookback_scan_stateIyLb1ELb1EEEEEvT_jjPNS4_10value_typeE.private_seg_size, 0
	.set _ZN7rocprim6detail31init_lookback_scan_state_kernelINS0_19lookback_scan_stateIyLb1ELb1EEEEEvT_jjPNS4_10value_typeE.uses_vcc, 1
	.set _ZN7rocprim6detail31init_lookback_scan_state_kernelINS0_19lookback_scan_stateIyLb1ELb1EEEEEvT_jjPNS4_10value_typeE.uses_flat_scratch, 0
	.set _ZN7rocprim6detail31init_lookback_scan_state_kernelINS0_19lookback_scan_stateIyLb1ELb1EEEEEvT_jjPNS4_10value_typeE.has_dyn_sized_stack, 0
	.set _ZN7rocprim6detail31init_lookback_scan_state_kernelINS0_19lookback_scan_stateIyLb1ELb1EEEEEvT_jjPNS4_10value_typeE.has_recursion, 0
	.set _ZN7rocprim6detail31init_lookback_scan_state_kernelINS0_19lookback_scan_stateIyLb1ELb1EEEEEvT_jjPNS4_10value_typeE.has_indirect_call, 0
	.section	.AMDGPU.csdata,"",@progbits
; Kernel info:
; codeLenInByte = 404
; TotalNumSgprs: 18
; NumVgprs: 8
; ScratchSize: 0
; MemoryBound: 0
; FloatMode: 240
; IeeeMode: 1
; LDSByteSize: 0 bytes/workgroup (compile time only)
; SGPRBlocks: 2
; VGPRBlocks: 1
; NumSGPRsForWavesPerEU: 18
; NumVGPRsForWavesPerEU: 8
; Occupancy: 10
; WaveLimiterHint : 0
; COMPUTE_PGM_RSRC2:SCRATCH_EN: 0
; COMPUTE_PGM_RSRC2:USER_SGPR: 6
; COMPUTE_PGM_RSRC2:TRAP_HANDLER: 0
; COMPUTE_PGM_RSRC2:TGID_X_EN: 1
; COMPUTE_PGM_RSRC2:TGID_Y_EN: 0
; COMPUTE_PGM_RSRC2:TGID_Z_EN: 0
; COMPUTE_PGM_RSRC2:TIDIG_COMP_CNT: 0
	.section	.text._ZN7rocprim6detail31init_lookback_scan_state_kernelINS0_19lookback_scan_stateIyLb0ELb1EEEEEvT_jjPNS4_10value_typeE,"axG",@progbits,_ZN7rocprim6detail31init_lookback_scan_state_kernelINS0_19lookback_scan_stateIyLb0ELb1EEEEEvT_jjPNS4_10value_typeE,comdat
	.protected	_ZN7rocprim6detail31init_lookback_scan_state_kernelINS0_19lookback_scan_stateIyLb0ELb1EEEEEvT_jjPNS4_10value_typeE ; -- Begin function _ZN7rocprim6detail31init_lookback_scan_state_kernelINS0_19lookback_scan_stateIyLb0ELb1EEEEEvT_jjPNS4_10value_typeE
	.globl	_ZN7rocprim6detail31init_lookback_scan_state_kernelINS0_19lookback_scan_stateIyLb0ELb1EEEEEvT_jjPNS4_10value_typeE
	.p2align	8
	.type	_ZN7rocprim6detail31init_lookback_scan_state_kernelINS0_19lookback_scan_stateIyLb0ELb1EEEEEvT_jjPNS4_10value_typeE,@function
_ZN7rocprim6detail31init_lookback_scan_state_kernelINS0_19lookback_scan_stateIyLb0ELb1EEEEEvT_jjPNS4_10value_typeE: ; @_ZN7rocprim6detail31init_lookback_scan_state_kernelINS0_19lookback_scan_stateIyLb0ELb1EEEEEvT_jjPNS4_10value_typeE
; %bb.0:
	s_load_dword s7, s[4:5], 0x24
	s_load_dwordx2 s[8:9], s[4:5], 0x10
	s_load_dwordx4 s[0:3], s[4:5], 0x0
	s_waitcnt lgkmcnt(0)
	s_and_b32 s4, s7, 0xffff
	s_mul_i32 s6, s6, s4
	s_cmp_eq_u64 s[8:9], 0
	v_add_u32_e32 v0, s6, v0
	s_cbranch_scc1 .LBB34_8
; %bb.1:
	s_cmp_lt_u32 s3, s2
	s_cselect_b32 s4, s3, 0
	s_mov_b32 s7, 0
	v_cmp_eq_u32_e32 vcc, s4, v0
	s_and_saveexec_b64 s[4:5], vcc
	s_cbranch_execz .LBB34_7
; %bb.2:
	s_add_i32 s6, s3, 64
	s_lshl_b64 s[6:7], s[6:7], 4
	s_add_u32 s12, s0, s6
	s_addc_u32 s13, s1, s7
	v_mov_b32_e32 v1, s12
	v_mov_b32_e32 v2, s13
	;;#ASMSTART
	global_load_dwordx4 v[1:4], v[1:2] off glc	
s_waitcnt vmcnt(0)
	;;#ASMEND
	v_and_b32_e32 v4, 0xff, v3
	v_mov_b32_e32 v5, 0
	v_cmp_eq_u64_e32 vcc, 0, v[4:5]
	s_mov_b64 s[10:11], 0
	s_and_saveexec_b64 s[6:7], vcc
	s_cbranch_execz .LBB34_6
; %bb.3:
	v_mov_b32_e32 v6, s12
	v_mov_b32_e32 v7, s13
.LBB34_4:                               ; =>This Inner Loop Header: Depth=1
	;;#ASMSTART
	global_load_dwordx4 v[1:4], v[6:7] off glc	
s_waitcnt vmcnt(0)
	;;#ASMEND
	v_and_b32_e32 v4, 0xff, v3
	v_cmp_ne_u64_e32 vcc, 0, v[4:5]
	s_or_b64 s[10:11], vcc, s[10:11]
	s_andn2_b64 exec, exec, s[10:11]
	s_cbranch_execnz .LBB34_4
; %bb.5:
	s_or_b64 exec, exec, s[10:11]
.LBB34_6:
	s_or_b64 exec, exec, s[6:7]
	v_mov_b32_e32 v3, 0
	global_store_dwordx2 v3, v[1:2], s[8:9]
.LBB34_7:
	s_or_b64 exec, exec, s[4:5]
.LBB34_8:
	v_cmp_gt_u32_e32 vcc, s2, v0
	s_and_saveexec_b64 s[2:3], vcc
	s_cbranch_execnz .LBB34_11
; %bb.9:
	s_or_b64 exec, exec, s[2:3]
	v_cmp_gt_u32_e32 vcc, 64, v0
	s_and_saveexec_b64 s[2:3], vcc
	s_cbranch_execnz .LBB34_12
.LBB34_10:
	s_endpgm
.LBB34_11:
	v_add_u32_e32 v1, 64, v0
	v_mov_b32_e32 v2, 0
	v_lshlrev_b64 v[3:4], 4, v[1:2]
	v_mov_b32_e32 v1, s1
	v_add_co_u32_e32 v5, vcc, s0, v3
	v_addc_co_u32_e32 v6, vcc, v1, v4, vcc
	v_mov_b32_e32 v1, v2
	v_mov_b32_e32 v3, v2
	;; [unrolled: 1-line block ×3, first 2 shown]
	global_store_dwordx4 v[5:6], v[1:4], off
	s_or_b64 exec, exec, s[2:3]
	v_cmp_gt_u32_e32 vcc, 64, v0
	s_and_saveexec_b64 s[2:3], vcc
	s_cbranch_execz .LBB34_10
.LBB34_12:
	v_mov_b32_e32 v1, 0
	v_lshlrev_b64 v[2:3], 4, v[0:1]
	v_mov_b32_e32 v0, s1
	v_add_co_u32_e32 v4, vcc, s0, v2
	v_addc_co_u32_e32 v5, vcc, v0, v3, vcc
	v_mov_b32_e32 v2, 0xff
	v_mov_b32_e32 v0, v1
	;; [unrolled: 1-line block ×3, first 2 shown]
	global_store_dwordx4 v[4:5], v[0:3], off
	s_endpgm
	.section	.rodata,"a",@progbits
	.p2align	6, 0x0
	.amdhsa_kernel _ZN7rocprim6detail31init_lookback_scan_state_kernelINS0_19lookback_scan_stateIyLb0ELb1EEEEEvT_jjPNS4_10value_typeE
		.amdhsa_group_segment_fixed_size 0
		.amdhsa_private_segment_fixed_size 0
		.amdhsa_kernarg_size 280
		.amdhsa_user_sgpr_count 6
		.amdhsa_user_sgpr_private_segment_buffer 1
		.amdhsa_user_sgpr_dispatch_ptr 0
		.amdhsa_user_sgpr_queue_ptr 0
		.amdhsa_user_sgpr_kernarg_segment_ptr 1
		.amdhsa_user_sgpr_dispatch_id 0
		.amdhsa_user_sgpr_flat_scratch_init 0
		.amdhsa_user_sgpr_private_segment_size 0
		.amdhsa_uses_dynamic_stack 0
		.amdhsa_system_sgpr_private_segment_wavefront_offset 0
		.amdhsa_system_sgpr_workgroup_id_x 1
		.amdhsa_system_sgpr_workgroup_id_y 0
		.amdhsa_system_sgpr_workgroup_id_z 0
		.amdhsa_system_sgpr_workgroup_info 0
		.amdhsa_system_vgpr_workitem_id 0
		.amdhsa_next_free_vgpr 8
		.amdhsa_next_free_sgpr 14
		.amdhsa_reserve_vcc 1
		.amdhsa_reserve_flat_scratch 0
		.amdhsa_float_round_mode_32 0
		.amdhsa_float_round_mode_16_64 0
		.amdhsa_float_denorm_mode_32 3
		.amdhsa_float_denorm_mode_16_64 3
		.amdhsa_dx10_clamp 1
		.amdhsa_ieee_mode 1
		.amdhsa_fp16_overflow 0
		.amdhsa_exception_fp_ieee_invalid_op 0
		.amdhsa_exception_fp_denorm_src 0
		.amdhsa_exception_fp_ieee_div_zero 0
		.amdhsa_exception_fp_ieee_overflow 0
		.amdhsa_exception_fp_ieee_underflow 0
		.amdhsa_exception_fp_ieee_inexact 0
		.amdhsa_exception_int_div_zero 0
	.end_amdhsa_kernel
	.section	.text._ZN7rocprim6detail31init_lookback_scan_state_kernelINS0_19lookback_scan_stateIyLb0ELb1EEEEEvT_jjPNS4_10value_typeE,"axG",@progbits,_ZN7rocprim6detail31init_lookback_scan_state_kernelINS0_19lookback_scan_stateIyLb0ELb1EEEEEvT_jjPNS4_10value_typeE,comdat
.Lfunc_end34:
	.size	_ZN7rocprim6detail31init_lookback_scan_state_kernelINS0_19lookback_scan_stateIyLb0ELb1EEEEEvT_jjPNS4_10value_typeE, .Lfunc_end34-_ZN7rocprim6detail31init_lookback_scan_state_kernelINS0_19lookback_scan_stateIyLb0ELb1EEEEEvT_jjPNS4_10value_typeE
                                        ; -- End function
	.set _ZN7rocprim6detail31init_lookback_scan_state_kernelINS0_19lookback_scan_stateIyLb0ELb1EEEEEvT_jjPNS4_10value_typeE.num_vgpr, 8
	.set _ZN7rocprim6detail31init_lookback_scan_state_kernelINS0_19lookback_scan_stateIyLb0ELb1EEEEEvT_jjPNS4_10value_typeE.num_agpr, 0
	.set _ZN7rocprim6detail31init_lookback_scan_state_kernelINS0_19lookback_scan_stateIyLb0ELb1EEEEEvT_jjPNS4_10value_typeE.numbered_sgpr, 14
	.set _ZN7rocprim6detail31init_lookback_scan_state_kernelINS0_19lookback_scan_stateIyLb0ELb1EEEEEvT_jjPNS4_10value_typeE.num_named_barrier, 0
	.set _ZN7rocprim6detail31init_lookback_scan_state_kernelINS0_19lookback_scan_stateIyLb0ELb1EEEEEvT_jjPNS4_10value_typeE.private_seg_size, 0
	.set _ZN7rocprim6detail31init_lookback_scan_state_kernelINS0_19lookback_scan_stateIyLb0ELb1EEEEEvT_jjPNS4_10value_typeE.uses_vcc, 1
	.set _ZN7rocprim6detail31init_lookback_scan_state_kernelINS0_19lookback_scan_stateIyLb0ELb1EEEEEvT_jjPNS4_10value_typeE.uses_flat_scratch, 0
	.set _ZN7rocprim6detail31init_lookback_scan_state_kernelINS0_19lookback_scan_stateIyLb0ELb1EEEEEvT_jjPNS4_10value_typeE.has_dyn_sized_stack, 0
	.set _ZN7rocprim6detail31init_lookback_scan_state_kernelINS0_19lookback_scan_stateIyLb0ELb1EEEEEvT_jjPNS4_10value_typeE.has_recursion, 0
	.set _ZN7rocprim6detail31init_lookback_scan_state_kernelINS0_19lookback_scan_stateIyLb0ELb1EEEEEvT_jjPNS4_10value_typeE.has_indirect_call, 0
	.section	.AMDGPU.csdata,"",@progbits
; Kernel info:
; codeLenInByte = 364
; TotalNumSgprs: 18
; NumVgprs: 8
; ScratchSize: 0
; MemoryBound: 0
; FloatMode: 240
; IeeeMode: 1
; LDSByteSize: 0 bytes/workgroup (compile time only)
; SGPRBlocks: 2
; VGPRBlocks: 1
; NumSGPRsForWavesPerEU: 18
; NumVGPRsForWavesPerEU: 8
; Occupancy: 10
; WaveLimiterHint : 0
; COMPUTE_PGM_RSRC2:SCRATCH_EN: 0
; COMPUTE_PGM_RSRC2:USER_SGPR: 6
; COMPUTE_PGM_RSRC2:TRAP_HANDLER: 0
; COMPUTE_PGM_RSRC2:TGID_X_EN: 1
; COMPUTE_PGM_RSRC2:TGID_Y_EN: 0
; COMPUTE_PGM_RSRC2:TGID_Z_EN: 0
; COMPUTE_PGM_RSRC2:TIDIG_COMP_CNT: 0
	.section	.text._ZN7rocprim6detail20lookback_scan_kernelILNS0_25lookback_scan_determinismE0ELb0ENS0_19wrapped_scan_configINS_14default_configEyEEPyS6_N6hipcub3MinEyyNS0_19lookback_scan_stateIyLb1ELb1EEEEEvT2_T3_mT5_T4_T7_jPT6_SH_bb,"axG",@progbits,_ZN7rocprim6detail20lookback_scan_kernelILNS0_25lookback_scan_determinismE0ELb0ENS0_19wrapped_scan_configINS_14default_configEyEEPyS6_N6hipcub3MinEyyNS0_19lookback_scan_stateIyLb1ELb1EEEEEvT2_T3_mT5_T4_T7_jPT6_SH_bb,comdat
	.protected	_ZN7rocprim6detail20lookback_scan_kernelILNS0_25lookback_scan_determinismE0ELb0ENS0_19wrapped_scan_configINS_14default_configEyEEPyS6_N6hipcub3MinEyyNS0_19lookback_scan_stateIyLb1ELb1EEEEEvT2_T3_mT5_T4_T7_jPT6_SH_bb ; -- Begin function _ZN7rocprim6detail20lookback_scan_kernelILNS0_25lookback_scan_determinismE0ELb0ENS0_19wrapped_scan_configINS_14default_configEyEEPyS6_N6hipcub3MinEyyNS0_19lookback_scan_stateIyLb1ELb1EEEEEvT2_T3_mT5_T4_T7_jPT6_SH_bb
	.globl	_ZN7rocprim6detail20lookback_scan_kernelILNS0_25lookback_scan_determinismE0ELb0ENS0_19wrapped_scan_configINS_14default_configEyEEPyS6_N6hipcub3MinEyyNS0_19lookback_scan_stateIyLb1ELb1EEEEEvT2_T3_mT5_T4_T7_jPT6_SH_bb
	.p2align	8
	.type	_ZN7rocprim6detail20lookback_scan_kernelILNS0_25lookback_scan_determinismE0ELb0ENS0_19wrapped_scan_configINS_14default_configEyEEPyS6_N6hipcub3MinEyyNS0_19lookback_scan_stateIyLb1ELb1EEEEEvT2_T3_mT5_T4_T7_jPT6_SH_bb,@function
_ZN7rocprim6detail20lookback_scan_kernelILNS0_25lookback_scan_determinismE0ELb0ENS0_19wrapped_scan_configINS_14default_configEyEEPyS6_N6hipcub3MinEyyNS0_19lookback_scan_stateIyLb1ELb1EEEEEvT2_T3_mT5_T4_T7_jPT6_SH_bb: ; @_ZN7rocprim6detail20lookback_scan_kernelILNS0_25lookback_scan_determinismE0ELb0ENS0_19wrapped_scan_configINS_14default_configEyEEPyS6_N6hipcub3MinEyyNS0_19lookback_scan_stateIyLb1ELb1EEEEEvT2_T3_mT5_T4_T7_jPT6_SH_bb
; %bb.0:
	s_endpgm
	.section	.rodata,"a",@progbits
	.p2align	6, 0x0
	.amdhsa_kernel _ZN7rocprim6detail20lookback_scan_kernelILNS0_25lookback_scan_determinismE0ELb0ENS0_19wrapped_scan_configINS_14default_configEyEEPyS6_N6hipcub3MinEyyNS0_19lookback_scan_stateIyLb1ELb1EEEEEvT2_T3_mT5_T4_T7_jPT6_SH_bb
		.amdhsa_group_segment_fixed_size 0
		.amdhsa_private_segment_fixed_size 0
		.amdhsa_kernarg_size 76
		.amdhsa_user_sgpr_count 6
		.amdhsa_user_sgpr_private_segment_buffer 1
		.amdhsa_user_sgpr_dispatch_ptr 0
		.amdhsa_user_sgpr_queue_ptr 0
		.amdhsa_user_sgpr_kernarg_segment_ptr 1
		.amdhsa_user_sgpr_dispatch_id 0
		.amdhsa_user_sgpr_flat_scratch_init 0
		.amdhsa_user_sgpr_private_segment_size 0
		.amdhsa_uses_dynamic_stack 0
		.amdhsa_system_sgpr_private_segment_wavefront_offset 0
		.amdhsa_system_sgpr_workgroup_id_x 1
		.amdhsa_system_sgpr_workgroup_id_y 0
		.amdhsa_system_sgpr_workgroup_id_z 0
		.amdhsa_system_sgpr_workgroup_info 0
		.amdhsa_system_vgpr_workitem_id 0
		.amdhsa_next_free_vgpr 1
		.amdhsa_next_free_sgpr 0
		.amdhsa_reserve_vcc 0
		.amdhsa_reserve_flat_scratch 0
		.amdhsa_float_round_mode_32 0
		.amdhsa_float_round_mode_16_64 0
		.amdhsa_float_denorm_mode_32 3
		.amdhsa_float_denorm_mode_16_64 3
		.amdhsa_dx10_clamp 1
		.amdhsa_ieee_mode 1
		.amdhsa_fp16_overflow 0
		.amdhsa_exception_fp_ieee_invalid_op 0
		.amdhsa_exception_fp_denorm_src 0
		.amdhsa_exception_fp_ieee_div_zero 0
		.amdhsa_exception_fp_ieee_overflow 0
		.amdhsa_exception_fp_ieee_underflow 0
		.amdhsa_exception_fp_ieee_inexact 0
		.amdhsa_exception_int_div_zero 0
	.end_amdhsa_kernel
	.section	.text._ZN7rocprim6detail20lookback_scan_kernelILNS0_25lookback_scan_determinismE0ELb0ENS0_19wrapped_scan_configINS_14default_configEyEEPyS6_N6hipcub3MinEyyNS0_19lookback_scan_stateIyLb1ELb1EEEEEvT2_T3_mT5_T4_T7_jPT6_SH_bb,"axG",@progbits,_ZN7rocprim6detail20lookback_scan_kernelILNS0_25lookback_scan_determinismE0ELb0ENS0_19wrapped_scan_configINS_14default_configEyEEPyS6_N6hipcub3MinEyyNS0_19lookback_scan_stateIyLb1ELb1EEEEEvT2_T3_mT5_T4_T7_jPT6_SH_bb,comdat
.Lfunc_end35:
	.size	_ZN7rocprim6detail20lookback_scan_kernelILNS0_25lookback_scan_determinismE0ELb0ENS0_19wrapped_scan_configINS_14default_configEyEEPyS6_N6hipcub3MinEyyNS0_19lookback_scan_stateIyLb1ELb1EEEEEvT2_T3_mT5_T4_T7_jPT6_SH_bb, .Lfunc_end35-_ZN7rocprim6detail20lookback_scan_kernelILNS0_25lookback_scan_determinismE0ELb0ENS0_19wrapped_scan_configINS_14default_configEyEEPyS6_N6hipcub3MinEyyNS0_19lookback_scan_stateIyLb1ELb1EEEEEvT2_T3_mT5_T4_T7_jPT6_SH_bb
                                        ; -- End function
	.set _ZN7rocprim6detail20lookback_scan_kernelILNS0_25lookback_scan_determinismE0ELb0ENS0_19wrapped_scan_configINS_14default_configEyEEPyS6_N6hipcub3MinEyyNS0_19lookback_scan_stateIyLb1ELb1EEEEEvT2_T3_mT5_T4_T7_jPT6_SH_bb.num_vgpr, 0
	.set _ZN7rocprim6detail20lookback_scan_kernelILNS0_25lookback_scan_determinismE0ELb0ENS0_19wrapped_scan_configINS_14default_configEyEEPyS6_N6hipcub3MinEyyNS0_19lookback_scan_stateIyLb1ELb1EEEEEvT2_T3_mT5_T4_T7_jPT6_SH_bb.num_agpr, 0
	.set _ZN7rocprim6detail20lookback_scan_kernelILNS0_25lookback_scan_determinismE0ELb0ENS0_19wrapped_scan_configINS_14default_configEyEEPyS6_N6hipcub3MinEyyNS0_19lookback_scan_stateIyLb1ELb1EEEEEvT2_T3_mT5_T4_T7_jPT6_SH_bb.numbered_sgpr, 0
	.set _ZN7rocprim6detail20lookback_scan_kernelILNS0_25lookback_scan_determinismE0ELb0ENS0_19wrapped_scan_configINS_14default_configEyEEPyS6_N6hipcub3MinEyyNS0_19lookback_scan_stateIyLb1ELb1EEEEEvT2_T3_mT5_T4_T7_jPT6_SH_bb.num_named_barrier, 0
	.set _ZN7rocprim6detail20lookback_scan_kernelILNS0_25lookback_scan_determinismE0ELb0ENS0_19wrapped_scan_configINS_14default_configEyEEPyS6_N6hipcub3MinEyyNS0_19lookback_scan_stateIyLb1ELb1EEEEEvT2_T3_mT5_T4_T7_jPT6_SH_bb.private_seg_size, 0
	.set _ZN7rocprim6detail20lookback_scan_kernelILNS0_25lookback_scan_determinismE0ELb0ENS0_19wrapped_scan_configINS_14default_configEyEEPyS6_N6hipcub3MinEyyNS0_19lookback_scan_stateIyLb1ELb1EEEEEvT2_T3_mT5_T4_T7_jPT6_SH_bb.uses_vcc, 0
	.set _ZN7rocprim6detail20lookback_scan_kernelILNS0_25lookback_scan_determinismE0ELb0ENS0_19wrapped_scan_configINS_14default_configEyEEPyS6_N6hipcub3MinEyyNS0_19lookback_scan_stateIyLb1ELb1EEEEEvT2_T3_mT5_T4_T7_jPT6_SH_bb.uses_flat_scratch, 0
	.set _ZN7rocprim6detail20lookback_scan_kernelILNS0_25lookback_scan_determinismE0ELb0ENS0_19wrapped_scan_configINS_14default_configEyEEPyS6_N6hipcub3MinEyyNS0_19lookback_scan_stateIyLb1ELb1EEEEEvT2_T3_mT5_T4_T7_jPT6_SH_bb.has_dyn_sized_stack, 0
	.set _ZN7rocprim6detail20lookback_scan_kernelILNS0_25lookback_scan_determinismE0ELb0ENS0_19wrapped_scan_configINS_14default_configEyEEPyS6_N6hipcub3MinEyyNS0_19lookback_scan_stateIyLb1ELb1EEEEEvT2_T3_mT5_T4_T7_jPT6_SH_bb.has_recursion, 0
	.set _ZN7rocprim6detail20lookback_scan_kernelILNS0_25lookback_scan_determinismE0ELb0ENS0_19wrapped_scan_configINS_14default_configEyEEPyS6_N6hipcub3MinEyyNS0_19lookback_scan_stateIyLb1ELb1EEEEEvT2_T3_mT5_T4_T7_jPT6_SH_bb.has_indirect_call, 0
	.section	.AMDGPU.csdata,"",@progbits
; Kernel info:
; codeLenInByte = 4
; TotalNumSgprs: 4
; NumVgprs: 0
; ScratchSize: 0
; MemoryBound: 0
; FloatMode: 240
; IeeeMode: 1
; LDSByteSize: 0 bytes/workgroup (compile time only)
; SGPRBlocks: 0
; VGPRBlocks: 0
; NumSGPRsForWavesPerEU: 4
; NumVGPRsForWavesPerEU: 1
; Occupancy: 10
; WaveLimiterHint : 0
; COMPUTE_PGM_RSRC2:SCRATCH_EN: 0
; COMPUTE_PGM_RSRC2:USER_SGPR: 6
; COMPUTE_PGM_RSRC2:TRAP_HANDLER: 0
; COMPUTE_PGM_RSRC2:TGID_X_EN: 1
; COMPUTE_PGM_RSRC2:TGID_Y_EN: 0
; COMPUTE_PGM_RSRC2:TGID_Z_EN: 0
; COMPUTE_PGM_RSRC2:TIDIG_COMP_CNT: 0
	.section	.text._ZN7rocprim6detail20lookback_scan_kernelILNS0_25lookback_scan_determinismE0ELb0ENS0_19wrapped_scan_configINS_14default_configEyEEPyS6_N6hipcub3MinEyyNS0_19lookback_scan_stateIyLb0ELb1EEEEEvT2_T3_mT5_T4_T7_jPT6_SH_bb,"axG",@progbits,_ZN7rocprim6detail20lookback_scan_kernelILNS0_25lookback_scan_determinismE0ELb0ENS0_19wrapped_scan_configINS_14default_configEyEEPyS6_N6hipcub3MinEyyNS0_19lookback_scan_stateIyLb0ELb1EEEEEvT2_T3_mT5_T4_T7_jPT6_SH_bb,comdat
	.protected	_ZN7rocprim6detail20lookback_scan_kernelILNS0_25lookback_scan_determinismE0ELb0ENS0_19wrapped_scan_configINS_14default_configEyEEPyS6_N6hipcub3MinEyyNS0_19lookback_scan_stateIyLb0ELb1EEEEEvT2_T3_mT5_T4_T7_jPT6_SH_bb ; -- Begin function _ZN7rocprim6detail20lookback_scan_kernelILNS0_25lookback_scan_determinismE0ELb0ENS0_19wrapped_scan_configINS_14default_configEyEEPyS6_N6hipcub3MinEyyNS0_19lookback_scan_stateIyLb0ELb1EEEEEvT2_T3_mT5_T4_T7_jPT6_SH_bb
	.globl	_ZN7rocprim6detail20lookback_scan_kernelILNS0_25lookback_scan_determinismE0ELb0ENS0_19wrapped_scan_configINS_14default_configEyEEPyS6_N6hipcub3MinEyyNS0_19lookback_scan_stateIyLb0ELb1EEEEEvT2_T3_mT5_T4_T7_jPT6_SH_bb
	.p2align	8
	.type	_ZN7rocprim6detail20lookback_scan_kernelILNS0_25lookback_scan_determinismE0ELb0ENS0_19wrapped_scan_configINS_14default_configEyEEPyS6_N6hipcub3MinEyyNS0_19lookback_scan_stateIyLb0ELb1EEEEEvT2_T3_mT5_T4_T7_jPT6_SH_bb,@function
_ZN7rocprim6detail20lookback_scan_kernelILNS0_25lookback_scan_determinismE0ELb0ENS0_19wrapped_scan_configINS_14default_configEyEEPyS6_N6hipcub3MinEyyNS0_19lookback_scan_stateIyLb0ELb1EEEEEvT2_T3_mT5_T4_T7_jPT6_SH_bb: ; @_ZN7rocprim6detail20lookback_scan_kernelILNS0_25lookback_scan_determinismE0ELb0ENS0_19wrapped_scan_configINS_14default_configEyEEPyS6_N6hipcub3MinEyyNS0_19lookback_scan_stateIyLb0ELb1EEEEEvT2_T3_mT5_T4_T7_jPT6_SH_bb
; %bb.0:
	s_load_dword s7, s[4:5], 0x30
	s_load_dwordx4 s[0:3], s[4:5], 0x0
	s_load_dwordx2 s[8:9], s[4:5], 0x10
	s_mul_i32 s10, s6, 0x380
	s_mov_b32 s11, 0
	s_waitcnt lgkmcnt(0)
	s_add_i32 s7, s7, -1
	s_mul_i32 s12, s7, 0x380
	s_sub_u32 s18, s8, s12
	s_subb_u32 s19, s9, 0
	s_cmp_lg_u32 s6, s7
	s_cselect_b64 s[12:13], -1, 0
	s_lshl_b64 s[14:15], s[10:11], 3
	s_add_u32 s10, s0, s14
	s_addc_u32 s11, s1, s15
	s_mov_b64 s[0:1], -1
	s_and_b64 vcc, exec, s[12:13]
	v_lshlrev_b32_e32 v57, 3, v0
	s_cbranch_vccz .LBB36_2
; %bb.1:
	v_mov_b32_e32 v1, s11
	v_add_co_u32_e32 v17, vcc, s10, v57
	v_addc_co_u32_e32 v18, vcc, 0, v1, vcc
	v_add_co_u32_e32 v17, vcc, 0x1000, v17
	v_addc_co_u32_e32 v18, vcc, 0, v18, vcc
	global_load_dwordx2 v[1:2], v57, s[10:11]
	global_load_dwordx2 v[3:4], v57, s[10:11] offset:512
	global_load_dwordx2 v[5:6], v57, s[10:11] offset:1024
	;; [unrolled: 1-line block ×7, first 2 shown]
	global_load_dwordx2 v[19:20], v[17:18], off
	global_load_dwordx2 v[21:22], v[17:18], off offset:512
	global_load_dwordx2 v[23:24], v[17:18], off offset:1024
	;; [unrolled: 1-line block ×5, first 2 shown]
	s_mov_b64 s[0:1], 0
	s_waitcnt vmcnt(12)
	ds_write2st64_b64 v57, v[1:2], v[3:4] offset1:1
	s_waitcnt vmcnt(10)
	ds_write2st64_b64 v57, v[5:6], v[7:8] offset0:2 offset1:3
	s_waitcnt vmcnt(8)
	ds_write2st64_b64 v57, v[9:10], v[11:12] offset0:4 offset1:5
	;; [unrolled: 2-line block ×6, first 2 shown]
	s_waitcnt lgkmcnt(0)
	; wave barrier
.LBB36_2:
	s_andn2_b64 vcc, exec, s[0:1]
	v_cmp_gt_u32_e64 s[0:1], s18, v0
	s_cbranch_vccnz .LBB36_32
; %bb.3:
	s_load_dwordx2 s[8:9], s[10:11], 0x0
	v_mov_b32_e32 v1, s11
	v_add_co_u32_e32 v3, vcc, s10, v57
	v_addc_co_u32_e32 v4, vcc, 0, v1, vcc
	s_waitcnt lgkmcnt(0)
	v_mov_b32_e32 v1, s8
	v_mov_b32_e32 v2, s9
	s_and_saveexec_b64 s[10:11], s[0:1]
	s_cbranch_execz .LBB36_5
; %bb.4:
	global_load_dwordx2 v[1:2], v[3:4], off
.LBB36_5:
	s_or_b64 exec, exec, s[10:11]
	v_or_b32_e32 v5, 64, v0
	v_cmp_gt_u32_e32 vcc, s18, v5
	v_mov_b32_e32 v5, s8
	v_mov_b32_e32 v6, s9
	s_and_saveexec_b64 s[0:1], vcc
	s_cbranch_execz .LBB36_7
; %bb.6:
	global_load_dwordx2 v[5:6], v[3:4], off offset:512
.LBB36_7:
	s_or_b64 exec, exec, s[0:1]
	v_or_b32_e32 v7, 0x80, v0
	v_cmp_gt_u32_e32 vcc, s18, v7
	v_mov_b32_e32 v7, s8
	v_mov_b32_e32 v8, s9
	s_and_saveexec_b64 s[0:1], vcc
	s_cbranch_execz .LBB36_9
; %bb.8:
	global_load_dwordx2 v[7:8], v[3:4], off offset:1024
.LBB36_9:
	;; [unrolled: 10-line block ×7, first 2 shown]
	s_or_b64 exec, exec, s[0:1]
	v_or_b32_e32 v19, 0x200, v0
	v_cmp_gt_u32_e32 vcc, s18, v19
	v_mov_b32_e32 v20, s9
	v_mov_b32_e32 v19, s8
	s_and_saveexec_b64 s[0:1], vcc
	s_cbranch_execz .LBB36_21
; %bb.20:
	v_add_co_u32_e32 v19, vcc, 0x1000, v3
	v_addc_co_u32_e32 v20, vcc, 0, v4, vcc
	global_load_dwordx2 v[19:20], v[19:20], off
.LBB36_21:
	s_or_b64 exec, exec, s[0:1]
	v_or_b32_e32 v21, 0x240, v0
	v_cmp_gt_u32_e32 vcc, s18, v21
	v_mov_b32_e32 v22, s9
	v_mov_b32_e32 v21, s8
	s_and_saveexec_b64 s[0:1], vcc
	s_cbranch_execz .LBB36_23
; %bb.22:
	v_add_co_u32_e32 v21, vcc, 0x1000, v3
	v_addc_co_u32_e32 v22, vcc, 0, v4, vcc
	global_load_dwordx2 v[21:22], v[21:22], off offset:512
.LBB36_23:
	s_or_b64 exec, exec, s[0:1]
	v_or_b32_e32 v23, 0x280, v0
	v_cmp_gt_u32_e32 vcc, s18, v23
	v_mov_b32_e32 v24, s9
	v_mov_b32_e32 v23, s8
	s_and_saveexec_b64 s[0:1], vcc
	s_cbranch_execz .LBB36_25
; %bb.24:
	v_add_co_u32_e32 v23, vcc, 0x1000, v3
	v_addc_co_u32_e32 v24, vcc, 0, v4, vcc
	global_load_dwordx2 v[23:24], v[23:24], off offset:1024
.LBB36_25:
	;; [unrolled: 12-line block ×5, first 2 shown]
	s_or_b64 exec, exec, s[0:1]
	s_waitcnt vmcnt(0)
	ds_write2st64_b64 v57, v[1:2], v[5:6] offset1:1
	ds_write2st64_b64 v57, v[7:8], v[9:10] offset0:2 offset1:3
	ds_write2st64_b64 v57, v[11:12], v[13:14] offset0:4 offset1:5
	;; [unrolled: 1-line block ×6, first 2 shown]
	s_waitcnt lgkmcnt(0)
	; wave barrier
.LBB36_32:
	v_mul_u32_u24_e32 v58, 0x70, v0
	ds_read_b128 v[1:4], v58
	ds_read_b128 v[25:28], v58 offset:16
	ds_read_b128 v[21:24], v58 offset:32
	;; [unrolled: 1-line block ×6, first 2 shown]
	s_load_dwordx2 s[16:17], s[4:5], 0x28
	s_cmp_lg_u32 s6, 0
	v_mbcnt_lo_u32_b32 v59, -1, 0
	s_waitcnt lgkmcnt(0)
	; wave barrier
	s_cbranch_scc0 .LBB36_86
; %bb.33:
	v_cmp_lt_u64_e32 vcc, v[1:2], v[3:4]
	v_mbcnt_hi_u32_b32 v41, -1, v59
	v_cndmask_b32_e32 v30, v4, v2, vcc
	v_cndmask_b32_e32 v29, v3, v1, vcc
	v_cmp_lt_u64_e32 vcc, v[29:30], v[25:26]
	v_and_b32_e32 v33, 15, v41
	v_cndmask_b32_e32 v30, v26, v30, vcc
	v_cndmask_b32_e32 v29, v25, v29, vcc
	v_cmp_lt_u64_e32 vcc, v[29:30], v[27:28]
	v_cndmask_b32_e32 v30, v28, v30, vcc
	v_cndmask_b32_e32 v29, v27, v29, vcc
	v_cmp_lt_u64_e32 vcc, v[29:30], v[21:22]
	;; [unrolled: 3-line block ×11, first 2 shown]
	v_cndmask_b32_e32 v30, v8, v30, vcc
	v_cndmask_b32_e32 v29, v7, v29, vcc
	s_nop 0
	v_mov_b32_dpp v34, v30 row_shr:1 row_mask:0xf bank_mask:0xf
	v_cmp_ne_u32_e32 vcc, 0, v33
	v_mov_b32_dpp v31, v29 row_shr:1 row_mask:0xf bank_mask:0xf
	s_and_saveexec_b64 s[0:1], vcc
; %bb.34:
	v_mov_b32_e32 v32, v34
	v_cmp_lt_u64_e32 vcc, v[31:32], v[29:30]
	v_cndmask_b32_e32 v30, v30, v34, vcc
	v_cndmask_b32_e32 v29, v29, v31, vcc
; %bb.35:
	s_or_b64 exec, exec, s[0:1]
	s_nop 0
	v_mov_b32_dpp v31, v29 row_shr:2 row_mask:0xf bank_mask:0xf
	v_mov_b32_dpp v34, v30 row_shr:2 row_mask:0xf bank_mask:0xf
	v_cmp_lt_u32_e32 vcc, 1, v33
	s_and_saveexec_b64 s[0:1], vcc
; %bb.36:
	v_mov_b32_e32 v32, v34
	v_cmp_lt_u64_e32 vcc, v[31:32], v[29:30]
	v_cndmask_b32_e32 v30, v30, v34, vcc
	v_cndmask_b32_e32 v29, v29, v31, vcc
; %bb.37:
	s_or_b64 exec, exec, s[0:1]
	s_nop 0
	v_mov_b32_dpp v31, v29 row_shr:4 row_mask:0xf bank_mask:0xf
	v_mov_b32_dpp v34, v30 row_shr:4 row_mask:0xf bank_mask:0xf
	v_cmp_lt_u32_e32 vcc, 3, v33
	;; [unrolled: 12-line block ×3, first 2 shown]
	s_and_saveexec_b64 s[0:1], vcc
; %bb.40:
	v_mov_b32_e32 v32, v34
	v_cmp_lt_u64_e32 vcc, v[31:32], v[29:30]
	v_cndmask_b32_e32 v30, v30, v34, vcc
	v_cndmask_b32_e32 v29, v29, v31, vcc
; %bb.41:
	s_or_b64 exec, exec, s[0:1]
	v_and_b32_e32 v32, 16, v41
	v_mov_b32_dpp v31, v29 row_bcast:15 row_mask:0xf bank_mask:0xf
	v_mov_b32_dpp v33, v30 row_bcast:15 row_mask:0xf bank_mask:0xf
	v_cmp_ne_u32_e32 vcc, 0, v32
	s_and_saveexec_b64 s[0:1], vcc
; %bb.42:
	v_mov_b32_e32 v32, v33
	v_cmp_lt_u64_e32 vcc, v[31:32], v[29:30]
	v_cndmask_b32_e32 v30, v30, v33, vcc
	v_cndmask_b32_e32 v29, v29, v31, vcc
; %bb.43:
	s_or_b64 exec, exec, s[0:1]
	s_nop 0
	v_mov_b32_dpp v31, v29 row_bcast:31 row_mask:0xf bank_mask:0xf
	v_mov_b32_dpp v33, v30 row_bcast:31 row_mask:0xf bank_mask:0xf
	v_cmp_lt_u32_e32 vcc, 31, v41
	s_and_saveexec_b64 s[0:1], vcc
; %bb.44:
	v_mov_b32_e32 v32, v33
	v_cmp_lt_u64_e32 vcc, v[31:32], v[29:30]
	v_cndmask_b32_e32 v30, v30, v33, vcc
	v_cndmask_b32_e32 v29, v29, v31, vcc
; %bb.45:
	s_or_b64 exec, exec, s[0:1]
	v_cmp_eq_u32_e32 vcc, 63, v0
	s_and_saveexec_b64 s[0:1], vcc
; %bb.46:
	v_mov_b32_e32 v31, 0
	ds_write_b64 v31, v[29:30]
; %bb.47:
	s_or_b64 exec, exec, s[0:1]
	v_subrev_co_u32_e64 v31, s[0:1], 1, v41
	v_and_b32_e32 v32, 64, v41
	v_cmp_lt_i32_e32 vcc, v31, v32
	v_cndmask_b32_e32 v31, v31, v41, vcc
	v_lshlrev_b32_e32 v31, 2, v31
	v_mov_b32_e32 v32, 0
	s_waitcnt lgkmcnt(0)
	; wave barrier
	ds_bpermute_b32 v37, v31, v29
	ds_bpermute_b32 v44, v31, v30
	ds_read_b64 v[29:30], v32
	s_and_saveexec_b64 s[8:9], s[0:1]
	s_cbranch_execz .LBB36_49
; %bb.48:
	s_add_i32 s10, s6, 64
	s_mov_b32 s11, 0
	s_lshl_b64 s[10:11], s[10:11], 4
	s_add_u32 s10, s16, s10
	s_addc_u32 s11, s17, s11
	v_mov_b32_e32 v34, s11
	v_mov_b32_e32 v31, 1
	;; [unrolled: 1-line block ×3, first 2 shown]
	s_waitcnt lgkmcnt(0)
	;;#ASMSTART
	global_store_dwordx4 v[33:34], v[29:32] off	
s_waitcnt vmcnt(0)
	;;#ASMEND
.LBB36_49:
	s_or_b64 exec, exec, s[8:9]
	v_xad_u32 v38, v41, -1, s6
	v_add_u32_e32 v31, 64, v38
	v_lshlrev_b64 v[33:34], 4, v[31:32]
	v_mov_b32_e32 v31, s17
	v_add_co_u32_e32 v39, vcc, s16, v33
	v_addc_co_u32_e32 v40, vcc, v31, v34, vcc
	;;#ASMSTART
	global_load_dwordx4 v[33:36], v[39:40] off glc	
s_waitcnt vmcnt(0)
	;;#ASMEND
	v_cmp_eq_u16_sdwa s[10:11], v35, v32 src0_sel:BYTE_0 src1_sel:DWORD
	s_and_saveexec_b64 s[8:9], s[10:11]
	s_cbranch_execz .LBB36_53
; %bb.50:
	s_mov_b64 s[10:11], 0
	v_mov_b32_e32 v31, 0
.LBB36_51:                              ; =>This Inner Loop Header: Depth=1
	;;#ASMSTART
	global_load_dwordx4 v[33:36], v[39:40] off glc	
s_waitcnt vmcnt(0)
	;;#ASMEND
	v_cmp_ne_u16_sdwa s[20:21], v35, v31 src0_sel:BYTE_0 src1_sel:DWORD
	s_or_b64 s[10:11], s[20:21], s[10:11]
	s_andn2_b64 exec, exec, s[10:11]
	s_cbranch_execnz .LBB36_51
; %bb.52:
	s_or_b64 exec, exec, s[10:11]
.LBB36_53:
	s_or_b64 exec, exec, s[8:9]
	v_and_b32_e32 v42, 63, v41
	v_mov_b32_e32 v36, 2
	v_lshlrev_b64 v[31:32], v41, -1
	v_cmp_ne_u32_e32 vcc, 63, v42
	v_cmp_eq_u16_sdwa s[8:9], v35, v36 src0_sel:BYTE_0 src1_sel:DWORD
	v_addc_co_u32_e32 v39, vcc, 0, v41, vcc
	v_and_b32_e32 v36, s9, v32
	v_lshlrev_b32_e32 v45, 2, v39
	v_or_b32_e32 v36, 0x80000000, v36
	ds_bpermute_b32 v39, v45, v33
	ds_bpermute_b32 v43, v45, v34
	v_and_b32_e32 v40, s8, v31
	v_ffbl_b32_e32 v36, v36
	v_add_u32_e32 v36, 32, v36
	v_ffbl_b32_e32 v40, v40
	v_min_u32_e32 v36, v40, v36
	v_add_u32_e32 v46, 1, v41
	v_cmp_le_u32_e32 vcc, v46, v36
	s_and_saveexec_b64 s[8:9], vcc
	s_cbranch_execz .LBB36_55
; %bb.54:
	s_waitcnt lgkmcnt(0)
	v_mov_b32_e32 v40, v43
	v_cmp_lt_u64_e32 vcc, v[39:40], v[33:34]
	v_cndmask_b32_e32 v34, v34, v43, vcc
	v_cndmask_b32_e32 v33, v33, v39, vcc
.LBB36_55:
	s_or_b64 exec, exec, s[8:9]
	v_cmp_gt_u32_e32 vcc, 62, v42
	s_waitcnt lgkmcnt(1)
	v_cndmask_b32_e64 v39, 0, 2, vcc
	v_add_lshl_u32 v47, v39, v41, 2
	ds_bpermute_b32 v39, v47, v33
	s_waitcnt lgkmcnt(1)
	ds_bpermute_b32 v43, v47, v34
	v_add_u32_e32 v48, 2, v41
	v_cmp_le_u32_e32 vcc, v48, v36
	s_and_saveexec_b64 s[8:9], vcc
	s_cbranch_execz .LBB36_57
; %bb.56:
	s_waitcnt lgkmcnt(0)
	v_mov_b32_e32 v40, v43
	v_cmp_lt_u64_e32 vcc, v[39:40], v[33:34]
	v_cndmask_b32_e32 v34, v34, v43, vcc
	v_cndmask_b32_e32 v33, v33, v39, vcc
.LBB36_57:
	s_or_b64 exec, exec, s[8:9]
	v_cmp_gt_u32_e32 vcc, 60, v42
	s_waitcnt lgkmcnt(1)
	v_cndmask_b32_e64 v39, 0, 4, vcc
	v_add_lshl_u32 v49, v39, v41, 2
	ds_bpermute_b32 v39, v49, v33
	s_waitcnt lgkmcnt(1)
	ds_bpermute_b32 v43, v49, v34
	;; [unrolled: 19-line block ×3, first 2 shown]
	v_add_u32_e32 v52, 8, v41
	v_cmp_le_u32_e32 vcc, v52, v36
	s_and_saveexec_b64 s[8:9], vcc
	s_cbranch_execz .LBB36_61
; %bb.60:
	s_waitcnt lgkmcnt(0)
	v_mov_b32_e32 v40, v43
	v_cmp_lt_u64_e32 vcc, v[39:40], v[33:34]
	v_cndmask_b32_e32 v34, v34, v43, vcc
	v_cndmask_b32_e32 v33, v33, v39, vcc
.LBB36_61:
	s_or_b64 exec, exec, s[8:9]
	v_cmp_gt_u32_e32 vcc, 48, v42
	s_waitcnt lgkmcnt(1)
	v_cndmask_b32_e64 v39, 0, 16, vcc
	v_add_lshl_u32 v53, v39, v41, 2
	ds_bpermute_b32 v39, v53, v33
	ds_bpermute_b32 v42, v53, v34
	v_add_u32_e32 v54, 16, v41
	v_cmp_le_u32_e32 vcc, v54, v36
	s_and_saveexec_b64 s[8:9], vcc
	s_cbranch_execz .LBB36_63
; %bb.62:
	s_waitcnt lgkmcnt(0)
	v_mov_b32_e32 v40, v42
	v_cmp_lt_u64_e32 vcc, v[39:40], v[33:34]
	v_cndmask_b32_e32 v34, v34, v42, vcc
	v_cndmask_b32_e32 v33, v33, v39, vcc
.LBB36_63:
	s_or_b64 exec, exec, s[8:9]
	s_waitcnt lgkmcnt(1)
	v_mov_b32_e32 v39, 0x80
	v_lshl_or_b32 v55, v41, 2, v39
	s_waitcnt lgkmcnt(0)
	ds_bpermute_b32 v42, v55, v34
	ds_bpermute_b32 v39, v55, v33
	v_add_u32_e32 v56, 32, v41
	v_mov_b32_e32 v60, 2
	s_waitcnt lgkmcnt(1)
	v_mov_b32_e32 v40, v42
	s_waitcnt lgkmcnt(0)
	v_cmp_lt_u64_e32 vcc, v[39:40], v[33:34]
	v_cndmask_b32_e32 v39, v33, v39, vcc
	v_cndmask_b32_e32 v40, v34, v42, vcc
	v_cmp_gt_u32_e32 vcc, v56, v36
	v_cndmask_b32_e32 v34, v40, v34, vcc
	v_cndmask_b32_e32 v33, v39, v33, vcc
	v_mov_b32_e32 v39, 0
	s_branch .LBB36_66
.LBB36_64:                              ;   in Loop: Header=BB36_66 Depth=1
	s_or_b64 exec, exec, s[8:9]
	s_waitcnt lgkmcnt(0)
	ds_bpermute_b32 v61, v55, v34
	ds_bpermute_b32 v42, v55, v33
	v_subrev_u32_e32 v38, 64, v38
	s_mov_b64 s[8:9], 0
	s_waitcnt lgkmcnt(1)
	v_mov_b32_e32 v43, v61
	s_waitcnt lgkmcnt(0)
	v_cmp_lt_u64_e32 vcc, v[42:43], v[33:34]
	v_cndmask_b32_e32 v42, v33, v42, vcc
	v_cndmask_b32_e32 v43, v34, v61, vcc
	v_cmp_gt_u32_e32 vcc, v56, v36
	v_cndmask_b32_e32 v34, v43, v34, vcc
	v_cndmask_b32_e32 v33, v42, v33, vcc
	v_cmp_lt_u64_e32 vcc, v[33:34], v[40:41]
	v_cndmask_b32_e32 v34, v41, v34, vcc
	v_cndmask_b32_e32 v33, v40, v33, vcc
.LBB36_65:                              ;   in Loop: Header=BB36_66 Depth=1
	s_and_b64 vcc, exec, s[8:9]
	s_cbranch_vccnz .LBB36_81
.LBB36_66:                              ; =>This Loop Header: Depth=1
                                        ;     Child Loop BB36_69 Depth 2
	v_mov_b32_e32 v41, v34
	v_cmp_ne_u16_sdwa s[8:9], v35, v60 src0_sel:BYTE_0 src1_sel:DWORD
	v_mov_b32_e32 v40, v33
	s_cmp_lg_u64 s[8:9], exec
	s_mov_b64 s[8:9], -1
                                        ; implicit-def: $vgpr33_vgpr34
                                        ; implicit-def: $vgpr35
	s_cbranch_scc1 .LBB36_65
; %bb.67:                               ;   in Loop: Header=BB36_66 Depth=1
	v_lshlrev_b64 v[33:34], 4, v[38:39]
	v_mov_b32_e32 v35, s17
	v_add_co_u32_e32 v42, vcc, s16, v33
	v_addc_co_u32_e32 v43, vcc, v35, v34, vcc
	;;#ASMSTART
	global_load_dwordx4 v[33:36], v[42:43] off glc	
s_waitcnt vmcnt(0)
	;;#ASMEND
	v_cmp_eq_u16_sdwa s[10:11], v35, v39 src0_sel:BYTE_0 src1_sel:DWORD
	s_and_saveexec_b64 s[8:9], s[10:11]
	s_cbranch_execz .LBB36_71
; %bb.68:                               ;   in Loop: Header=BB36_66 Depth=1
	s_mov_b64 s[10:11], 0
.LBB36_69:                              ;   Parent Loop BB36_66 Depth=1
                                        ; =>  This Inner Loop Header: Depth=2
	;;#ASMSTART
	global_load_dwordx4 v[33:36], v[42:43] off glc	
s_waitcnt vmcnt(0)
	;;#ASMEND
	v_cmp_ne_u16_sdwa s[20:21], v35, v39 src0_sel:BYTE_0 src1_sel:DWORD
	s_or_b64 s[10:11], s[20:21], s[10:11]
	s_andn2_b64 exec, exec, s[10:11]
	s_cbranch_execnz .LBB36_69
; %bb.70:                               ;   in Loop: Header=BB36_66 Depth=1
	s_or_b64 exec, exec, s[10:11]
.LBB36_71:                              ;   in Loop: Header=BB36_66 Depth=1
	s_or_b64 exec, exec, s[8:9]
	v_cmp_eq_u16_sdwa s[8:9], v35, v60 src0_sel:BYTE_0 src1_sel:DWORD
	v_and_b32_e32 v36, s9, v32
	v_or_b32_e32 v36, 0x80000000, v36
	ds_bpermute_b32 v42, v45, v33
	ds_bpermute_b32 v61, v45, v34
	v_and_b32_e32 v43, s8, v31
	v_ffbl_b32_e32 v36, v36
	v_add_u32_e32 v36, 32, v36
	v_ffbl_b32_e32 v43, v43
	v_min_u32_e32 v36, v43, v36
	v_cmp_le_u32_e32 vcc, v46, v36
	s_and_saveexec_b64 s[8:9], vcc
	s_cbranch_execz .LBB36_73
; %bb.72:                               ;   in Loop: Header=BB36_66 Depth=1
	s_waitcnt lgkmcnt(0)
	v_mov_b32_e32 v43, v61
	v_cmp_lt_u64_e32 vcc, v[42:43], v[33:34]
	v_cndmask_b32_e32 v34, v34, v61, vcc
	v_cndmask_b32_e32 v33, v33, v42, vcc
.LBB36_73:                              ;   in Loop: Header=BB36_66 Depth=1
	s_or_b64 exec, exec, s[8:9]
	s_waitcnt lgkmcnt(1)
	ds_bpermute_b32 v42, v47, v33
	s_waitcnt lgkmcnt(1)
	ds_bpermute_b32 v61, v47, v34
	v_cmp_le_u32_e32 vcc, v48, v36
	s_and_saveexec_b64 s[8:9], vcc
	s_cbranch_execz .LBB36_75
; %bb.74:                               ;   in Loop: Header=BB36_66 Depth=1
	s_waitcnt lgkmcnt(0)
	v_mov_b32_e32 v43, v61
	v_cmp_lt_u64_e32 vcc, v[42:43], v[33:34]
	v_cndmask_b32_e32 v34, v34, v61, vcc
	v_cndmask_b32_e32 v33, v33, v42, vcc
.LBB36_75:                              ;   in Loop: Header=BB36_66 Depth=1
	s_or_b64 exec, exec, s[8:9]
	s_waitcnt lgkmcnt(1)
	ds_bpermute_b32 v42, v49, v33
	s_waitcnt lgkmcnt(1)
	ds_bpermute_b32 v61, v49, v34
	;; [unrolled: 15-line block ×4, first 2 shown]
	v_cmp_le_u32_e32 vcc, v54, v36
	s_and_saveexec_b64 s[8:9], vcc
	s_cbranch_execz .LBB36_64
; %bb.80:                               ;   in Loop: Header=BB36_66 Depth=1
	s_waitcnt lgkmcnt(0)
	v_mov_b32_e32 v43, v61
	v_cmp_lt_u64_e32 vcc, v[42:43], v[33:34]
	v_cndmask_b32_e32 v34, v34, v61, vcc
	v_cndmask_b32_e32 v33, v33, v42, vcc
	s_branch .LBB36_64
.LBB36_81:
	s_and_saveexec_b64 s[8:9], s[0:1]
	s_cbranch_execz .LBB36_83
; %bb.82:
	s_add_i32 s0, s6, 64
	s_mov_b32 s1, 0
	s_lshl_b64 s[0:1], s[0:1], 4
	s_add_u32 s0, s16, s0
	v_cmp_lt_u64_e32 vcc, v[40:41], v[29:30]
	s_addc_u32 s1, s17, s1
	v_mov_b32_e32 v34, s1
	v_cndmask_b32_e32 v30, v30, v41, vcc
	v_cndmask_b32_e32 v29, v29, v40, vcc
	v_mov_b32_e32 v31, 2
	v_mov_b32_e32 v32, 0
	;; [unrolled: 1-line block ×3, first 2 shown]
	;;#ASMSTART
	global_store_dwordx4 v[33:34], v[29:32] off	
s_waitcnt vmcnt(0)
	;;#ASMEND
.LBB36_83:
	s_or_b64 exec, exec, s[8:9]
	v_cmp_eq_u32_e32 vcc, 0, v0
	s_and_saveexec_b64 s[0:1], vcc
; %bb.84:
	v_mov_b32_e32 v29, 0
	ds_write_b64 v29, v[40:41]
; %bb.85:
	s_or_b64 exec, exec, s[0:1]
	v_mov_b32_e32 v29, 0
	s_waitcnt lgkmcnt(0)
	; wave barrier
	ds_read_b64 v[29:30], v29
	v_mov_b32_e32 v38, v44
	v_cmp_lt_u64_e64 s[0:1], v[37:38], v[1:2]
	v_cndmask_b32_e64 v31, v2, v44, s[0:1]
	v_cndmask_b32_e64 v33, v1, v37, s[0:1]
	v_cndmask_b32_e32 v32, v31, v2, vcc
	v_cndmask_b32_e32 v31, v33, v1, vcc
	s_waitcnt lgkmcnt(0)
	v_cmp_lt_u64_e32 vcc, v[29:30], v[31:32]
	v_cndmask_b32_e32 v30, v32, v30, vcc
	v_cndmask_b32_e32 v29, v31, v29, vcc
	v_cmp_lt_u64_e32 vcc, v[29:30], v[3:4]
	v_cndmask_b32_e32 v32, v4, v30, vcc
	v_cndmask_b32_e32 v31, v3, v29, vcc
	;; [unrolled: 3-line block ×14, first 2 shown]
	s_load_dwordx4 s[8:11], s[4:5], 0x38
	s_branch .LBB36_106
.LBB36_86:
                                        ; implicit-def: $vgpr29_vgpr30
                                        ; implicit-def: $vgpr33_vgpr34
                                        ; implicit-def: $vgpr37_vgpr38
                                        ; implicit-def: $vgpr41_vgpr42
                                        ; implicit-def: $vgpr45_vgpr46
                                        ; implicit-def: $vgpr49_vgpr50
                                        ; implicit-def: $vgpr53_vgpr54
	s_load_dwordx4 s[8:11], s[4:5], 0x38
	s_cbranch_execz .LBB36_106
; %bb.87:
	s_load_dword s0, s[4:5], 0x48
	v_cmp_eq_u32_e32 vcc, 0, v0
	s_waitcnt lgkmcnt(0)
	s_bitcmp1_b32 s0, 0
	s_cselect_b64 s[0:1], -1, 0
	s_and_b64 s[0:1], vcc, s[0:1]
	s_and_saveexec_b64 s[6:7], s[0:1]
	s_cbranch_execz .LBB36_89
; %bb.88:
	v_mov_b32_e32 v29, 0
	global_load_dwordx2 v[29:30], v29, s[8:9]
	s_waitcnt vmcnt(0)
	v_cmp_lt_u64_e64 s[0:1], v[29:30], v[1:2]
	v_cndmask_b32_e64 v2, v2, v30, s[0:1]
	v_cndmask_b32_e64 v1, v1, v29, s[0:1]
.LBB36_89:
	s_or_b64 exec, exec, s[6:7]
	v_cmp_lt_u64_e64 s[0:1], v[1:2], v[3:4]
	v_mbcnt_hi_u32_b32 v33, -1, v59
	v_cndmask_b32_e64 v30, v4, v2, s[0:1]
	v_cndmask_b32_e64 v29, v3, v1, s[0:1]
	v_cmp_lt_u64_e64 s[0:1], v[29:30], v[25:26]
	v_and_b32_e32 v34, 15, v33
	v_cndmask_b32_e64 v30, v26, v30, s[0:1]
	v_cndmask_b32_e64 v29, v25, v29, s[0:1]
	v_cmp_lt_u64_e64 s[0:1], v[29:30], v[27:28]
	v_cndmask_b32_e64 v30, v28, v30, s[0:1]
	v_cndmask_b32_e64 v29, v27, v29, s[0:1]
	v_cmp_lt_u64_e64 s[0:1], v[29:30], v[21:22]
	;; [unrolled: 3-line block ×11, first 2 shown]
	v_cndmask_b32_e64 v30, v8, v30, s[0:1]
	v_cndmask_b32_e64 v29, v7, v29, s[0:1]
	s_nop 0
	v_mov_b32_dpp v35, v30 row_shr:1 row_mask:0xf bank_mask:0xf
	v_cmp_ne_u32_e64 s[0:1], 0, v34
	v_mov_b32_dpp v31, v29 row_shr:1 row_mask:0xf bank_mask:0xf
	s_and_saveexec_b64 s[6:7], s[0:1]
; %bb.90:
	v_mov_b32_e32 v32, v35
	v_cmp_lt_u64_e64 s[0:1], v[31:32], v[29:30]
	v_cndmask_b32_e64 v30, v30, v35, s[0:1]
	v_cndmask_b32_e64 v29, v29, v31, s[0:1]
; %bb.91:
	s_or_b64 exec, exec, s[6:7]
	s_nop 0
	v_mov_b32_dpp v31, v29 row_shr:2 row_mask:0xf bank_mask:0xf
	v_mov_b32_dpp v35, v30 row_shr:2 row_mask:0xf bank_mask:0xf
	v_cmp_lt_u32_e64 s[0:1], 1, v34
	s_and_saveexec_b64 s[6:7], s[0:1]
; %bb.92:
	v_mov_b32_e32 v32, v35
	v_cmp_lt_u64_e64 s[0:1], v[31:32], v[29:30]
	v_cndmask_b32_e64 v30, v30, v35, s[0:1]
	v_cndmask_b32_e64 v29, v29, v31, s[0:1]
; %bb.93:
	s_or_b64 exec, exec, s[6:7]
	s_nop 0
	v_mov_b32_dpp v31, v29 row_shr:4 row_mask:0xf bank_mask:0xf
	v_mov_b32_dpp v35, v30 row_shr:4 row_mask:0xf bank_mask:0xf
	v_cmp_lt_u32_e64 s[0:1], 3, v34
	;; [unrolled: 12-line block ×3, first 2 shown]
	s_and_saveexec_b64 s[6:7], s[0:1]
; %bb.96:
	v_mov_b32_e32 v32, v35
	v_cmp_lt_u64_e64 s[0:1], v[31:32], v[29:30]
	v_cndmask_b32_e64 v30, v30, v35, s[0:1]
	v_cndmask_b32_e64 v29, v29, v31, s[0:1]
; %bb.97:
	s_or_b64 exec, exec, s[6:7]
	v_and_b32_e32 v32, 16, v33
	v_mov_b32_dpp v31, v29 row_bcast:15 row_mask:0xf bank_mask:0xf
	v_mov_b32_dpp v34, v30 row_bcast:15 row_mask:0xf bank_mask:0xf
	v_cmp_ne_u32_e64 s[0:1], 0, v32
	s_and_saveexec_b64 s[6:7], s[0:1]
; %bb.98:
	v_mov_b32_e32 v32, v34
	v_cmp_lt_u64_e64 s[0:1], v[31:32], v[29:30]
	v_cndmask_b32_e64 v30, v30, v34, s[0:1]
	v_cndmask_b32_e64 v29, v29, v31, s[0:1]
; %bb.99:
	s_or_b64 exec, exec, s[6:7]
	s_nop 0
	v_mov_b32_dpp v31, v29 row_bcast:31 row_mask:0xf bank_mask:0xf
	v_mov_b32_dpp v34, v30 row_bcast:31 row_mask:0xf bank_mask:0xf
	v_cmp_lt_u32_e64 s[0:1], 31, v33
	s_and_saveexec_b64 s[6:7], s[0:1]
; %bb.100:
	v_mov_b32_e32 v32, v34
	v_cmp_lt_u64_e64 s[0:1], v[31:32], v[29:30]
	v_cndmask_b32_e64 v30, v30, v34, s[0:1]
	v_cndmask_b32_e64 v29, v29, v31, s[0:1]
; %bb.101:
	s_or_b64 exec, exec, s[6:7]
	v_cmp_eq_u32_e64 s[0:1], 63, v0
	s_and_saveexec_b64 s[6:7], s[0:1]
; %bb.102:
	v_mov_b32_e32 v31, 0
	ds_write_b64 v31, v[29:30]
; %bb.103:
	s_or_b64 exec, exec, s[6:7]
	v_add_u32_e32 v31, -1, v33
	v_and_b32_e32 v32, 64, v33
	v_cmp_lt_i32_e64 s[0:1], v31, v32
	v_cndmask_b32_e64 v31, v31, v33, s[0:1]
	v_lshlrev_b32_e32 v31, 2, v31
	ds_bpermute_b32 v29, v31, v29
	ds_bpermute_b32 v30, v31, v30
	s_waitcnt lgkmcnt(0)
	; wave barrier
	v_cmp_lt_u64_e64 s[0:1], v[29:30], v[1:2]
	v_cndmask_b32_e64 v30, v2, v30, s[0:1]
	v_cndmask_b32_e64 v29, v1, v29, s[0:1]
	v_cndmask_b32_e32 v32, v30, v2, vcc
	v_cndmask_b32_e32 v31, v29, v1, vcc
	v_cmp_lt_u64_e64 s[0:1], v[31:32], v[3:4]
	v_cndmask_b32_e64 v32, v4, v32, s[0:1]
	v_cndmask_b32_e64 v31, v3, v31, s[0:1]
	v_cmp_lt_u64_e64 s[0:1], v[31:32], v[25:26]
	v_cndmask_b32_e64 v34, v26, v32, s[0:1]
	v_cndmask_b32_e64 v33, v25, v31, s[0:1]
	;; [unrolled: 3-line block ×13, first 2 shown]
	s_and_saveexec_b64 s[0:1], vcc
	s_cbranch_execz .LBB36_105
; %bb.104:
	s_add_u32 s6, s16, 0x400
	s_addc_u32 s7, s17, 0
	v_mov_b32_e32 v6, 0
	v_mov_b32_e32 v8, s7
	ds_read_b64 v[3:4], v6
	v_mov_b32_e32 v5, 2
	v_mov_b32_e32 v7, s6
	s_waitcnt lgkmcnt(0)
	;;#ASMSTART
	global_store_dwordx4 v[7:8], v[3:6] off	
s_waitcnt vmcnt(0)
	;;#ASMEND
	v_mov_b32_e32 v30, v2
	v_mov_b32_e32 v29, v1
.LBB36_105:
	s_or_b64 exec, exec, s[0:1]
.LBB36_106:
	s_add_u32 s0, s2, s14
	s_addc_u32 s1, s3, s15
	s_mov_b64 s[2:3], -1
	s_and_b64 vcc, exec, s[12:13]
	s_waitcnt lgkmcnt(0)
	; wave barrier
	s_cbranch_vccz .LBB36_108
; %bb.107:
	ds_write_b128 v58, v[29:32]
	ds_write_b128 v58, v[33:36] offset:16
	ds_write_b128 v58, v[37:40] offset:32
	;; [unrolled: 1-line block ×6, first 2 shown]
	s_waitcnt lgkmcnt(0)
	; wave barrier
	ds_read2st64_b64 v[1:4], v57 offset1:1
	ds_read2st64_b64 v[5:8], v57 offset0:2 offset1:3
	ds_read2st64_b64 v[9:12], v57 offset0:4 offset1:5
	;; [unrolled: 1-line block ×6, first 2 shown]
	v_mov_b32_e32 v59, s1
	v_add_co_u32_e32 v60, vcc, s0, v57
	v_addc_co_u32_e32 v59, vcc, 0, v59, vcc
	s_waitcnt lgkmcnt(6)
	global_store_dwordx2 v57, v[1:2], s[0:1]
	global_store_dwordx2 v57, v[3:4], s[0:1] offset:512
	s_waitcnt lgkmcnt(5)
	global_store_dwordx2 v57, v[5:6], s[0:1] offset:1024
	global_store_dwordx2 v57, v[7:8], s[0:1] offset:1536
	s_waitcnt lgkmcnt(4)
	global_store_dwordx2 v57, v[9:10], s[0:1] offset:2048
	;; [unrolled: 3-line block ×3, first 2 shown]
	global_store_dwordx2 v57, v[15:16], s[0:1] offset:3584
	v_add_co_u32_e32 v1, vcc, 0x1000, v60
	v_addc_co_u32_e32 v2, vcc, 0, v59, vcc
	s_waitcnt lgkmcnt(2)
	global_store_dwordx2 v[1:2], v[17:18], off
	global_store_dwordx2 v[1:2], v[19:20], off offset:512
	s_waitcnt lgkmcnt(1)
	global_store_dwordx2 v[1:2], v[21:22], off offset:1024
	global_store_dwordx2 v[1:2], v[23:24], off offset:1536
	s_waitcnt lgkmcnt(0)
	global_store_dwordx2 v[1:2], v[25:26], off offset:2048
	global_store_dwordx2 v[1:2], v[27:28], off offset:2560
	s_mov_b64 s[2:3], 0
.LBB36_108:
	s_andn2_b64 vcc, exec, s[2:3]
	s_cbranch_vccnz .LBB36_188
; %bb.109:
	s_movk_i32 s2, 0xff98
	v_mad_i32_i24 v26, v0, s2, v58
	ds_write_b128 v58, v[29:32]
	ds_write_b128 v58, v[33:36] offset:16
	ds_write_b128 v58, v[37:40] offset:32
	;; [unrolled: 1-line block ×6, first 2 shown]
	s_waitcnt lgkmcnt(0)
	; wave barrier
	ds_read2st64_b64 v[6:9], v26 offset1:1
	ds_read2st64_b64 v[10:13], v26 offset0:2 offset1:3
	ds_read2st64_b64 v[14:17], v26 offset0:4 offset1:5
	;; [unrolled: 1-line block ×6, first 2 shown]
	v_mov_b32_e32 v31, s1
	v_add_co_u32_e32 v30, vcc, s0, v57
	v_addc_co_u32_e32 v31, vcc, 0, v31, vcc
	v_mov_b32_e32 v1, 0
	v_cmp_gt_u32_e32 vcc, s18, v0
	s_and_saveexec_b64 s[0:1], vcc
	s_cbranch_execz .LBB36_111
; %bb.110:
	s_waitcnt lgkmcnt(6)
	global_store_dwordx2 v[30:31], v[6:7], off
.LBB36_111:
	s_or_b64 exec, exec, s[0:1]
	v_or_b32_e32 v32, 64, v0
	v_cmp_gt_u32_e32 vcc, s18, v32
	s_and_saveexec_b64 s[0:1], vcc
	s_cbranch_execz .LBB36_113
; %bb.112:
	s_waitcnt lgkmcnt(6)
	global_store_dwordx2 v[30:31], v[8:9], off offset:512
.LBB36_113:
	s_or_b64 exec, exec, s[0:1]
	v_or_b32_e32 v32, 0x80, v0
	v_cmp_gt_u32_e32 vcc, s18, v32
	s_and_saveexec_b64 s[0:1], vcc
	s_cbranch_execz .LBB36_115
; %bb.114:
	s_waitcnt lgkmcnt(5)
	global_store_dwordx2 v[30:31], v[10:11], off offset:1024
.LBB36_115:
	;; [unrolled: 9-line block ×7, first 2 shown]
	s_or_b64 exec, exec, s[0:1]
	v_or_b32_e32 v32, 0x200, v0
	v_cmp_gt_u32_e32 vcc, s18, v32
	s_and_saveexec_b64 s[0:1], vcc
	s_cbranch_execz .LBB36_127
; %bb.126:
	v_add_co_u32_e32 v32, vcc, 0x1000, v30
	v_addc_co_u32_e32 v33, vcc, 0, v31, vcc
	s_waitcnt lgkmcnt(2)
	global_store_dwordx2 v[32:33], v[22:23], off
.LBB36_127:
	s_or_b64 exec, exec, s[0:1]
	v_or_b32_e32 v32, 0x240, v0
	v_cmp_gt_u32_e32 vcc, s18, v32
	s_and_saveexec_b64 s[0:1], vcc
	s_cbranch_execz .LBB36_129
; %bb.128:
	v_add_co_u32_e32 v32, vcc, 0x1000, v30
	v_addc_co_u32_e32 v33, vcc, 0, v31, vcc
	s_waitcnt lgkmcnt(2)
	global_store_dwordx2 v[32:33], v[24:25], off offset:512
.LBB36_129:
	s_or_b64 exec, exec, s[0:1]
	v_or_b32_e32 v32, 0x280, v0
	v_cmp_gt_u32_e32 vcc, s18, v32
	s_and_saveexec_b64 s[0:1], vcc
	s_cbranch_execz .LBB36_131
; %bb.130:
	v_add_co_u32_e32 v32, vcc, 0x1000, v30
	v_addc_co_u32_e32 v33, vcc, 0, v31, vcc
	s_waitcnt lgkmcnt(1)
	global_store_dwordx2 v[32:33], v[18:19], off offset:1024
.LBB36_131:
	;; [unrolled: 11-line block ×5, first 2 shown]
	s_or_b64 exec, exec, s[0:1]
	s_load_dword s0, s[4:5], 0x48
	s_waitcnt lgkmcnt(0)
	s_bfe_u32 s0, s0, 0x10008
	s_cmp_eq_u32 s0, 0
	s_cbranch_scc1 .LBB36_188
; %bb.138:
	s_add_u32 s0, s18, -1
	s_addc_u32 s1, s19, -1
	s_lshr_b64 s[2:3], s[0:1], 1
	s_lshr_b32 s5, s1, 1
	s_mul_hi_u32 s3, s2, 0x49249249
	s_mul_i32 s4, s2, 0x49249249
	s_mul_i32 s7, s5, 0x24924925
	s_mul_hi_u32 s2, s2, 0x24924925
	s_mul_hi_u32 s6, s5, 0x24924925
	s_add_u32 s2, s7, s2
	s_addc_u32 s6, s6, 0
	s_add_u32 s2, s4, s2
	s_addc_u32 s2, s3, 0
	;; [unrolled: 2-line block ×3, first 2 shown]
	s_mul_hi_u32 s4, s5, 0x49249249
	s_mul_i32 s5, s5, 0x49249249
	s_add_u32 s2, s5, s2
	s_addc_u32 s3, s4, s3
	s_lshr_b64 s[2:3], s[2:3], 1
	v_cmp_eq_u64_e32 vcc, s[2:3], v[0:1]
	s_and_saveexec_b64 s[2:3], vcc
	s_cbranch_execz .LBB36_188
; %bb.139:
	v_mul_hi_u32_u24_e32 v1, 14, v0
	v_mul_u32_u24_e32 v0, 14, v0
	v_mov_b32_e32 v30, s1
	v_sub_co_u32_e32 v0, vcc, s0, v0
	v_subb_co_u32_e32 v1, vcc, v30, v1, vcc
	v_cmp_lt_i64_e32 vcc, 6, v[0:1]
	s_and_saveexec_b64 s[0:1], vcc
	s_xor_b64 s[0:1], exec, s[0:1]
	s_cbranch_execz .LBB36_165
; %bb.140:
	v_cmp_lt_i64_e32 vcc, 9, v[0:1]
	s_and_saveexec_b64 s[2:3], vcc
	s_xor_b64 s[2:3], exec, s[2:3]
	s_cbranch_execz .LBB36_154
; %bb.141:
	;; [unrolled: 5-line block ×4, first 2 shown]
	v_mov_b32_e32 v0, 0
	global_store_dwordx2 v0, v[28:29], s[10:11]
                                        ; implicit-def: $vgpr26_vgpr27_vgpr28_vgpr29
.LBB36_144:
	s_andn2_saveexec_b64 s[6:7], s[6:7]
	s_cbranch_execz .LBB36_146
; %bb.145:
	v_mov_b32_e32 v0, 0
	global_store_dwordx2 v0, v[26:27], s[10:11]
.LBB36_146:
	s_or_b64 exec, exec, s[6:7]
                                        ; implicit-def: $vgpr18_vgpr19_vgpr20_vgpr21
                                        ; implicit-def: $vgpr0_vgpr1
.LBB36_147:
	s_andn2_saveexec_b64 s[4:5], s[4:5]
	s_cbranch_execz .LBB36_153
; %bb.148:
	v_cmp_lt_i64_e32 vcc, 10, v[0:1]
	s_and_saveexec_b64 s[6:7], vcc
	s_xor_b64 s[6:7], exec, s[6:7]
	s_cbranch_execz .LBB36_150
; %bb.149:
	v_mov_b32_e32 v0, 0
	global_store_dwordx2 v0, v[20:21], s[10:11]
                                        ; implicit-def: $vgpr18_vgpr19_vgpr20_vgpr21
.LBB36_150:
	s_andn2_saveexec_b64 s[6:7], s[6:7]
	s_cbranch_execz .LBB36_152
; %bb.151:
	v_mov_b32_e32 v0, 0
	global_store_dwordx2 v0, v[18:19], s[10:11]
.LBB36_152:
	s_or_b64 exec, exec, s[6:7]
.LBB36_153:
	s_or_b64 exec, exec, s[4:5]
                                        ; implicit-def: $vgpr2_vgpr3_vgpr4_vgpr5
                                        ; implicit-def: $vgpr0_vgpr1
                                        ; implicit-def: $vgpr22_vgpr23_vgpr24_vgpr25
.LBB36_154:
	s_andn2_saveexec_b64 s[2:3], s[2:3]
	s_cbranch_execz .LBB36_164
; %bb.155:
	v_cmp_lt_i64_e32 vcc, 7, v[0:1]
	s_and_saveexec_b64 s[4:5], vcc
	s_xor_b64 s[4:5], exec, s[4:5]
	s_cbranch_execz .LBB36_161
; %bb.156:
	v_cmp_lt_i64_e32 vcc, 8, v[0:1]
	s_and_saveexec_b64 s[6:7], vcc
	s_xor_b64 s[6:7], exec, s[6:7]
	s_cbranch_execz .LBB36_158
; %bb.157:
	v_mov_b32_e32 v0, 0
	global_store_dwordx2 v0, v[24:25], s[10:11]
                                        ; implicit-def: $vgpr22_vgpr23_vgpr24_vgpr25
.LBB36_158:
	s_andn2_saveexec_b64 s[6:7], s[6:7]
	s_cbranch_execz .LBB36_160
; %bb.159:
	v_mov_b32_e32 v0, 0
	global_store_dwordx2 v0, v[22:23], s[10:11]
.LBB36_160:
	s_or_b64 exec, exec, s[6:7]
                                        ; implicit-def: $vgpr2_vgpr3_vgpr4_vgpr5
.LBB36_161:
	s_andn2_saveexec_b64 s[4:5], s[4:5]
	s_cbranch_execz .LBB36_163
; %bb.162:
	v_mov_b32_e32 v0, 0
	global_store_dwordx2 v0, v[4:5], s[10:11]
.LBB36_163:
	s_or_b64 exec, exec, s[4:5]
.LBB36_164:
	s_or_b64 exec, exec, s[2:3]
                                        ; implicit-def: $vgpr0_vgpr1
                                        ; implicit-def: $vgpr14_vgpr15_vgpr16_vgpr17
                                        ; implicit-def: $vgpr6_vgpr7_vgpr8_vgpr9
                                        ; implicit-def: $vgpr10_vgpr11_vgpr12_vgpr13
                                        ; implicit-def: $vgpr2_vgpr3_vgpr4_vgpr5
.LBB36_165:
	s_andn2_saveexec_b64 s[0:1], s[0:1]
	s_cbranch_execz .LBB36_188
; %bb.166:
	v_cmp_lt_i64_e32 vcc, 3, v[0:1]
	s_and_saveexec_b64 s[0:1], vcc
	s_xor_b64 s[0:1], exec, s[0:1]
	s_cbranch_execz .LBB36_176
; %bb.167:
	v_cmp_lt_i64_e32 vcc, 4, v[0:1]
	s_and_saveexec_b64 s[2:3], vcc
	s_xor_b64 s[2:3], exec, s[2:3]
	;; [unrolled: 5-line block ×3, first 2 shown]
	s_cbranch_execz .LBB36_170
; %bb.169:
	v_mov_b32_e32 v0, 0
	global_store_dwordx2 v0, v[2:3], s[10:11]
                                        ; implicit-def: $vgpr14_vgpr15_vgpr16_vgpr17
.LBB36_170:
	s_andn2_saveexec_b64 s[4:5], s[4:5]
	s_cbranch_execz .LBB36_172
; %bb.171:
	v_mov_b32_e32 v0, 0
	global_store_dwordx2 v0, v[16:17], s[10:11]
.LBB36_172:
	s_or_b64 exec, exec, s[4:5]
                                        ; implicit-def: $vgpr14_vgpr15_vgpr16_vgpr17
.LBB36_173:
	s_andn2_saveexec_b64 s[2:3], s[2:3]
	s_cbranch_execz .LBB36_175
; %bb.174:
	v_mov_b32_e32 v0, 0
	global_store_dwordx2 v0, v[14:15], s[10:11]
.LBB36_175:
	s_or_b64 exec, exec, s[2:3]
                                        ; implicit-def: $vgpr0_vgpr1
                                        ; implicit-def: $vgpr6_vgpr7_vgpr8_vgpr9
                                        ; implicit-def: $vgpr10_vgpr11_vgpr12_vgpr13
.LBB36_176:
	s_andn2_saveexec_b64 s[0:1], s[0:1]
	s_cbranch_execz .LBB36_188
; %bb.177:
	v_cmp_lt_i64_e32 vcc, 1, v[0:1]
	s_and_saveexec_b64 s[0:1], vcc
	s_xor_b64 s[0:1], exec, s[0:1]
	s_cbranch_execz .LBB36_183
; %bb.178:
	v_cmp_lt_i64_e32 vcc, 2, v[0:1]
	s_and_saveexec_b64 s[2:3], vcc
	s_xor_b64 s[2:3], exec, s[2:3]
	s_cbranch_execz .LBB36_180
; %bb.179:
	v_mov_b32_e32 v0, 0
	global_store_dwordx2 v0, v[12:13], s[10:11]
                                        ; implicit-def: $vgpr10_vgpr11_vgpr12_vgpr13
.LBB36_180:
	s_andn2_saveexec_b64 s[2:3], s[2:3]
	s_cbranch_execz .LBB36_182
; %bb.181:
	v_mov_b32_e32 v0, 0
	global_store_dwordx2 v0, v[10:11], s[10:11]
.LBB36_182:
	s_or_b64 exec, exec, s[2:3]
                                        ; implicit-def: $vgpr6_vgpr7_vgpr8_vgpr9
                                        ; implicit-def: $vgpr0_vgpr1
.LBB36_183:
	s_andn2_saveexec_b64 s[0:1], s[0:1]
	s_cbranch_execz .LBB36_188
; %bb.184:
	v_cmp_ne_u64_e32 vcc, 1, v[0:1]
	s_and_saveexec_b64 s[0:1], vcc
	s_xor_b64 s[0:1], exec, s[0:1]
	s_cbranch_execz .LBB36_186
; %bb.185:
	v_mov_b32_e32 v0, 0
	global_store_dwordx2 v0, v[6:7], s[10:11]
                                        ; implicit-def: $vgpr6_vgpr7_vgpr8_vgpr9
.LBB36_186:
	s_andn2_saveexec_b64 s[0:1], s[0:1]
	s_cbranch_execz .LBB36_188
; %bb.187:
	v_mov_b32_e32 v0, 0
	global_store_dwordx2 v0, v[8:9], s[10:11]
.LBB36_188:
	s_endpgm
	.section	.rodata,"a",@progbits
	.p2align	6, 0x0
	.amdhsa_kernel _ZN7rocprim6detail20lookback_scan_kernelILNS0_25lookback_scan_determinismE0ELb0ENS0_19wrapped_scan_configINS_14default_configEyEEPyS6_N6hipcub3MinEyyNS0_19lookback_scan_stateIyLb0ELb1EEEEEvT2_T3_mT5_T4_T7_jPT6_SH_bb
		.amdhsa_group_segment_fixed_size 7168
		.amdhsa_private_segment_fixed_size 0
		.amdhsa_kernarg_size 76
		.amdhsa_user_sgpr_count 6
		.amdhsa_user_sgpr_private_segment_buffer 1
		.amdhsa_user_sgpr_dispatch_ptr 0
		.amdhsa_user_sgpr_queue_ptr 0
		.amdhsa_user_sgpr_kernarg_segment_ptr 1
		.amdhsa_user_sgpr_dispatch_id 0
		.amdhsa_user_sgpr_flat_scratch_init 0
		.amdhsa_user_sgpr_private_segment_size 0
		.amdhsa_uses_dynamic_stack 0
		.amdhsa_system_sgpr_private_segment_wavefront_offset 0
		.amdhsa_system_sgpr_workgroup_id_x 1
		.amdhsa_system_sgpr_workgroup_id_y 0
		.amdhsa_system_sgpr_workgroup_id_z 0
		.amdhsa_system_sgpr_workgroup_info 0
		.amdhsa_system_vgpr_workitem_id 0
		.amdhsa_next_free_vgpr 65
		.amdhsa_next_free_sgpr 98
		.amdhsa_reserve_vcc 1
		.amdhsa_reserve_flat_scratch 0
		.amdhsa_float_round_mode_32 0
		.amdhsa_float_round_mode_16_64 0
		.amdhsa_float_denorm_mode_32 3
		.amdhsa_float_denorm_mode_16_64 3
		.amdhsa_dx10_clamp 1
		.amdhsa_ieee_mode 1
		.amdhsa_fp16_overflow 0
		.amdhsa_exception_fp_ieee_invalid_op 0
		.amdhsa_exception_fp_denorm_src 0
		.amdhsa_exception_fp_ieee_div_zero 0
		.amdhsa_exception_fp_ieee_overflow 0
		.amdhsa_exception_fp_ieee_underflow 0
		.amdhsa_exception_fp_ieee_inexact 0
		.amdhsa_exception_int_div_zero 0
	.end_amdhsa_kernel
	.section	.text._ZN7rocprim6detail20lookback_scan_kernelILNS0_25lookback_scan_determinismE0ELb0ENS0_19wrapped_scan_configINS_14default_configEyEEPyS6_N6hipcub3MinEyyNS0_19lookback_scan_stateIyLb0ELb1EEEEEvT2_T3_mT5_T4_T7_jPT6_SH_bb,"axG",@progbits,_ZN7rocprim6detail20lookback_scan_kernelILNS0_25lookback_scan_determinismE0ELb0ENS0_19wrapped_scan_configINS_14default_configEyEEPyS6_N6hipcub3MinEyyNS0_19lookback_scan_stateIyLb0ELb1EEEEEvT2_T3_mT5_T4_T7_jPT6_SH_bb,comdat
.Lfunc_end36:
	.size	_ZN7rocprim6detail20lookback_scan_kernelILNS0_25lookback_scan_determinismE0ELb0ENS0_19wrapped_scan_configINS_14default_configEyEEPyS6_N6hipcub3MinEyyNS0_19lookback_scan_stateIyLb0ELb1EEEEEvT2_T3_mT5_T4_T7_jPT6_SH_bb, .Lfunc_end36-_ZN7rocprim6detail20lookback_scan_kernelILNS0_25lookback_scan_determinismE0ELb0ENS0_19wrapped_scan_configINS_14default_configEyEEPyS6_N6hipcub3MinEyyNS0_19lookback_scan_stateIyLb0ELb1EEEEEvT2_T3_mT5_T4_T7_jPT6_SH_bb
                                        ; -- End function
	.set _ZN7rocprim6detail20lookback_scan_kernelILNS0_25lookback_scan_determinismE0ELb0ENS0_19wrapped_scan_configINS_14default_configEyEEPyS6_N6hipcub3MinEyyNS0_19lookback_scan_stateIyLb0ELb1EEEEEvT2_T3_mT5_T4_T7_jPT6_SH_bb.num_vgpr, 62
	.set _ZN7rocprim6detail20lookback_scan_kernelILNS0_25lookback_scan_determinismE0ELb0ENS0_19wrapped_scan_configINS_14default_configEyEEPyS6_N6hipcub3MinEyyNS0_19lookback_scan_stateIyLb0ELb1EEEEEvT2_T3_mT5_T4_T7_jPT6_SH_bb.num_agpr, 0
	.set _ZN7rocprim6detail20lookback_scan_kernelILNS0_25lookback_scan_determinismE0ELb0ENS0_19wrapped_scan_configINS_14default_configEyEEPyS6_N6hipcub3MinEyyNS0_19lookback_scan_stateIyLb0ELb1EEEEEvT2_T3_mT5_T4_T7_jPT6_SH_bb.numbered_sgpr, 22
	.set _ZN7rocprim6detail20lookback_scan_kernelILNS0_25lookback_scan_determinismE0ELb0ENS0_19wrapped_scan_configINS_14default_configEyEEPyS6_N6hipcub3MinEyyNS0_19lookback_scan_stateIyLb0ELb1EEEEEvT2_T3_mT5_T4_T7_jPT6_SH_bb.num_named_barrier, 0
	.set _ZN7rocprim6detail20lookback_scan_kernelILNS0_25lookback_scan_determinismE0ELb0ENS0_19wrapped_scan_configINS_14default_configEyEEPyS6_N6hipcub3MinEyyNS0_19lookback_scan_stateIyLb0ELb1EEEEEvT2_T3_mT5_T4_T7_jPT6_SH_bb.private_seg_size, 0
	.set _ZN7rocprim6detail20lookback_scan_kernelILNS0_25lookback_scan_determinismE0ELb0ENS0_19wrapped_scan_configINS_14default_configEyEEPyS6_N6hipcub3MinEyyNS0_19lookback_scan_stateIyLb0ELb1EEEEEvT2_T3_mT5_T4_T7_jPT6_SH_bb.uses_vcc, 1
	.set _ZN7rocprim6detail20lookback_scan_kernelILNS0_25lookback_scan_determinismE0ELb0ENS0_19wrapped_scan_configINS_14default_configEyEEPyS6_N6hipcub3MinEyyNS0_19lookback_scan_stateIyLb0ELb1EEEEEvT2_T3_mT5_T4_T7_jPT6_SH_bb.uses_flat_scratch, 0
	.set _ZN7rocprim6detail20lookback_scan_kernelILNS0_25lookback_scan_determinismE0ELb0ENS0_19wrapped_scan_configINS_14default_configEyEEPyS6_N6hipcub3MinEyyNS0_19lookback_scan_stateIyLb0ELb1EEEEEvT2_T3_mT5_T4_T7_jPT6_SH_bb.has_dyn_sized_stack, 0
	.set _ZN7rocprim6detail20lookback_scan_kernelILNS0_25lookback_scan_determinismE0ELb0ENS0_19wrapped_scan_configINS_14default_configEyEEPyS6_N6hipcub3MinEyyNS0_19lookback_scan_stateIyLb0ELb1EEEEEvT2_T3_mT5_T4_T7_jPT6_SH_bb.has_recursion, 0
	.set _ZN7rocprim6detail20lookback_scan_kernelILNS0_25lookback_scan_determinismE0ELb0ENS0_19wrapped_scan_configINS_14default_configEyEEPyS6_N6hipcub3MinEyyNS0_19lookback_scan_stateIyLb0ELb1EEEEEvT2_T3_mT5_T4_T7_jPT6_SH_bb.has_indirect_call, 0
	.section	.AMDGPU.csdata,"",@progbits
; Kernel info:
; codeLenInByte = 6292
; TotalNumSgprs: 26
; NumVgprs: 62
; ScratchSize: 0
; MemoryBound: 0
; FloatMode: 240
; IeeeMode: 1
; LDSByteSize: 7168 bytes/workgroup (compile time only)
; SGPRBlocks: 12
; VGPRBlocks: 16
; NumSGPRsForWavesPerEU: 102
; NumVGPRsForWavesPerEU: 65
; Occupancy: 3
; WaveLimiterHint : 1
; COMPUTE_PGM_RSRC2:SCRATCH_EN: 0
; COMPUTE_PGM_RSRC2:USER_SGPR: 6
; COMPUTE_PGM_RSRC2:TRAP_HANDLER: 0
; COMPUTE_PGM_RSRC2:TGID_X_EN: 1
; COMPUTE_PGM_RSRC2:TGID_Y_EN: 0
; COMPUTE_PGM_RSRC2:TGID_Z_EN: 0
; COMPUTE_PGM_RSRC2:TIDIG_COMP_CNT: 0
	.section	.text._ZN7rocprim6detail16transform_kernelINS0_24wrapped_transform_configINS_14default_configEyEEyPyS5_NS_8identityIyEEEEvT1_mT2_T3_,"axG",@progbits,_ZN7rocprim6detail16transform_kernelINS0_24wrapped_transform_configINS_14default_configEyEEyPyS5_NS_8identityIyEEEEvT1_mT2_T3_,comdat
	.protected	_ZN7rocprim6detail16transform_kernelINS0_24wrapped_transform_configINS_14default_configEyEEyPyS5_NS_8identityIyEEEEvT1_mT2_T3_ ; -- Begin function _ZN7rocprim6detail16transform_kernelINS0_24wrapped_transform_configINS_14default_configEyEEyPyS5_NS_8identityIyEEEEvT1_mT2_T3_
	.globl	_ZN7rocprim6detail16transform_kernelINS0_24wrapped_transform_configINS_14default_configEyEEyPyS5_NS_8identityIyEEEEvT1_mT2_T3_
	.p2align	8
	.type	_ZN7rocprim6detail16transform_kernelINS0_24wrapped_transform_configINS_14default_configEyEEyPyS5_NS_8identityIyEEEEvT1_mT2_T3_,@function
_ZN7rocprim6detail16transform_kernelINS0_24wrapped_transform_configINS_14default_configEyEEyPyS5_NS_8identityIyEEEEvT1_mT2_T3_: ; @_ZN7rocprim6detail16transform_kernelINS0_24wrapped_transform_configINS_14default_configEyEEyPyS5_NS_8identityIyEEEEvT1_mT2_T3_
; %bb.0:
	s_load_dword s7, s[4:5], 0x20
	s_load_dwordx4 s[0:3], s[4:5], 0x0
	s_lshl_b32 s8, s6, 9
	s_waitcnt lgkmcnt(0)
	s_add_i32 s7, s7, -1
	s_cmp_lg_u32 s6, s7
	s_cselect_b64 s[6:7], -1, 0
	s_sub_i32 s2, s2, s8
	v_cmp_gt_u32_e32 vcc, s2, v0
	s_or_b64 s[2:3], vcc, s[6:7]
	s_and_saveexec_b64 s[6:7], s[2:3]
	s_cbranch_execz .LBB37_2
; %bb.1:
	s_load_dwordx2 s[2:3], s[4:5], 0x10
	s_mov_b32 s9, 0
	s_lshl_b64 s[4:5], s[8:9], 3
	v_lshlrev_b32_e32 v2, 3, v0
	s_waitcnt lgkmcnt(0)
	s_add_u32 s2, s2, s4
	s_addc_u32 s3, s3, s5
	s_add_u32 s0, s0, s4
	s_addc_u32 s1, s1, s5
	global_load_dwordx2 v[0:1], v2, s[0:1]
	s_waitcnt vmcnt(0)
	global_store_dwordx2 v2, v[0:1], s[2:3]
.LBB37_2:
	s_endpgm
	.section	.rodata,"a",@progbits
	.p2align	6, 0x0
	.amdhsa_kernel _ZN7rocprim6detail16transform_kernelINS0_24wrapped_transform_configINS_14default_configEyEEyPyS5_NS_8identityIyEEEEvT1_mT2_T3_
		.amdhsa_group_segment_fixed_size 0
		.amdhsa_private_segment_fixed_size 0
		.amdhsa_kernarg_size 288
		.amdhsa_user_sgpr_count 6
		.amdhsa_user_sgpr_private_segment_buffer 1
		.amdhsa_user_sgpr_dispatch_ptr 0
		.amdhsa_user_sgpr_queue_ptr 0
		.amdhsa_user_sgpr_kernarg_segment_ptr 1
		.amdhsa_user_sgpr_dispatch_id 0
		.amdhsa_user_sgpr_flat_scratch_init 0
		.amdhsa_user_sgpr_private_segment_size 0
		.amdhsa_uses_dynamic_stack 0
		.amdhsa_system_sgpr_private_segment_wavefront_offset 0
		.amdhsa_system_sgpr_workgroup_id_x 1
		.amdhsa_system_sgpr_workgroup_id_y 0
		.amdhsa_system_sgpr_workgroup_id_z 0
		.amdhsa_system_sgpr_workgroup_info 0
		.amdhsa_system_vgpr_workitem_id 0
		.amdhsa_next_free_vgpr 3
		.amdhsa_next_free_sgpr 10
		.amdhsa_reserve_vcc 1
		.amdhsa_reserve_flat_scratch 0
		.amdhsa_float_round_mode_32 0
		.amdhsa_float_round_mode_16_64 0
		.amdhsa_float_denorm_mode_32 3
		.amdhsa_float_denorm_mode_16_64 3
		.amdhsa_dx10_clamp 1
		.amdhsa_ieee_mode 1
		.amdhsa_fp16_overflow 0
		.amdhsa_exception_fp_ieee_invalid_op 0
		.amdhsa_exception_fp_denorm_src 0
		.amdhsa_exception_fp_ieee_div_zero 0
		.amdhsa_exception_fp_ieee_overflow 0
		.amdhsa_exception_fp_ieee_underflow 0
		.amdhsa_exception_fp_ieee_inexact 0
		.amdhsa_exception_int_div_zero 0
	.end_amdhsa_kernel
	.section	.text._ZN7rocprim6detail16transform_kernelINS0_24wrapped_transform_configINS_14default_configEyEEyPyS5_NS_8identityIyEEEEvT1_mT2_T3_,"axG",@progbits,_ZN7rocprim6detail16transform_kernelINS0_24wrapped_transform_configINS_14default_configEyEEyPyS5_NS_8identityIyEEEEvT1_mT2_T3_,comdat
.Lfunc_end37:
	.size	_ZN7rocprim6detail16transform_kernelINS0_24wrapped_transform_configINS_14default_configEyEEyPyS5_NS_8identityIyEEEEvT1_mT2_T3_, .Lfunc_end37-_ZN7rocprim6detail16transform_kernelINS0_24wrapped_transform_configINS_14default_configEyEEyPyS5_NS_8identityIyEEEEvT1_mT2_T3_
                                        ; -- End function
	.set _ZN7rocprim6detail16transform_kernelINS0_24wrapped_transform_configINS_14default_configEyEEyPyS5_NS_8identityIyEEEEvT1_mT2_T3_.num_vgpr, 3
	.set _ZN7rocprim6detail16transform_kernelINS0_24wrapped_transform_configINS_14default_configEyEEyPyS5_NS_8identityIyEEEEvT1_mT2_T3_.num_agpr, 0
	.set _ZN7rocprim6detail16transform_kernelINS0_24wrapped_transform_configINS_14default_configEyEEyPyS5_NS_8identityIyEEEEvT1_mT2_T3_.numbered_sgpr, 10
	.set _ZN7rocprim6detail16transform_kernelINS0_24wrapped_transform_configINS_14default_configEyEEyPyS5_NS_8identityIyEEEEvT1_mT2_T3_.num_named_barrier, 0
	.set _ZN7rocprim6detail16transform_kernelINS0_24wrapped_transform_configINS_14default_configEyEEyPyS5_NS_8identityIyEEEEvT1_mT2_T3_.private_seg_size, 0
	.set _ZN7rocprim6detail16transform_kernelINS0_24wrapped_transform_configINS_14default_configEyEEyPyS5_NS_8identityIyEEEEvT1_mT2_T3_.uses_vcc, 1
	.set _ZN7rocprim6detail16transform_kernelINS0_24wrapped_transform_configINS_14default_configEyEEyPyS5_NS_8identityIyEEEEvT1_mT2_T3_.uses_flat_scratch, 0
	.set _ZN7rocprim6detail16transform_kernelINS0_24wrapped_transform_configINS_14default_configEyEEyPyS5_NS_8identityIyEEEEvT1_mT2_T3_.has_dyn_sized_stack, 0
	.set _ZN7rocprim6detail16transform_kernelINS0_24wrapped_transform_configINS_14default_configEyEEyPyS5_NS_8identityIyEEEEvT1_mT2_T3_.has_recursion, 0
	.set _ZN7rocprim6detail16transform_kernelINS0_24wrapped_transform_configINS_14default_configEyEEyPyS5_NS_8identityIyEEEEvT1_mT2_T3_.has_indirect_call, 0
	.section	.AMDGPU.csdata,"",@progbits
; Kernel info:
; codeLenInByte = 120
; TotalNumSgprs: 14
; NumVgprs: 3
; ScratchSize: 0
; MemoryBound: 0
; FloatMode: 240
; IeeeMode: 1
; LDSByteSize: 0 bytes/workgroup (compile time only)
; SGPRBlocks: 1
; VGPRBlocks: 0
; NumSGPRsForWavesPerEU: 14
; NumVGPRsForWavesPerEU: 3
; Occupancy: 10
; WaveLimiterHint : 0
; COMPUTE_PGM_RSRC2:SCRATCH_EN: 0
; COMPUTE_PGM_RSRC2:USER_SGPR: 6
; COMPUTE_PGM_RSRC2:TRAP_HANDLER: 0
; COMPUTE_PGM_RSRC2:TGID_X_EN: 1
; COMPUTE_PGM_RSRC2:TGID_Y_EN: 0
; COMPUTE_PGM_RSRC2:TGID_Z_EN: 0
; COMPUTE_PGM_RSRC2:TIDIG_COMP_CNT: 0
	.section	.text._ZN7rocprim6detail18single_scan_kernelILb0ENS0_19wrapped_scan_configINS_14default_configEyEEPyS5_N6hipcub3MinEyyEEvT1_mT4_T2_T3_,"axG",@progbits,_ZN7rocprim6detail18single_scan_kernelILb0ENS0_19wrapped_scan_configINS_14default_configEyEEPyS5_N6hipcub3MinEyyEEvT1_mT4_T2_T3_,comdat
	.protected	_ZN7rocprim6detail18single_scan_kernelILb0ENS0_19wrapped_scan_configINS_14default_configEyEEPyS5_N6hipcub3MinEyyEEvT1_mT4_T2_T3_ ; -- Begin function _ZN7rocprim6detail18single_scan_kernelILb0ENS0_19wrapped_scan_configINS_14default_configEyEEPyS5_N6hipcub3MinEyyEEvT1_mT4_T2_T3_
	.globl	_ZN7rocprim6detail18single_scan_kernelILb0ENS0_19wrapped_scan_configINS_14default_configEyEEPyS5_N6hipcub3MinEyyEEvT1_mT4_T2_T3_
	.p2align	8
	.type	_ZN7rocprim6detail18single_scan_kernelILb0ENS0_19wrapped_scan_configINS_14default_configEyEEPyS5_N6hipcub3MinEyyEEvT1_mT4_T2_T3_,@function
_ZN7rocprim6detail18single_scan_kernelILb0ENS0_19wrapped_scan_configINS_14default_configEyEEPyS5_N6hipcub3MinEyyEEvT1_mT4_T2_T3_: ; @_ZN7rocprim6detail18single_scan_kernelILb0ENS0_19wrapped_scan_configINS_14default_configEyEEPyS5_N6hipcub3MinEyyEEvT1_mT4_T2_T3_
; %bb.0:
	s_load_dwordx4 s[24:27], s[4:5], 0x0
	v_lshlrev_b32_e32 v33, 3, v0
	s_waitcnt lgkmcnt(0)
	s_load_dwordx2 s[30:31], s[24:25], 0x0
	v_mov_b32_e32 v1, s25
	v_add_co_u32_e32 v3, vcc, s24, v33
	v_addc_co_u32_e32 v4, vcc, 0, v1, vcc
	s_waitcnt lgkmcnt(0)
	v_mov_b32_e32 v1, s30
	v_cmp_gt_u32_e64 s[0:1], s26, v0
	v_mov_b32_e32 v2, s31
	s_and_saveexec_b64 s[2:3], s[0:1]
	s_cbranch_execz .LBB38_2
; %bb.1:
	global_load_dwordx2 v[1:2], v[3:4], off
.LBB38_2:
	s_or_b64 exec, exec, s[2:3]
	v_or_b32_e32 v5, 64, v0
	v_cmp_gt_u32_e64 s[2:3], s26, v5
	v_mov_b32_e32 v5, s30
	v_mov_b32_e32 v6, s31
	s_and_saveexec_b64 s[6:7], s[2:3]
	s_cbranch_execz .LBB38_4
; %bb.3:
	global_load_dwordx2 v[5:6], v[3:4], off offset:512
.LBB38_4:
	s_or_b64 exec, exec, s[6:7]
	v_or_b32_e32 v7, 0x80, v0
	v_cmp_gt_u32_e64 s[28:29], s26, v7
	v_mov_b32_e32 v7, s30
	v_mov_b32_e32 v8, s31
	s_and_saveexec_b64 s[6:7], s[28:29]
	s_cbranch_execz .LBB38_6
; %bb.5:
	global_load_dwordx2 v[7:8], v[3:4], off offset:1024
.LBB38_6:
	;; [unrolled: 10-line block ×7, first 2 shown]
	s_or_b64 exec, exec, s[16:17]
	v_or_b32_e32 v19, 0x200, v0
	v_cmp_gt_u32_e64 s[16:17], s26, v19
	v_mov_b32_e32 v19, s30
	v_mov_b32_e32 v20, s31
	s_and_saveexec_b64 s[18:19], s[16:17]
	s_cbranch_execz .LBB38_18
; %bb.17:
	v_add_co_u32_e32 v19, vcc, 0x1000, v3
	v_addc_co_u32_e32 v20, vcc, 0, v4, vcc
	global_load_dwordx2 v[19:20], v[19:20], off
.LBB38_18:
	s_or_b64 exec, exec, s[18:19]
	v_or_b32_e32 v21, 0x240, v0
	v_cmp_gt_u32_e64 s[18:19], s26, v21
	v_mov_b32_e32 v21, s30
	v_mov_b32_e32 v22, s31
	s_and_saveexec_b64 s[20:21], s[18:19]
	s_cbranch_execz .LBB38_20
; %bb.19:
	v_add_co_u32_e32 v21, vcc, 0x1000, v3
	v_addc_co_u32_e32 v22, vcc, 0, v4, vcc
	global_load_dwordx2 v[21:22], v[21:22], off offset:512
.LBB38_20:
	s_or_b64 exec, exec, s[20:21]
	v_or_b32_e32 v23, 0x280, v0
	v_cmp_gt_u32_e64 s[20:21], s26, v23
	v_mov_b32_e32 v23, s30
	v_mov_b32_e32 v24, s31
	s_and_saveexec_b64 s[22:23], s[20:21]
	s_cbranch_execz .LBB38_22
; %bb.21:
	v_add_co_u32_e32 v23, vcc, 0x1000, v3
	v_addc_co_u32_e32 v24, vcc, 0, v4, vcc
	global_load_dwordx2 v[23:24], v[23:24], off offset:1024
.LBB38_22:
	;; [unrolled: 12-line block ×5, first 2 shown]
	s_or_b64 exec, exec, s[30:31]
	s_movk_i32 s30, 0x68
	s_waitcnt vmcnt(0)
	ds_write2st64_b64 v33, v[1:2], v[5:6] offset1:1
	ds_write2st64_b64 v33, v[7:8], v[9:10] offset0:2 offset1:3
	ds_write2st64_b64 v33, v[11:12], v[13:14] offset0:4 offset1:5
	;; [unrolled: 1-line block ×6, first 2 shown]
	v_mad_u32_u24 v1, v0, s30, v33
	s_waitcnt lgkmcnt(0)
	; wave barrier
	ds_read_b128 v[25:28], v1
	ds_read_b128 v[21:24], v1 offset:16
	ds_read_b128 v[17:20], v1 offset:32
	;; [unrolled: 1-line block ×6, first 2 shown]
	s_waitcnt lgkmcnt(6)
	v_cmp_lt_u64_e32 vcc, v[25:26], v[27:28]
	v_mbcnt_lo_u32_b32 v31, -1, 0
	v_cndmask_b32_e32 v30, v28, v26, vcc
	v_cndmask_b32_e32 v29, v27, v25, vcc
	s_waitcnt lgkmcnt(5)
	v_cmp_lt_u64_e32 vcc, v[29:30], v[21:22]
	v_mbcnt_hi_u32_b32 v34, -1, v31
	v_cndmask_b32_e32 v30, v22, v30, vcc
	v_cndmask_b32_e32 v29, v21, v29, vcc
	v_cmp_lt_u64_e32 vcc, v[29:30], v[23:24]
	v_and_b32_e32 v35, 15, v34
	v_cndmask_b32_e32 v30, v24, v30, vcc
	v_cndmask_b32_e32 v29, v23, v29, vcc
	s_waitcnt lgkmcnt(4)
	v_cmp_lt_u64_e32 vcc, v[29:30], v[17:18]
	s_waitcnt lgkmcnt(0)
	v_cndmask_b32_e32 v30, v18, v30, vcc
	v_cndmask_b32_e32 v29, v17, v29, vcc
	v_cmp_lt_u64_e32 vcc, v[29:30], v[19:20]
	; wave barrier
	v_cndmask_b32_e32 v30, v20, v30, vcc
	v_cndmask_b32_e32 v29, v19, v29, vcc
	v_cmp_lt_u64_e32 vcc, v[29:30], v[5:6]
	v_cndmask_b32_e32 v30, v6, v30, vcc
	v_cndmask_b32_e32 v29, v5, v29, vcc
	v_cmp_lt_u64_e32 vcc, v[29:30], v[7:8]
	;; [unrolled: 3-line block ×8, first 2 shown]
	v_cndmask_b32_e32 v30, v4, v30, vcc
	v_cndmask_b32_e32 v29, v3, v29, vcc
	s_nop 0
	v_mov_b32_dpp v36, v30 row_shr:1 row_mask:0xf bank_mask:0xf
	v_cmp_ne_u32_e32 vcc, 0, v35
	v_mov_b32_dpp v31, v29 row_shr:1 row_mask:0xf bank_mask:0xf
	s_and_saveexec_b64 s[30:31], vcc
; %bb.29:
	v_mov_b32_e32 v32, v36
	v_cmp_lt_u64_e32 vcc, v[31:32], v[29:30]
	v_cndmask_b32_e32 v30, v30, v36, vcc
	v_cndmask_b32_e32 v29, v29, v31, vcc
; %bb.30:
	s_or_b64 exec, exec, s[30:31]
	s_nop 0
	v_mov_b32_dpp v31, v29 row_shr:2 row_mask:0xf bank_mask:0xf
	v_mov_b32_dpp v36, v30 row_shr:2 row_mask:0xf bank_mask:0xf
	v_cmp_lt_u32_e32 vcc, 1, v35
	s_and_saveexec_b64 s[30:31], vcc
; %bb.31:
	v_mov_b32_e32 v32, v36
	v_cmp_lt_u64_e32 vcc, v[31:32], v[29:30]
	v_cndmask_b32_e32 v30, v30, v36, vcc
	v_cndmask_b32_e32 v29, v29, v31, vcc
; %bb.32:
	s_or_b64 exec, exec, s[30:31]
	s_nop 0
	v_mov_b32_dpp v31, v29 row_shr:4 row_mask:0xf bank_mask:0xf
	v_mov_b32_dpp v36, v30 row_shr:4 row_mask:0xf bank_mask:0xf
	v_cmp_lt_u32_e32 vcc, 3, v35
	;; [unrolled: 12-line block ×3, first 2 shown]
	s_and_saveexec_b64 s[30:31], vcc
; %bb.35:
	v_mov_b32_e32 v32, v36
	v_cmp_lt_u64_e32 vcc, v[31:32], v[29:30]
	v_cndmask_b32_e32 v30, v30, v36, vcc
	v_cndmask_b32_e32 v29, v29, v31, vcc
; %bb.36:
	s_or_b64 exec, exec, s[30:31]
	v_and_b32_e32 v32, 16, v34
	v_mov_b32_dpp v31, v29 row_bcast:15 row_mask:0xf bank_mask:0xf
	v_mov_b32_dpp v35, v30 row_bcast:15 row_mask:0xf bank_mask:0xf
	v_cmp_ne_u32_e32 vcc, 0, v32
	s_and_saveexec_b64 s[30:31], vcc
; %bb.37:
	v_mov_b32_e32 v32, v35
	v_cmp_lt_u64_e32 vcc, v[31:32], v[29:30]
	v_cndmask_b32_e32 v30, v30, v35, vcc
	v_cndmask_b32_e32 v29, v29, v31, vcc
; %bb.38:
	s_or_b64 exec, exec, s[30:31]
	s_nop 0
	v_mov_b32_dpp v31, v29 row_bcast:31 row_mask:0xf bank_mask:0xf
	v_mov_b32_dpp v35, v30 row_bcast:31 row_mask:0xf bank_mask:0xf
	v_cmp_lt_u32_e32 vcc, 31, v34
	s_and_saveexec_b64 s[30:31], vcc
; %bb.39:
	v_mov_b32_e32 v32, v35
	v_cmp_lt_u64_e32 vcc, v[31:32], v[29:30]
	v_cndmask_b32_e32 v30, v30, v35, vcc
	v_cndmask_b32_e32 v29, v29, v31, vcc
; %bb.40:
	s_or_b64 exec, exec, s[30:31]
	v_mul_u32_u24_e32 v31, 0x68, v0
	v_cmp_eq_u32_e32 vcc, 63, v0
	s_and_saveexec_b64 s[30:31], vcc
; %bb.41:
	v_mov_b32_e32 v32, 0
	ds_write_b64 v32, v[29:30]
; %bb.42:
	s_or_b64 exec, exec, s[30:31]
	v_add_u32_e32 v32, -1, v34
	v_and_b32_e32 v35, 64, v34
	v_cmp_lt_i32_e32 vcc, v32, v35
	v_cndmask_b32_e32 v32, v32, v34, vcc
	v_lshlrev_b32_e32 v32, 2, v32
	ds_bpermute_b32 v29, v32, v29
	ds_bpermute_b32 v30, v32, v30
	s_waitcnt lgkmcnt(0)
	; wave barrier
	; wave barrier
	v_cmp_lt_u64_e32 vcc, v[29:30], v[25:26]
	s_load_dwordx2 s[4:5], s[4:5], 0x18
	v_cndmask_b32_e32 v29, v25, v29, vcc
	v_cndmask_b32_e32 v30, v26, v30, vcc
	v_cmp_eq_u32_e32 vcc, 0, v0
	v_cndmask_b32_e32 v26, v30, v26, vcc
	v_cndmask_b32_e32 v25, v29, v25, vcc
	v_cmp_lt_u64_e32 vcc, v[25:26], v[27:28]
	v_add_u32_e32 v29, v33, v31
	v_cndmask_b32_e32 v28, v28, v26, vcc
	v_cndmask_b32_e32 v27, v27, v25, vcc
	v_cmp_lt_u64_e32 vcc, v[27:28], v[21:22]
	v_lshlrev_b32_e32 v0, 3, v0
	v_cndmask_b32_e32 v22, v22, v28, vcc
	v_cndmask_b32_e32 v21, v21, v27, vcc
	v_cmp_lt_u64_e32 vcc, v[21:22], v[23:24]
	v_cndmask_b32_e32 v24, v24, v22, vcc
	v_cndmask_b32_e32 v23, v23, v21, vcc
	v_cmp_lt_u64_e32 vcc, v[23:24], v[17:18]
	;; [unrolled: 3-line block ×11, first 2 shown]
	v_cndmask_b32_e32 v4, v4, v2, vcc
	v_cndmask_b32_e32 v3, v3, v1, vcc
	ds_write_b128 v29, v[25:28]
	ds_write_b128 v29, v[21:24] offset:16
	ds_write_b128 v29, v[17:20] offset:32
	;; [unrolled: 1-line block ×6, first 2 shown]
	s_waitcnt lgkmcnt(0)
	; wave barrier
	ds_read2st64_b64 v[21:24], v33 offset0:1 offset1:2
	ds_read2st64_b64 v[17:20], v33 offset0:3 offset1:4
	;; [unrolled: 1-line block ×6, first 2 shown]
	ds_read_b64 v[25:26], v33 offset:6656
	v_mov_b32_e32 v28, s5
	v_add_co_u32_e32 v27, vcc, s4, v0
	v_addc_co_u32_e32 v28, vcc, 0, v28, vcc
	s_and_saveexec_b64 s[4:5], s[0:1]
	s_cbranch_execnz .LBB38_57
; %bb.43:
	s_or_b64 exec, exec, s[4:5]
	s_and_saveexec_b64 s[0:1], s[2:3]
	s_cbranch_execnz .LBB38_58
.LBB38_44:
	s_or_b64 exec, exec, s[0:1]
	s_and_saveexec_b64 s[0:1], s[28:29]
	s_cbranch_execnz .LBB38_59
.LBB38_45:
	s_or_b64 exec, exec, s[0:1]
	s_and_saveexec_b64 s[0:1], s[6:7]
	s_cbranch_execnz .LBB38_60
.LBB38_46:
	s_or_b64 exec, exec, s[0:1]
	s_and_saveexec_b64 s[0:1], s[8:9]
	s_cbranch_execnz .LBB38_61
.LBB38_47:
	s_or_b64 exec, exec, s[0:1]
	s_and_saveexec_b64 s[0:1], s[10:11]
	s_cbranch_execnz .LBB38_62
.LBB38_48:
	s_or_b64 exec, exec, s[0:1]
	s_and_saveexec_b64 s[0:1], s[12:13]
	s_cbranch_execnz .LBB38_63
.LBB38_49:
	s_or_b64 exec, exec, s[0:1]
	s_and_saveexec_b64 s[0:1], s[14:15]
	s_cbranch_execnz .LBB38_64
.LBB38_50:
	s_or_b64 exec, exec, s[0:1]
	s_and_saveexec_b64 s[0:1], s[16:17]
	s_cbranch_execnz .LBB38_65
.LBB38_51:
	s_or_b64 exec, exec, s[0:1]
	s_and_saveexec_b64 s[0:1], s[18:19]
	s_cbranch_execnz .LBB38_66
.LBB38_52:
	s_or_b64 exec, exec, s[0:1]
	s_and_saveexec_b64 s[0:1], s[20:21]
	s_cbranch_execnz .LBB38_67
.LBB38_53:
	s_or_b64 exec, exec, s[0:1]
	s_and_saveexec_b64 s[0:1], s[22:23]
	s_cbranch_execnz .LBB38_68
.LBB38_54:
	s_or_b64 exec, exec, s[0:1]
	s_and_saveexec_b64 s[0:1], s[24:25]
	s_cbranch_execnz .LBB38_69
.LBB38_55:
	s_or_b64 exec, exec, s[0:1]
	s_and_saveexec_b64 s[0:1], s[26:27]
	s_cbranch_execnz .LBB38_70
.LBB38_56:
	s_endpgm
.LBB38_57:
	ds_read_b64 v[29:30], v33
	s_waitcnt lgkmcnt(0)
	global_store_dwordx2 v[27:28], v[29:30], off
	s_or_b64 exec, exec, s[4:5]
	s_and_saveexec_b64 s[0:1], s[2:3]
	s_cbranch_execz .LBB38_44
.LBB38_58:
	s_waitcnt lgkmcnt(6)
	global_store_dwordx2 v[27:28], v[21:22], off offset:512
	s_or_b64 exec, exec, s[0:1]
	s_and_saveexec_b64 s[0:1], s[28:29]
	s_cbranch_execz .LBB38_45
.LBB38_59:
	s_waitcnt lgkmcnt(6)
	global_store_dwordx2 v[27:28], v[23:24], off offset:1024
	s_or_b64 exec, exec, s[0:1]
	s_and_saveexec_b64 s[0:1], s[6:7]
	s_cbranch_execz .LBB38_46
.LBB38_60:
	s_waitcnt lgkmcnt(5)
	global_store_dwordx2 v[27:28], v[17:18], off offset:1536
	s_or_b64 exec, exec, s[0:1]
	s_and_saveexec_b64 s[0:1], s[8:9]
	s_cbranch_execz .LBB38_47
.LBB38_61:
	s_waitcnt lgkmcnt(5)
	global_store_dwordx2 v[27:28], v[19:20], off offset:2048
	s_or_b64 exec, exec, s[0:1]
	s_and_saveexec_b64 s[0:1], s[10:11]
	s_cbranch_execz .LBB38_48
.LBB38_62:
	s_waitcnt lgkmcnt(4)
	global_store_dwordx2 v[27:28], v[13:14], off offset:2560
	s_or_b64 exec, exec, s[0:1]
	s_and_saveexec_b64 s[0:1], s[12:13]
	s_cbranch_execz .LBB38_49
.LBB38_63:
	s_waitcnt lgkmcnt(4)
	global_store_dwordx2 v[27:28], v[15:16], off offset:3072
	s_or_b64 exec, exec, s[0:1]
	s_and_saveexec_b64 s[0:1], s[14:15]
	s_cbranch_execz .LBB38_50
.LBB38_64:
	s_waitcnt lgkmcnt(3)
	global_store_dwordx2 v[27:28], v[9:10], off offset:3584
	s_or_b64 exec, exec, s[0:1]
	s_and_saveexec_b64 s[0:1], s[16:17]
	s_cbranch_execz .LBB38_51
.LBB38_65:
	s_waitcnt lgkmcnt(3)
	v_add_co_u32_e32 v9, vcc, 0x1000, v27
	v_addc_co_u32_e32 v10, vcc, 0, v28, vcc
	global_store_dwordx2 v[9:10], v[11:12], off
	s_or_b64 exec, exec, s[0:1]
	s_and_saveexec_b64 s[0:1], s[18:19]
	s_cbranch_execz .LBB38_52
.LBB38_66:
	s_waitcnt lgkmcnt(3)
	v_add_co_u32_e32 v9, vcc, 0x1000, v27
	v_addc_co_u32_e32 v10, vcc, 0, v28, vcc
	s_waitcnt lgkmcnt(2)
	global_store_dwordx2 v[9:10], v[5:6], off offset:512
	s_or_b64 exec, exec, s[0:1]
	s_and_saveexec_b64 s[0:1], s[20:21]
	s_cbranch_execz .LBB38_53
.LBB38_67:
	s_waitcnt lgkmcnt(2)
	v_add_co_u32_e32 v5, vcc, 0x1000, v27
	v_addc_co_u32_e32 v6, vcc, 0, v28, vcc
	global_store_dwordx2 v[5:6], v[7:8], off offset:1024
	s_or_b64 exec, exec, s[0:1]
	s_and_saveexec_b64 s[0:1], s[22:23]
	s_cbranch_execz .LBB38_54
.LBB38_68:
	s_waitcnt lgkmcnt(2)
	v_add_co_u32_e32 v5, vcc, 0x1000, v27
	v_addc_co_u32_e32 v6, vcc, 0, v28, vcc
	s_waitcnt lgkmcnt(1)
	global_store_dwordx2 v[5:6], v[1:2], off offset:1536
	s_or_b64 exec, exec, s[0:1]
	s_and_saveexec_b64 s[0:1], s[24:25]
	s_cbranch_execz .LBB38_55
.LBB38_69:
	v_add_co_u32_e32 v0, vcc, 0x1000, v27
	s_waitcnt lgkmcnt(1)
	v_addc_co_u32_e32 v1, vcc, 0, v28, vcc
	global_store_dwordx2 v[0:1], v[3:4], off offset:2048
	s_or_b64 exec, exec, s[0:1]
	s_and_saveexec_b64 s[0:1], s[26:27]
	s_cbranch_execz .LBB38_56
.LBB38_70:
	v_add_co_u32_e32 v0, vcc, 0x1000, v27
	s_waitcnt lgkmcnt(1)
	v_addc_co_u32_e32 v1, vcc, 0, v28, vcc
	s_waitcnt lgkmcnt(0)
	global_store_dwordx2 v[0:1], v[25:26], off offset:2560
	s_endpgm
	.section	.rodata,"a",@progbits
	.p2align	6, 0x0
	.amdhsa_kernel _ZN7rocprim6detail18single_scan_kernelILb0ENS0_19wrapped_scan_configINS_14default_configEyEEPyS5_N6hipcub3MinEyyEEvT1_mT4_T2_T3_
		.amdhsa_group_segment_fixed_size 7168
		.amdhsa_private_segment_fixed_size 0
		.amdhsa_kernarg_size 36
		.amdhsa_user_sgpr_count 6
		.amdhsa_user_sgpr_private_segment_buffer 1
		.amdhsa_user_sgpr_dispatch_ptr 0
		.amdhsa_user_sgpr_queue_ptr 0
		.amdhsa_user_sgpr_kernarg_segment_ptr 1
		.amdhsa_user_sgpr_dispatch_id 0
		.amdhsa_user_sgpr_flat_scratch_init 0
		.amdhsa_user_sgpr_private_segment_size 0
		.amdhsa_uses_dynamic_stack 0
		.amdhsa_system_sgpr_private_segment_wavefront_offset 0
		.amdhsa_system_sgpr_workgroup_id_x 1
		.amdhsa_system_sgpr_workgroup_id_y 0
		.amdhsa_system_sgpr_workgroup_id_z 0
		.amdhsa_system_sgpr_workgroup_info 0
		.amdhsa_system_vgpr_workitem_id 0
		.amdhsa_next_free_vgpr 65
		.amdhsa_next_free_sgpr 98
		.amdhsa_reserve_vcc 1
		.amdhsa_reserve_flat_scratch 0
		.amdhsa_float_round_mode_32 0
		.amdhsa_float_round_mode_16_64 0
		.amdhsa_float_denorm_mode_32 3
		.amdhsa_float_denorm_mode_16_64 3
		.amdhsa_dx10_clamp 1
		.amdhsa_ieee_mode 1
		.amdhsa_fp16_overflow 0
		.amdhsa_exception_fp_ieee_invalid_op 0
		.amdhsa_exception_fp_denorm_src 0
		.amdhsa_exception_fp_ieee_div_zero 0
		.amdhsa_exception_fp_ieee_overflow 0
		.amdhsa_exception_fp_ieee_underflow 0
		.amdhsa_exception_fp_ieee_inexact 0
		.amdhsa_exception_int_div_zero 0
	.end_amdhsa_kernel
	.section	.text._ZN7rocprim6detail18single_scan_kernelILb0ENS0_19wrapped_scan_configINS_14default_configEyEEPyS5_N6hipcub3MinEyyEEvT1_mT4_T2_T3_,"axG",@progbits,_ZN7rocprim6detail18single_scan_kernelILb0ENS0_19wrapped_scan_configINS_14default_configEyEEPyS5_N6hipcub3MinEyyEEvT1_mT4_T2_T3_,comdat
.Lfunc_end38:
	.size	_ZN7rocprim6detail18single_scan_kernelILb0ENS0_19wrapped_scan_configINS_14default_configEyEEPyS5_N6hipcub3MinEyyEEvT1_mT4_T2_T3_, .Lfunc_end38-_ZN7rocprim6detail18single_scan_kernelILb0ENS0_19wrapped_scan_configINS_14default_configEyEEPyS5_N6hipcub3MinEyyEEvT1_mT4_T2_T3_
                                        ; -- End function
	.set _ZN7rocprim6detail18single_scan_kernelILb0ENS0_19wrapped_scan_configINS_14default_configEyEEPyS5_N6hipcub3MinEyyEEvT1_mT4_T2_T3_.num_vgpr, 37
	.set _ZN7rocprim6detail18single_scan_kernelILb0ENS0_19wrapped_scan_configINS_14default_configEyEEPyS5_N6hipcub3MinEyyEEvT1_mT4_T2_T3_.num_agpr, 0
	.set _ZN7rocprim6detail18single_scan_kernelILb0ENS0_19wrapped_scan_configINS_14default_configEyEEPyS5_N6hipcub3MinEyyEEvT1_mT4_T2_T3_.numbered_sgpr, 36
	.set _ZN7rocprim6detail18single_scan_kernelILb0ENS0_19wrapped_scan_configINS_14default_configEyEEPyS5_N6hipcub3MinEyyEEvT1_mT4_T2_T3_.num_named_barrier, 0
	.set _ZN7rocprim6detail18single_scan_kernelILb0ENS0_19wrapped_scan_configINS_14default_configEyEEPyS5_N6hipcub3MinEyyEEvT1_mT4_T2_T3_.private_seg_size, 0
	.set _ZN7rocprim6detail18single_scan_kernelILb0ENS0_19wrapped_scan_configINS_14default_configEyEEPyS5_N6hipcub3MinEyyEEvT1_mT4_T2_T3_.uses_vcc, 1
	.set _ZN7rocprim6detail18single_scan_kernelILb0ENS0_19wrapped_scan_configINS_14default_configEyEEPyS5_N6hipcub3MinEyyEEvT1_mT4_T2_T3_.uses_flat_scratch, 0
	.set _ZN7rocprim6detail18single_scan_kernelILb0ENS0_19wrapped_scan_configINS_14default_configEyEEPyS5_N6hipcub3MinEyyEEvT1_mT4_T2_T3_.has_dyn_sized_stack, 0
	.set _ZN7rocprim6detail18single_scan_kernelILb0ENS0_19wrapped_scan_configINS_14default_configEyEEPyS5_N6hipcub3MinEyyEEvT1_mT4_T2_T3_.has_recursion, 0
	.set _ZN7rocprim6detail18single_scan_kernelILb0ENS0_19wrapped_scan_configINS_14default_configEyEEPyS5_N6hipcub3MinEyyEEvT1_mT4_T2_T3_.has_indirect_call, 0
	.section	.AMDGPU.csdata,"",@progbits
; Kernel info:
; codeLenInByte = 2312
; TotalNumSgprs: 40
; NumVgprs: 37
; ScratchSize: 0
; MemoryBound: 0
; FloatMode: 240
; IeeeMode: 1
; LDSByteSize: 7168 bytes/workgroup (compile time only)
; SGPRBlocks: 12
; VGPRBlocks: 16
; NumSGPRsForWavesPerEU: 102
; NumVGPRsForWavesPerEU: 65
; Occupancy: 3
; WaveLimiterHint : 0
; COMPUTE_PGM_RSRC2:SCRATCH_EN: 0
; COMPUTE_PGM_RSRC2:USER_SGPR: 6
; COMPUTE_PGM_RSRC2:TRAP_HANDLER: 0
; COMPUTE_PGM_RSRC2:TGID_X_EN: 1
; COMPUTE_PGM_RSRC2:TGID_Y_EN: 0
; COMPUTE_PGM_RSRC2:TGID_Z_EN: 0
; COMPUTE_PGM_RSRC2:TIDIG_COMP_CNT: 0
	.section	.text._ZN7rocprim6detail31init_lookback_scan_state_kernelINS0_19lookback_scan_stateINS_5tupleIJibEEELb1ELb1EEEEEvT_jjPNS6_10value_typeE,"axG",@progbits,_ZN7rocprim6detail31init_lookback_scan_state_kernelINS0_19lookback_scan_stateINS_5tupleIJibEEELb1ELb1EEEEEvT_jjPNS6_10value_typeE,comdat
	.protected	_ZN7rocprim6detail31init_lookback_scan_state_kernelINS0_19lookback_scan_stateINS_5tupleIJibEEELb1ELb1EEEEEvT_jjPNS6_10value_typeE ; -- Begin function _ZN7rocprim6detail31init_lookback_scan_state_kernelINS0_19lookback_scan_stateINS_5tupleIJibEEELb1ELb1EEEEEvT_jjPNS6_10value_typeE
	.globl	_ZN7rocprim6detail31init_lookback_scan_state_kernelINS0_19lookback_scan_stateINS_5tupleIJibEEELb1ELb1EEEEEvT_jjPNS6_10value_typeE
	.p2align	8
	.type	_ZN7rocprim6detail31init_lookback_scan_state_kernelINS0_19lookback_scan_stateINS_5tupleIJibEEELb1ELb1EEEEEvT_jjPNS6_10value_typeE,@function
_ZN7rocprim6detail31init_lookback_scan_state_kernelINS0_19lookback_scan_stateINS_5tupleIJibEEELb1ELb1EEEEEvT_jjPNS6_10value_typeE: ; @_ZN7rocprim6detail31init_lookback_scan_state_kernelINS0_19lookback_scan_stateINS_5tupleIJibEEELb1ELb1EEEEEvT_jjPNS6_10value_typeE
; %bb.0:
	s_load_dword s7, s[4:5], 0x24
	s_load_dwordx2 s[8:9], s[4:5], 0x10
	s_load_dwordx4 s[0:3], s[4:5], 0x0
	s_waitcnt lgkmcnt(0)
	s_and_b32 s4, s7, 0xffff
	s_mul_i32 s6, s6, s4
	s_cmp_eq_u64 s[8:9], 0
	v_add_u32_e32 v0, s6, v0
	s_cbranch_scc1 .LBB39_10
; %bb.1:
	s_cmp_lt_u32 s3, s2
	s_cselect_b32 s4, s3, 0
	s_mov_b32 s7, 0
	v_cmp_eq_u32_e32 vcc, s4, v0
	s_and_saveexec_b64 s[4:5], vcc
	s_cbranch_execz .LBB39_9
; %bb.2:
	s_add_i32 s6, s3, 64
	s_lshl_b64 s[6:7], s[6:7], 4
	s_add_u32 s12, s0, s6
	s_addc_u32 s13, s1, s7
	v_mov_b32_e32 v1, s12
	v_mov_b32_e32 v2, s13
	;;#ASMSTART
	global_load_dwordx4 v[1:4], v[1:2] off glc	
s_waitcnt vmcnt(0)
	;;#ASMEND
	v_and_b32_e32 v4, 0xff, v3
	v_mov_b32_e32 v5, 0
	v_cmp_eq_u64_e32 vcc, 0, v[4:5]
	s_mov_b64 s[10:11], 0
	s_and_saveexec_b64 s[6:7], vcc
	s_cbranch_execz .LBB39_8
; %bb.3:
	v_mov_b32_e32 v6, s12
	s_mov_b32 s3, 1
	v_mov_b32_e32 v7, s13
.LBB39_4:                               ; =>This Loop Header: Depth=1
                                        ;     Child Loop BB39_5 Depth 2
	s_mov_b32 s12, s3
.LBB39_5:                               ;   Parent Loop BB39_4 Depth=1
                                        ; =>  This Inner Loop Header: Depth=2
	s_add_i32 s12, s12, -1
	s_cmp_eq_u32 s12, 0
	s_sleep 1
	s_cbranch_scc0 .LBB39_5
; %bb.6:                                ;   in Loop: Header=BB39_4 Depth=1
	s_cmp_lt_u32 s3, 32
	;;#ASMSTART
	global_load_dwordx4 v[1:4], v[6:7] off glc	
s_waitcnt vmcnt(0)
	;;#ASMEND
	s_cselect_b64 s[12:13], -1, 0
	v_and_b32_e32 v4, 0xff, v3
	s_cmp_lg_u64 s[12:13], 0
	v_cmp_ne_u64_e32 vcc, 0, v[4:5]
	s_addc_u32 s3, s3, 0
	s_or_b64 s[10:11], vcc, s[10:11]
	s_andn2_b64 exec, exec, s[10:11]
	s_cbranch_execnz .LBB39_4
; %bb.7:
	s_or_b64 exec, exec, s[10:11]
.LBB39_8:
	s_or_b64 exec, exec, s[6:7]
	v_mov_b32_e32 v3, 0
	global_store_dword v3, v1, s[8:9]
	global_store_byte v3, v2, s[8:9] offset:4
.LBB39_9:
	s_or_b64 exec, exec, s[4:5]
.LBB39_10:
	v_cmp_gt_u32_e32 vcc, s2, v0
	s_and_saveexec_b64 s[2:3], vcc
	s_cbranch_execnz .LBB39_13
; %bb.11:
	s_or_b64 exec, exec, s[2:3]
	v_cmp_gt_u32_e32 vcc, 64, v0
	s_and_saveexec_b64 s[2:3], vcc
	s_cbranch_execnz .LBB39_14
.LBB39_12:
	s_endpgm
.LBB39_13:
	v_add_u32_e32 v1, 64, v0
	v_mov_b32_e32 v2, 0
	v_lshlrev_b64 v[3:4], 4, v[1:2]
	v_mov_b32_e32 v1, s1
	v_add_co_u32_e32 v5, vcc, s0, v3
	v_addc_co_u32_e32 v6, vcc, v1, v4, vcc
	v_mov_b32_e32 v1, v2
	v_mov_b32_e32 v3, v2
	;; [unrolled: 1-line block ×3, first 2 shown]
	global_store_dwordx4 v[5:6], v[1:4], off
	s_or_b64 exec, exec, s[2:3]
	v_cmp_gt_u32_e32 vcc, 64, v0
	s_and_saveexec_b64 s[2:3], vcc
	s_cbranch_execz .LBB39_12
.LBB39_14:
	v_mov_b32_e32 v1, 0
	v_lshlrev_b64 v[2:3], 4, v[0:1]
	v_mov_b32_e32 v0, s1
	v_add_co_u32_e32 v4, vcc, s0, v2
	v_addc_co_u32_e32 v5, vcc, v0, v3, vcc
	v_mov_b32_e32 v2, 0xff
	v_mov_b32_e32 v0, v1
	;; [unrolled: 1-line block ×3, first 2 shown]
	global_store_dwordx4 v[4:5], v[0:3], off
	s_endpgm
	.section	.rodata,"a",@progbits
	.p2align	6, 0x0
	.amdhsa_kernel _ZN7rocprim6detail31init_lookback_scan_state_kernelINS0_19lookback_scan_stateINS_5tupleIJibEEELb1ELb1EEEEEvT_jjPNS6_10value_typeE
		.amdhsa_group_segment_fixed_size 0
		.amdhsa_private_segment_fixed_size 0
		.amdhsa_kernarg_size 280
		.amdhsa_user_sgpr_count 6
		.amdhsa_user_sgpr_private_segment_buffer 1
		.amdhsa_user_sgpr_dispatch_ptr 0
		.amdhsa_user_sgpr_queue_ptr 0
		.amdhsa_user_sgpr_kernarg_segment_ptr 1
		.amdhsa_user_sgpr_dispatch_id 0
		.amdhsa_user_sgpr_flat_scratch_init 0
		.amdhsa_user_sgpr_private_segment_size 0
		.amdhsa_uses_dynamic_stack 0
		.amdhsa_system_sgpr_private_segment_wavefront_offset 0
		.amdhsa_system_sgpr_workgroup_id_x 1
		.amdhsa_system_sgpr_workgroup_id_y 0
		.amdhsa_system_sgpr_workgroup_id_z 0
		.amdhsa_system_sgpr_workgroup_info 0
		.amdhsa_system_vgpr_workitem_id 0
		.amdhsa_next_free_vgpr 8
		.amdhsa_next_free_sgpr 14
		.amdhsa_reserve_vcc 1
		.amdhsa_reserve_flat_scratch 0
		.amdhsa_float_round_mode_32 0
		.amdhsa_float_round_mode_16_64 0
		.amdhsa_float_denorm_mode_32 3
		.amdhsa_float_denorm_mode_16_64 3
		.amdhsa_dx10_clamp 1
		.amdhsa_ieee_mode 1
		.amdhsa_fp16_overflow 0
		.amdhsa_exception_fp_ieee_invalid_op 0
		.amdhsa_exception_fp_denorm_src 0
		.amdhsa_exception_fp_ieee_div_zero 0
		.amdhsa_exception_fp_ieee_overflow 0
		.amdhsa_exception_fp_ieee_underflow 0
		.amdhsa_exception_fp_ieee_inexact 0
		.amdhsa_exception_int_div_zero 0
	.end_amdhsa_kernel
	.section	.text._ZN7rocprim6detail31init_lookback_scan_state_kernelINS0_19lookback_scan_stateINS_5tupleIJibEEELb1ELb1EEEEEvT_jjPNS6_10value_typeE,"axG",@progbits,_ZN7rocprim6detail31init_lookback_scan_state_kernelINS0_19lookback_scan_stateINS_5tupleIJibEEELb1ELb1EEEEEvT_jjPNS6_10value_typeE,comdat
.Lfunc_end39:
	.size	_ZN7rocprim6detail31init_lookback_scan_state_kernelINS0_19lookback_scan_stateINS_5tupleIJibEEELb1ELb1EEEEEvT_jjPNS6_10value_typeE, .Lfunc_end39-_ZN7rocprim6detail31init_lookback_scan_state_kernelINS0_19lookback_scan_stateINS_5tupleIJibEEELb1ELb1EEEEEvT_jjPNS6_10value_typeE
                                        ; -- End function
	.set _ZN7rocprim6detail31init_lookback_scan_state_kernelINS0_19lookback_scan_stateINS_5tupleIJibEEELb1ELb1EEEEEvT_jjPNS6_10value_typeE.num_vgpr, 8
	.set _ZN7rocprim6detail31init_lookback_scan_state_kernelINS0_19lookback_scan_stateINS_5tupleIJibEEELb1ELb1EEEEEvT_jjPNS6_10value_typeE.num_agpr, 0
	.set _ZN7rocprim6detail31init_lookback_scan_state_kernelINS0_19lookback_scan_stateINS_5tupleIJibEEELb1ELb1EEEEEvT_jjPNS6_10value_typeE.numbered_sgpr, 14
	.set _ZN7rocprim6detail31init_lookback_scan_state_kernelINS0_19lookback_scan_stateINS_5tupleIJibEEELb1ELb1EEEEEvT_jjPNS6_10value_typeE.num_named_barrier, 0
	.set _ZN7rocprim6detail31init_lookback_scan_state_kernelINS0_19lookback_scan_stateINS_5tupleIJibEEELb1ELb1EEEEEvT_jjPNS6_10value_typeE.private_seg_size, 0
	.set _ZN7rocprim6detail31init_lookback_scan_state_kernelINS0_19lookback_scan_stateINS_5tupleIJibEEELb1ELb1EEEEEvT_jjPNS6_10value_typeE.uses_vcc, 1
	.set _ZN7rocprim6detail31init_lookback_scan_state_kernelINS0_19lookback_scan_stateINS_5tupleIJibEEELb1ELb1EEEEEvT_jjPNS6_10value_typeE.uses_flat_scratch, 0
	.set _ZN7rocprim6detail31init_lookback_scan_state_kernelINS0_19lookback_scan_stateINS_5tupleIJibEEELb1ELb1EEEEEvT_jjPNS6_10value_typeE.has_dyn_sized_stack, 0
	.set _ZN7rocprim6detail31init_lookback_scan_state_kernelINS0_19lookback_scan_stateINS_5tupleIJibEEELb1ELb1EEEEEvT_jjPNS6_10value_typeE.has_recursion, 0
	.set _ZN7rocprim6detail31init_lookback_scan_state_kernelINS0_19lookback_scan_stateINS_5tupleIJibEEELb1ELb1EEEEEvT_jjPNS6_10value_typeE.has_indirect_call, 0
	.section	.AMDGPU.csdata,"",@progbits
; Kernel info:
; codeLenInByte = 412
; TotalNumSgprs: 18
; NumVgprs: 8
; ScratchSize: 0
; MemoryBound: 0
; FloatMode: 240
; IeeeMode: 1
; LDSByteSize: 0 bytes/workgroup (compile time only)
; SGPRBlocks: 2
; VGPRBlocks: 1
; NumSGPRsForWavesPerEU: 18
; NumVGPRsForWavesPerEU: 8
; Occupancy: 10
; WaveLimiterHint : 0
; COMPUTE_PGM_RSRC2:SCRATCH_EN: 0
; COMPUTE_PGM_RSRC2:USER_SGPR: 6
; COMPUTE_PGM_RSRC2:TRAP_HANDLER: 0
; COMPUTE_PGM_RSRC2:TGID_X_EN: 1
; COMPUTE_PGM_RSRC2:TGID_Y_EN: 0
; COMPUTE_PGM_RSRC2:TGID_Z_EN: 0
; COMPUTE_PGM_RSRC2:TIDIG_COMP_CNT: 0
	.section	.text._ZN7rocprim6detail31init_lookback_scan_state_kernelINS0_19lookback_scan_stateINS_5tupleIJibEEELb0ELb1EEEEEvT_jjPNS6_10value_typeE,"axG",@progbits,_ZN7rocprim6detail31init_lookback_scan_state_kernelINS0_19lookback_scan_stateINS_5tupleIJibEEELb0ELb1EEEEEvT_jjPNS6_10value_typeE,comdat
	.protected	_ZN7rocprim6detail31init_lookback_scan_state_kernelINS0_19lookback_scan_stateINS_5tupleIJibEEELb0ELb1EEEEEvT_jjPNS6_10value_typeE ; -- Begin function _ZN7rocprim6detail31init_lookback_scan_state_kernelINS0_19lookback_scan_stateINS_5tupleIJibEEELb0ELb1EEEEEvT_jjPNS6_10value_typeE
	.globl	_ZN7rocprim6detail31init_lookback_scan_state_kernelINS0_19lookback_scan_stateINS_5tupleIJibEEELb0ELb1EEEEEvT_jjPNS6_10value_typeE
	.p2align	8
	.type	_ZN7rocprim6detail31init_lookback_scan_state_kernelINS0_19lookback_scan_stateINS_5tupleIJibEEELb0ELb1EEEEEvT_jjPNS6_10value_typeE,@function
_ZN7rocprim6detail31init_lookback_scan_state_kernelINS0_19lookback_scan_stateINS_5tupleIJibEEELb0ELb1EEEEEvT_jjPNS6_10value_typeE: ; @_ZN7rocprim6detail31init_lookback_scan_state_kernelINS0_19lookback_scan_stateINS_5tupleIJibEEELb0ELb1EEEEEvT_jjPNS6_10value_typeE
; %bb.0:
	s_load_dword s7, s[4:5], 0x24
	s_load_dwordx2 s[8:9], s[4:5], 0x10
	s_load_dwordx4 s[0:3], s[4:5], 0x0
	s_waitcnt lgkmcnt(0)
	s_and_b32 s4, s7, 0xffff
	s_mul_i32 s6, s6, s4
	s_cmp_eq_u64 s[8:9], 0
	v_add_u32_e32 v0, s6, v0
	s_cbranch_scc1 .LBB40_8
; %bb.1:
	s_cmp_lt_u32 s3, s2
	s_cselect_b32 s4, s3, 0
	s_mov_b32 s7, 0
	v_cmp_eq_u32_e32 vcc, s4, v0
	s_and_saveexec_b64 s[4:5], vcc
	s_cbranch_execz .LBB40_7
; %bb.2:
	s_add_i32 s6, s3, 64
	s_lshl_b64 s[6:7], s[6:7], 4
	s_add_u32 s12, s0, s6
	s_addc_u32 s13, s1, s7
	v_mov_b32_e32 v1, s12
	v_mov_b32_e32 v2, s13
	;;#ASMSTART
	global_load_dwordx4 v[1:4], v[1:2] off glc	
s_waitcnt vmcnt(0)
	;;#ASMEND
	v_and_b32_e32 v4, 0xff, v3
	v_mov_b32_e32 v5, 0
	v_cmp_eq_u64_e32 vcc, 0, v[4:5]
	s_mov_b64 s[10:11], 0
	s_and_saveexec_b64 s[6:7], vcc
	s_cbranch_execz .LBB40_6
; %bb.3:
	v_mov_b32_e32 v6, s12
	v_mov_b32_e32 v7, s13
.LBB40_4:                               ; =>This Inner Loop Header: Depth=1
	;;#ASMSTART
	global_load_dwordx4 v[1:4], v[6:7] off glc	
s_waitcnt vmcnt(0)
	;;#ASMEND
	v_and_b32_e32 v4, 0xff, v3
	v_cmp_ne_u64_e32 vcc, 0, v[4:5]
	s_or_b64 s[10:11], vcc, s[10:11]
	s_andn2_b64 exec, exec, s[10:11]
	s_cbranch_execnz .LBB40_4
; %bb.5:
	s_or_b64 exec, exec, s[10:11]
.LBB40_6:
	s_or_b64 exec, exec, s[6:7]
	v_mov_b32_e32 v3, 0
	global_store_dword v3, v1, s[8:9]
	global_store_byte v3, v2, s[8:9] offset:4
.LBB40_7:
	s_or_b64 exec, exec, s[4:5]
.LBB40_8:
	v_cmp_gt_u32_e32 vcc, s2, v0
	s_and_saveexec_b64 s[2:3], vcc
	s_cbranch_execnz .LBB40_11
; %bb.9:
	s_or_b64 exec, exec, s[2:3]
	v_cmp_gt_u32_e32 vcc, 64, v0
	s_and_saveexec_b64 s[2:3], vcc
	s_cbranch_execnz .LBB40_12
.LBB40_10:
	s_endpgm
.LBB40_11:
	v_add_u32_e32 v1, 64, v0
	v_mov_b32_e32 v2, 0
	v_lshlrev_b64 v[3:4], 4, v[1:2]
	v_mov_b32_e32 v1, s1
	v_add_co_u32_e32 v5, vcc, s0, v3
	v_addc_co_u32_e32 v6, vcc, v1, v4, vcc
	v_mov_b32_e32 v1, v2
	v_mov_b32_e32 v3, v2
	;; [unrolled: 1-line block ×3, first 2 shown]
	global_store_dwordx4 v[5:6], v[1:4], off
	s_or_b64 exec, exec, s[2:3]
	v_cmp_gt_u32_e32 vcc, 64, v0
	s_and_saveexec_b64 s[2:3], vcc
	s_cbranch_execz .LBB40_10
.LBB40_12:
	v_mov_b32_e32 v1, 0
	v_lshlrev_b64 v[2:3], 4, v[0:1]
	v_mov_b32_e32 v0, s1
	v_add_co_u32_e32 v4, vcc, s0, v2
	v_addc_co_u32_e32 v5, vcc, v0, v3, vcc
	v_mov_b32_e32 v2, 0xff
	v_mov_b32_e32 v0, v1
	;; [unrolled: 1-line block ×3, first 2 shown]
	global_store_dwordx4 v[4:5], v[0:3], off
	s_endpgm
	.section	.rodata,"a",@progbits
	.p2align	6, 0x0
	.amdhsa_kernel _ZN7rocprim6detail31init_lookback_scan_state_kernelINS0_19lookback_scan_stateINS_5tupleIJibEEELb0ELb1EEEEEvT_jjPNS6_10value_typeE
		.amdhsa_group_segment_fixed_size 0
		.amdhsa_private_segment_fixed_size 0
		.amdhsa_kernarg_size 280
		.amdhsa_user_sgpr_count 6
		.amdhsa_user_sgpr_private_segment_buffer 1
		.amdhsa_user_sgpr_dispatch_ptr 0
		.amdhsa_user_sgpr_queue_ptr 0
		.amdhsa_user_sgpr_kernarg_segment_ptr 1
		.amdhsa_user_sgpr_dispatch_id 0
		.amdhsa_user_sgpr_flat_scratch_init 0
		.amdhsa_user_sgpr_private_segment_size 0
		.amdhsa_uses_dynamic_stack 0
		.amdhsa_system_sgpr_private_segment_wavefront_offset 0
		.amdhsa_system_sgpr_workgroup_id_x 1
		.amdhsa_system_sgpr_workgroup_id_y 0
		.amdhsa_system_sgpr_workgroup_id_z 0
		.amdhsa_system_sgpr_workgroup_info 0
		.amdhsa_system_vgpr_workitem_id 0
		.amdhsa_next_free_vgpr 8
		.amdhsa_next_free_sgpr 14
		.amdhsa_reserve_vcc 1
		.amdhsa_reserve_flat_scratch 0
		.amdhsa_float_round_mode_32 0
		.amdhsa_float_round_mode_16_64 0
		.amdhsa_float_denorm_mode_32 3
		.amdhsa_float_denorm_mode_16_64 3
		.amdhsa_dx10_clamp 1
		.amdhsa_ieee_mode 1
		.amdhsa_fp16_overflow 0
		.amdhsa_exception_fp_ieee_invalid_op 0
		.amdhsa_exception_fp_denorm_src 0
		.amdhsa_exception_fp_ieee_div_zero 0
		.amdhsa_exception_fp_ieee_overflow 0
		.amdhsa_exception_fp_ieee_underflow 0
		.amdhsa_exception_fp_ieee_inexact 0
		.amdhsa_exception_int_div_zero 0
	.end_amdhsa_kernel
	.section	.text._ZN7rocprim6detail31init_lookback_scan_state_kernelINS0_19lookback_scan_stateINS_5tupleIJibEEELb0ELb1EEEEEvT_jjPNS6_10value_typeE,"axG",@progbits,_ZN7rocprim6detail31init_lookback_scan_state_kernelINS0_19lookback_scan_stateINS_5tupleIJibEEELb0ELb1EEEEEvT_jjPNS6_10value_typeE,comdat
.Lfunc_end40:
	.size	_ZN7rocprim6detail31init_lookback_scan_state_kernelINS0_19lookback_scan_stateINS_5tupleIJibEEELb0ELb1EEEEEvT_jjPNS6_10value_typeE, .Lfunc_end40-_ZN7rocprim6detail31init_lookback_scan_state_kernelINS0_19lookback_scan_stateINS_5tupleIJibEEELb0ELb1EEEEEvT_jjPNS6_10value_typeE
                                        ; -- End function
	.set _ZN7rocprim6detail31init_lookback_scan_state_kernelINS0_19lookback_scan_stateINS_5tupleIJibEEELb0ELb1EEEEEvT_jjPNS6_10value_typeE.num_vgpr, 8
	.set _ZN7rocprim6detail31init_lookback_scan_state_kernelINS0_19lookback_scan_stateINS_5tupleIJibEEELb0ELb1EEEEEvT_jjPNS6_10value_typeE.num_agpr, 0
	.set _ZN7rocprim6detail31init_lookback_scan_state_kernelINS0_19lookback_scan_stateINS_5tupleIJibEEELb0ELb1EEEEEvT_jjPNS6_10value_typeE.numbered_sgpr, 14
	.set _ZN7rocprim6detail31init_lookback_scan_state_kernelINS0_19lookback_scan_stateINS_5tupleIJibEEELb0ELb1EEEEEvT_jjPNS6_10value_typeE.num_named_barrier, 0
	.set _ZN7rocprim6detail31init_lookback_scan_state_kernelINS0_19lookback_scan_stateINS_5tupleIJibEEELb0ELb1EEEEEvT_jjPNS6_10value_typeE.private_seg_size, 0
	.set _ZN7rocprim6detail31init_lookback_scan_state_kernelINS0_19lookback_scan_stateINS_5tupleIJibEEELb0ELb1EEEEEvT_jjPNS6_10value_typeE.uses_vcc, 1
	.set _ZN7rocprim6detail31init_lookback_scan_state_kernelINS0_19lookback_scan_stateINS_5tupleIJibEEELb0ELb1EEEEEvT_jjPNS6_10value_typeE.uses_flat_scratch, 0
	.set _ZN7rocprim6detail31init_lookback_scan_state_kernelINS0_19lookback_scan_stateINS_5tupleIJibEEELb0ELb1EEEEEvT_jjPNS6_10value_typeE.has_dyn_sized_stack, 0
	.set _ZN7rocprim6detail31init_lookback_scan_state_kernelINS0_19lookback_scan_stateINS_5tupleIJibEEELb0ELb1EEEEEvT_jjPNS6_10value_typeE.has_recursion, 0
	.set _ZN7rocprim6detail31init_lookback_scan_state_kernelINS0_19lookback_scan_stateINS_5tupleIJibEEELb0ELb1EEEEEvT_jjPNS6_10value_typeE.has_indirect_call, 0
	.section	.AMDGPU.csdata,"",@progbits
; Kernel info:
; codeLenInByte = 372
; TotalNumSgprs: 18
; NumVgprs: 8
; ScratchSize: 0
; MemoryBound: 0
; FloatMode: 240
; IeeeMode: 1
; LDSByteSize: 0 bytes/workgroup (compile time only)
; SGPRBlocks: 2
; VGPRBlocks: 1
; NumSGPRsForWavesPerEU: 18
; NumVGPRsForWavesPerEU: 8
; Occupancy: 10
; WaveLimiterHint : 0
; COMPUTE_PGM_RSRC2:SCRATCH_EN: 0
; COMPUTE_PGM_RSRC2:USER_SGPR: 6
; COMPUTE_PGM_RSRC2:TRAP_HANDLER: 0
; COMPUTE_PGM_RSRC2:TGID_X_EN: 1
; COMPUTE_PGM_RSRC2:TGID_Y_EN: 0
; COMPUTE_PGM_RSRC2:TGID_Z_EN: 0
; COMPUTE_PGM_RSRC2:TIDIG_COMP_CNT: 0
	.section	.text._ZN7rocprim6detail25device_scan_by_key_kernelILNS0_25lookback_scan_determinismE0ELb0ENS0_26wrapped_scan_by_key_configINS_14default_configEiiEEPiN6hipcub22TransformInputIteratorIiNS7_6CastOpIiEES6_lEEPliNS7_8EqualityENS7_3SumENS0_19lookback_scan_stateINS_5tupleIJibEEELb1ELb1EEEiEEvT2_T3_T4_T5_T6_T7_T8_mmmPKNSG_IJT9_bEEE,"axG",@progbits,_ZN7rocprim6detail25device_scan_by_key_kernelILNS0_25lookback_scan_determinismE0ELb0ENS0_26wrapped_scan_by_key_configINS_14default_configEiiEEPiN6hipcub22TransformInputIteratorIiNS7_6CastOpIiEES6_lEEPliNS7_8EqualityENS7_3SumENS0_19lookback_scan_stateINS_5tupleIJibEEELb1ELb1EEEiEEvT2_T3_T4_T5_T6_T7_T8_mmmPKNSG_IJT9_bEEE,comdat
	.protected	_ZN7rocprim6detail25device_scan_by_key_kernelILNS0_25lookback_scan_determinismE0ELb0ENS0_26wrapped_scan_by_key_configINS_14default_configEiiEEPiN6hipcub22TransformInputIteratorIiNS7_6CastOpIiEES6_lEEPliNS7_8EqualityENS7_3SumENS0_19lookback_scan_stateINS_5tupleIJibEEELb1ELb1EEEiEEvT2_T3_T4_T5_T6_T7_T8_mmmPKNSG_IJT9_bEEE ; -- Begin function _ZN7rocprim6detail25device_scan_by_key_kernelILNS0_25lookback_scan_determinismE0ELb0ENS0_26wrapped_scan_by_key_configINS_14default_configEiiEEPiN6hipcub22TransformInputIteratorIiNS7_6CastOpIiEES6_lEEPliNS7_8EqualityENS7_3SumENS0_19lookback_scan_stateINS_5tupleIJibEEELb1ELb1EEEiEEvT2_T3_T4_T5_T6_T7_T8_mmmPKNSG_IJT9_bEEE
	.globl	_ZN7rocprim6detail25device_scan_by_key_kernelILNS0_25lookback_scan_determinismE0ELb0ENS0_26wrapped_scan_by_key_configINS_14default_configEiiEEPiN6hipcub22TransformInputIteratorIiNS7_6CastOpIiEES6_lEEPliNS7_8EqualityENS7_3SumENS0_19lookback_scan_stateINS_5tupleIJibEEELb1ELb1EEEiEEvT2_T3_T4_T5_T6_T7_T8_mmmPKNSG_IJT9_bEEE
	.p2align	8
	.type	_ZN7rocprim6detail25device_scan_by_key_kernelILNS0_25lookback_scan_determinismE0ELb0ENS0_26wrapped_scan_by_key_configINS_14default_configEiiEEPiN6hipcub22TransformInputIteratorIiNS7_6CastOpIiEES6_lEEPliNS7_8EqualityENS7_3SumENS0_19lookback_scan_stateINS_5tupleIJibEEELb1ELb1EEEiEEvT2_T3_T4_T5_T6_T7_T8_mmmPKNSG_IJT9_bEEE,@function
_ZN7rocprim6detail25device_scan_by_key_kernelILNS0_25lookback_scan_determinismE0ELb0ENS0_26wrapped_scan_by_key_configINS_14default_configEiiEEPiN6hipcub22TransformInputIteratorIiNS7_6CastOpIiEES6_lEEPliNS7_8EqualityENS7_3SumENS0_19lookback_scan_stateINS_5tupleIJibEEELb1ELb1EEEiEEvT2_T3_T4_T5_T6_T7_T8_mmmPKNSG_IJT9_bEEE: ; @_ZN7rocprim6detail25device_scan_by_key_kernelILNS0_25lookback_scan_determinismE0ELb0ENS0_26wrapped_scan_by_key_configINS_14default_configEiiEEPiN6hipcub22TransformInputIteratorIiNS7_6CastOpIiEES6_lEEPliNS7_8EqualityENS7_3SumENS0_19lookback_scan_stateINS_5tupleIJibEEELb1ELb1EEEiEEvT2_T3_T4_T5_T6_T7_T8_mmmPKNSG_IJT9_bEEE
; %bb.0:
	s_endpgm
	.section	.rodata,"a",@progbits
	.p2align	6, 0x0
	.amdhsa_kernel _ZN7rocprim6detail25device_scan_by_key_kernelILNS0_25lookback_scan_determinismE0ELb0ENS0_26wrapped_scan_by_key_configINS_14default_configEiiEEPiN6hipcub22TransformInputIteratorIiNS7_6CastOpIiEES6_lEEPliNS7_8EqualityENS7_3SumENS0_19lookback_scan_stateINS_5tupleIJibEEELb1ELb1EEEiEEvT2_T3_T4_T5_T6_T7_T8_mmmPKNSG_IJT9_bEEE
		.amdhsa_group_segment_fixed_size 0
		.amdhsa_private_segment_fixed_size 0
		.amdhsa_kernarg_size 80
		.amdhsa_user_sgpr_count 6
		.amdhsa_user_sgpr_private_segment_buffer 1
		.amdhsa_user_sgpr_dispatch_ptr 0
		.amdhsa_user_sgpr_queue_ptr 0
		.amdhsa_user_sgpr_kernarg_segment_ptr 1
		.amdhsa_user_sgpr_dispatch_id 0
		.amdhsa_user_sgpr_flat_scratch_init 0
		.amdhsa_user_sgpr_private_segment_size 0
		.amdhsa_uses_dynamic_stack 0
		.amdhsa_system_sgpr_private_segment_wavefront_offset 0
		.amdhsa_system_sgpr_workgroup_id_x 1
		.amdhsa_system_sgpr_workgroup_id_y 0
		.amdhsa_system_sgpr_workgroup_id_z 0
		.amdhsa_system_sgpr_workgroup_info 0
		.amdhsa_system_vgpr_workitem_id 0
		.amdhsa_next_free_vgpr 1
		.amdhsa_next_free_sgpr 0
		.amdhsa_reserve_vcc 0
		.amdhsa_reserve_flat_scratch 0
		.amdhsa_float_round_mode_32 0
		.amdhsa_float_round_mode_16_64 0
		.amdhsa_float_denorm_mode_32 3
		.amdhsa_float_denorm_mode_16_64 3
		.amdhsa_dx10_clamp 1
		.amdhsa_ieee_mode 1
		.amdhsa_fp16_overflow 0
		.amdhsa_exception_fp_ieee_invalid_op 0
		.amdhsa_exception_fp_denorm_src 0
		.amdhsa_exception_fp_ieee_div_zero 0
		.amdhsa_exception_fp_ieee_overflow 0
		.amdhsa_exception_fp_ieee_underflow 0
		.amdhsa_exception_fp_ieee_inexact 0
		.amdhsa_exception_int_div_zero 0
	.end_amdhsa_kernel
	.section	.text._ZN7rocprim6detail25device_scan_by_key_kernelILNS0_25lookback_scan_determinismE0ELb0ENS0_26wrapped_scan_by_key_configINS_14default_configEiiEEPiN6hipcub22TransformInputIteratorIiNS7_6CastOpIiEES6_lEEPliNS7_8EqualityENS7_3SumENS0_19lookback_scan_stateINS_5tupleIJibEEELb1ELb1EEEiEEvT2_T3_T4_T5_T6_T7_T8_mmmPKNSG_IJT9_bEEE,"axG",@progbits,_ZN7rocprim6detail25device_scan_by_key_kernelILNS0_25lookback_scan_determinismE0ELb0ENS0_26wrapped_scan_by_key_configINS_14default_configEiiEEPiN6hipcub22TransformInputIteratorIiNS7_6CastOpIiEES6_lEEPliNS7_8EqualityENS7_3SumENS0_19lookback_scan_stateINS_5tupleIJibEEELb1ELb1EEEiEEvT2_T3_T4_T5_T6_T7_T8_mmmPKNSG_IJT9_bEEE,comdat
.Lfunc_end41:
	.size	_ZN7rocprim6detail25device_scan_by_key_kernelILNS0_25lookback_scan_determinismE0ELb0ENS0_26wrapped_scan_by_key_configINS_14default_configEiiEEPiN6hipcub22TransformInputIteratorIiNS7_6CastOpIiEES6_lEEPliNS7_8EqualityENS7_3SumENS0_19lookback_scan_stateINS_5tupleIJibEEELb1ELb1EEEiEEvT2_T3_T4_T5_T6_T7_T8_mmmPKNSG_IJT9_bEEE, .Lfunc_end41-_ZN7rocprim6detail25device_scan_by_key_kernelILNS0_25lookback_scan_determinismE0ELb0ENS0_26wrapped_scan_by_key_configINS_14default_configEiiEEPiN6hipcub22TransformInputIteratorIiNS7_6CastOpIiEES6_lEEPliNS7_8EqualityENS7_3SumENS0_19lookback_scan_stateINS_5tupleIJibEEELb1ELb1EEEiEEvT2_T3_T4_T5_T6_T7_T8_mmmPKNSG_IJT9_bEEE
                                        ; -- End function
	.set _ZN7rocprim6detail25device_scan_by_key_kernelILNS0_25lookback_scan_determinismE0ELb0ENS0_26wrapped_scan_by_key_configINS_14default_configEiiEEPiN6hipcub22TransformInputIteratorIiNS7_6CastOpIiEES6_lEEPliNS7_8EqualityENS7_3SumENS0_19lookback_scan_stateINS_5tupleIJibEEELb1ELb1EEEiEEvT2_T3_T4_T5_T6_T7_T8_mmmPKNSG_IJT9_bEEE.num_vgpr, 0
	.set _ZN7rocprim6detail25device_scan_by_key_kernelILNS0_25lookback_scan_determinismE0ELb0ENS0_26wrapped_scan_by_key_configINS_14default_configEiiEEPiN6hipcub22TransformInputIteratorIiNS7_6CastOpIiEES6_lEEPliNS7_8EqualityENS7_3SumENS0_19lookback_scan_stateINS_5tupleIJibEEELb1ELb1EEEiEEvT2_T3_T4_T5_T6_T7_T8_mmmPKNSG_IJT9_bEEE.num_agpr, 0
	.set _ZN7rocprim6detail25device_scan_by_key_kernelILNS0_25lookback_scan_determinismE0ELb0ENS0_26wrapped_scan_by_key_configINS_14default_configEiiEEPiN6hipcub22TransformInputIteratorIiNS7_6CastOpIiEES6_lEEPliNS7_8EqualityENS7_3SumENS0_19lookback_scan_stateINS_5tupleIJibEEELb1ELb1EEEiEEvT2_T3_T4_T5_T6_T7_T8_mmmPKNSG_IJT9_bEEE.numbered_sgpr, 0
	.set _ZN7rocprim6detail25device_scan_by_key_kernelILNS0_25lookback_scan_determinismE0ELb0ENS0_26wrapped_scan_by_key_configINS_14default_configEiiEEPiN6hipcub22TransformInputIteratorIiNS7_6CastOpIiEES6_lEEPliNS7_8EqualityENS7_3SumENS0_19lookback_scan_stateINS_5tupleIJibEEELb1ELb1EEEiEEvT2_T3_T4_T5_T6_T7_T8_mmmPKNSG_IJT9_bEEE.num_named_barrier, 0
	.set _ZN7rocprim6detail25device_scan_by_key_kernelILNS0_25lookback_scan_determinismE0ELb0ENS0_26wrapped_scan_by_key_configINS_14default_configEiiEEPiN6hipcub22TransformInputIteratorIiNS7_6CastOpIiEES6_lEEPliNS7_8EqualityENS7_3SumENS0_19lookback_scan_stateINS_5tupleIJibEEELb1ELb1EEEiEEvT2_T3_T4_T5_T6_T7_T8_mmmPKNSG_IJT9_bEEE.private_seg_size, 0
	.set _ZN7rocprim6detail25device_scan_by_key_kernelILNS0_25lookback_scan_determinismE0ELb0ENS0_26wrapped_scan_by_key_configINS_14default_configEiiEEPiN6hipcub22TransformInputIteratorIiNS7_6CastOpIiEES6_lEEPliNS7_8EqualityENS7_3SumENS0_19lookback_scan_stateINS_5tupleIJibEEELb1ELb1EEEiEEvT2_T3_T4_T5_T6_T7_T8_mmmPKNSG_IJT9_bEEE.uses_vcc, 0
	.set _ZN7rocprim6detail25device_scan_by_key_kernelILNS0_25lookback_scan_determinismE0ELb0ENS0_26wrapped_scan_by_key_configINS_14default_configEiiEEPiN6hipcub22TransformInputIteratorIiNS7_6CastOpIiEES6_lEEPliNS7_8EqualityENS7_3SumENS0_19lookback_scan_stateINS_5tupleIJibEEELb1ELb1EEEiEEvT2_T3_T4_T5_T6_T7_T8_mmmPKNSG_IJT9_bEEE.uses_flat_scratch, 0
	.set _ZN7rocprim6detail25device_scan_by_key_kernelILNS0_25lookback_scan_determinismE0ELb0ENS0_26wrapped_scan_by_key_configINS_14default_configEiiEEPiN6hipcub22TransformInputIteratorIiNS7_6CastOpIiEES6_lEEPliNS7_8EqualityENS7_3SumENS0_19lookback_scan_stateINS_5tupleIJibEEELb1ELb1EEEiEEvT2_T3_T4_T5_T6_T7_T8_mmmPKNSG_IJT9_bEEE.has_dyn_sized_stack, 0
	.set _ZN7rocprim6detail25device_scan_by_key_kernelILNS0_25lookback_scan_determinismE0ELb0ENS0_26wrapped_scan_by_key_configINS_14default_configEiiEEPiN6hipcub22TransformInputIteratorIiNS7_6CastOpIiEES6_lEEPliNS7_8EqualityENS7_3SumENS0_19lookback_scan_stateINS_5tupleIJibEEELb1ELb1EEEiEEvT2_T3_T4_T5_T6_T7_T8_mmmPKNSG_IJT9_bEEE.has_recursion, 0
	.set _ZN7rocprim6detail25device_scan_by_key_kernelILNS0_25lookback_scan_determinismE0ELb0ENS0_26wrapped_scan_by_key_configINS_14default_configEiiEEPiN6hipcub22TransformInputIteratorIiNS7_6CastOpIiEES6_lEEPliNS7_8EqualityENS7_3SumENS0_19lookback_scan_stateINS_5tupleIJibEEELb1ELb1EEEiEEvT2_T3_T4_T5_T6_T7_T8_mmmPKNSG_IJT9_bEEE.has_indirect_call, 0
	.section	.AMDGPU.csdata,"",@progbits
; Kernel info:
; codeLenInByte = 4
; TotalNumSgprs: 4
; NumVgprs: 0
; ScratchSize: 0
; MemoryBound: 0
; FloatMode: 240
; IeeeMode: 1
; LDSByteSize: 0 bytes/workgroup (compile time only)
; SGPRBlocks: 0
; VGPRBlocks: 0
; NumSGPRsForWavesPerEU: 4
; NumVGPRsForWavesPerEU: 1
; Occupancy: 10
; WaveLimiterHint : 0
; COMPUTE_PGM_RSRC2:SCRATCH_EN: 0
; COMPUTE_PGM_RSRC2:USER_SGPR: 6
; COMPUTE_PGM_RSRC2:TRAP_HANDLER: 0
; COMPUTE_PGM_RSRC2:TGID_X_EN: 1
; COMPUTE_PGM_RSRC2:TGID_Y_EN: 0
; COMPUTE_PGM_RSRC2:TGID_Z_EN: 0
; COMPUTE_PGM_RSRC2:TIDIG_COMP_CNT: 0
	.section	.text._ZN7rocprim6detail25device_scan_by_key_kernelILNS0_25lookback_scan_determinismE0ELb0ENS0_26wrapped_scan_by_key_configINS_14default_configEiiEEPiN6hipcub22TransformInputIteratorIiNS7_6CastOpIiEES6_lEEPliNS7_8EqualityENS7_3SumENS0_19lookback_scan_stateINS_5tupleIJibEEELb0ELb1EEEiEEvT2_T3_T4_T5_T6_T7_T8_mmmPKNSG_IJT9_bEEE,"axG",@progbits,_ZN7rocprim6detail25device_scan_by_key_kernelILNS0_25lookback_scan_determinismE0ELb0ENS0_26wrapped_scan_by_key_configINS_14default_configEiiEEPiN6hipcub22TransformInputIteratorIiNS7_6CastOpIiEES6_lEEPliNS7_8EqualityENS7_3SumENS0_19lookback_scan_stateINS_5tupleIJibEEELb0ELb1EEEiEEvT2_T3_T4_T5_T6_T7_T8_mmmPKNSG_IJT9_bEEE,comdat
	.protected	_ZN7rocprim6detail25device_scan_by_key_kernelILNS0_25lookback_scan_determinismE0ELb0ENS0_26wrapped_scan_by_key_configINS_14default_configEiiEEPiN6hipcub22TransformInputIteratorIiNS7_6CastOpIiEES6_lEEPliNS7_8EqualityENS7_3SumENS0_19lookback_scan_stateINS_5tupleIJibEEELb0ELb1EEEiEEvT2_T3_T4_T5_T6_T7_T8_mmmPKNSG_IJT9_bEEE ; -- Begin function _ZN7rocprim6detail25device_scan_by_key_kernelILNS0_25lookback_scan_determinismE0ELb0ENS0_26wrapped_scan_by_key_configINS_14default_configEiiEEPiN6hipcub22TransformInputIteratorIiNS7_6CastOpIiEES6_lEEPliNS7_8EqualityENS7_3SumENS0_19lookback_scan_stateINS_5tupleIJibEEELb0ELb1EEEiEEvT2_T3_T4_T5_T6_T7_T8_mmmPKNSG_IJT9_bEEE
	.globl	_ZN7rocprim6detail25device_scan_by_key_kernelILNS0_25lookback_scan_determinismE0ELb0ENS0_26wrapped_scan_by_key_configINS_14default_configEiiEEPiN6hipcub22TransformInputIteratorIiNS7_6CastOpIiEES6_lEEPliNS7_8EqualityENS7_3SumENS0_19lookback_scan_stateINS_5tupleIJibEEELb0ELb1EEEiEEvT2_T3_T4_T5_T6_T7_T8_mmmPKNSG_IJT9_bEEE
	.p2align	8
	.type	_ZN7rocprim6detail25device_scan_by_key_kernelILNS0_25lookback_scan_determinismE0ELb0ENS0_26wrapped_scan_by_key_configINS_14default_configEiiEEPiN6hipcub22TransformInputIteratorIiNS7_6CastOpIiEES6_lEEPliNS7_8EqualityENS7_3SumENS0_19lookback_scan_stateINS_5tupleIJibEEELb0ELb1EEEiEEvT2_T3_T4_T5_T6_T7_T8_mmmPKNSG_IJT9_bEEE,@function
_ZN7rocprim6detail25device_scan_by_key_kernelILNS0_25lookback_scan_determinismE0ELb0ENS0_26wrapped_scan_by_key_configINS_14default_configEiiEEPiN6hipcub22TransformInputIteratorIiNS7_6CastOpIiEES6_lEEPliNS7_8EqualityENS7_3SumENS0_19lookback_scan_stateINS_5tupleIJibEEELb0ELb1EEEiEEvT2_T3_T4_T5_T6_T7_T8_mmmPKNSG_IJT9_bEEE: ; @_ZN7rocprim6detail25device_scan_by_key_kernelILNS0_25lookback_scan_determinismE0ELb0ENS0_26wrapped_scan_by_key_configINS_14default_configEiiEEPiN6hipcub22TransformInputIteratorIiNS7_6CastOpIiEES6_lEEPliNS7_8EqualityENS7_3SumENS0_19lookback_scan_stateINS_5tupleIJibEEELb0ELb1EEEiEEvT2_T3_T4_T5_T6_T7_T8_mmmPKNSG_IJT9_bEEE
; %bb.0:
	s_load_dwordx4 s[0:3], s[4:5], 0x0
	s_load_dwordx8 s[48:55], s[4:5], 0x28
	s_load_dwordx2 s[56:57], s[4:5], 0x48
	s_mul_i32 s46, s6, 0xf00
	s_mov_b32 s47, 0
	s_lshl_b64 s[8:9], s[46:47], 2
	s_waitcnt lgkmcnt(0)
	s_add_u32 s40, s0, s8
	s_addc_u32 s41, s1, s9
	s_add_u32 s38, s2, s8
	s_addc_u32 s39, s3, s9
	;; [unrolled: 2-line block ×3, first 2 shown]
	s_add_u32 s8, s54, -1
	s_addc_u32 s9, s55, -1
	v_mov_b32_e32 v1, s8
	v_mov_b32_e32 v2, s9
	v_cmp_ge_u64_e64 s[0:1], s[0:1], v[1:2]
	s_mov_b64 s[2:3], -1
	s_and_b64 vcc, exec, s[0:1]
	s_mul_i32 s33, s8, 0xfffff100
	v_lshlrev_b32_e32 v69, 2, v0
	s_cbranch_vccz .LBB42_47
; %bb.1:
	s_load_dword s42, s[40:41], 0x0
	s_add_i32 s7, s33, s50
	v_mov_b32_e32 v2, s41
	v_add_co_u32_e32 v1, vcc, s40, v69
	v_addc_co_u32_e32 v2, vcc, 0, v2, vcc
	v_cmp_gt_u32_e64 s[2:3], s7, v0
	s_waitcnt lgkmcnt(0)
	v_mov_b32_e32 v3, s42
	s_and_saveexec_b64 s[8:9], s[2:3]
	s_cbranch_execz .LBB42_3
; %bb.2:
	global_load_dword v3, v[1:2], off
.LBB42_3:
	s_or_b64 exec, exec, s[8:9]
	v_or_b32_e32 v4, 0x100, v0
	v_cmp_gt_u32_e64 s[36:37], s7, v4
	v_mov_b32_e32 v4, s42
	s_and_saveexec_b64 s[8:9], s[36:37]
	s_cbranch_execz .LBB42_5
; %bb.4:
	global_load_dword v4, v[1:2], off offset:1024
.LBB42_5:
	s_or_b64 exec, exec, s[8:9]
	v_or_b32_e32 v5, 0x200, v0
	v_cmp_gt_u32_e64 s[8:9], s7, v5
	v_mov_b32_e32 v5, s42
	s_and_saveexec_b64 s[10:11], s[8:9]
	s_cbranch_execz .LBB42_7
; %bb.6:
	global_load_dword v5, v[1:2], off offset:2048
.LBB42_7:
	;; [unrolled: 9-line block ×3, first 2 shown]
	s_or_b64 exec, exec, s[12:13]
	v_or_b32_e32 v7, 0x400, v0
	v_cmp_gt_u32_e64 s[12:13], s7, v7
	v_mov_b32_e32 v7, s42
	s_and_saveexec_b64 s[14:15], s[12:13]
	s_cbranch_execz .LBB42_11
; %bb.10:
	v_add_co_u32_e32 v7, vcc, 0x1000, v1
	v_addc_co_u32_e32 v8, vcc, 0, v2, vcc
	global_load_dword v7, v[7:8], off
.LBB42_11:
	s_or_b64 exec, exec, s[14:15]
	v_or_b32_e32 v8, 0x500, v0
	v_cmp_gt_u32_e64 s[14:15], s7, v8
	v_mov_b32_e32 v8, s42
	s_and_saveexec_b64 s[16:17], s[14:15]
	s_cbranch_execz .LBB42_13
; %bb.12:
	v_add_co_u32_e32 v8, vcc, 0x1000, v1
	v_addc_co_u32_e32 v9, vcc, 0, v2, vcc
	global_load_dword v8, v[8:9], off offset:1024
.LBB42_13:
	s_or_b64 exec, exec, s[16:17]
	v_or_b32_e32 v9, 0x600, v0
	v_cmp_gt_u32_e64 s[16:17], s7, v9
	v_mov_b32_e32 v9, s42
	s_and_saveexec_b64 s[18:19], s[16:17]
	s_cbranch_execz .LBB42_15
; %bb.14:
	v_add_co_u32_e32 v9, vcc, 0x1000, v1
	v_addc_co_u32_e32 v10, vcc, 0, v2, vcc
	global_load_dword v9, v[9:10], off offset:2048
.LBB42_15:
	;; [unrolled: 11-line block ×3, first 2 shown]
	s_or_b64 exec, exec, s[20:21]
	v_or_b32_e32 v11, 0x800, v0
	v_cmp_gt_u32_e64 s[20:21], s7, v11
	v_mov_b32_e32 v11, s42
	s_and_saveexec_b64 s[22:23], s[20:21]
	s_cbranch_execz .LBB42_19
; %bb.18:
	v_add_co_u32_e32 v11, vcc, 0x2000, v1
	v_addc_co_u32_e32 v12, vcc, 0, v2, vcc
	global_load_dword v11, v[11:12], off
.LBB42_19:
	s_or_b64 exec, exec, s[22:23]
	v_or_b32_e32 v12, 0x900, v0
	v_cmp_gt_u32_e64 s[22:23], s7, v12
	v_mov_b32_e32 v12, s42
	s_and_saveexec_b64 s[24:25], s[22:23]
	s_cbranch_execz .LBB42_21
; %bb.20:
	v_add_co_u32_e32 v12, vcc, 0x2000, v1
	v_addc_co_u32_e32 v13, vcc, 0, v2, vcc
	global_load_dword v12, v[12:13], off offset:1024
.LBB42_21:
	s_or_b64 exec, exec, s[24:25]
	v_or_b32_e32 v13, 0xa00, v0
	v_cmp_gt_u32_e64 s[24:25], s7, v13
	v_mov_b32_e32 v13, s42
	s_and_saveexec_b64 s[26:27], s[24:25]
	s_cbranch_execz .LBB42_23
; %bb.22:
	v_add_co_u32_e32 v13, vcc, 0x2000, v1
	v_addc_co_u32_e32 v14, vcc, 0, v2, vcc
	global_load_dword v13, v[13:14], off offset:2048
.LBB42_23:
	s_or_b64 exec, exec, s[26:27]
	v_or_b32_e32 v14, 0xb00, v0
	v_cmp_gt_u32_e64 s[26:27], s7, v14
	v_mov_b32_e32 v14, s42
	s_and_saveexec_b64 s[28:29], s[26:27]
	s_cbranch_execz .LBB42_25
; %bb.24:
	v_add_co_u32_e32 v14, vcc, 0x2000, v1
	v_addc_co_u32_e32 v15, vcc, 0, v2, vcc
	global_load_dword v14, v[14:15], off offset:3072
.LBB42_25:
	s_or_b64 exec, exec, s[28:29]
	v_or_b32_e32 v15, 0xc00, v0
	v_cmp_gt_u32_e64 s[28:29], s7, v15
	v_mov_b32_e32 v15, s42
	s_and_saveexec_b64 s[30:31], s[28:29]
	s_cbranch_execz .LBB42_27
; %bb.26:
	v_add_co_u32_e32 v15, vcc, 0x3000, v1
	v_addc_co_u32_e32 v16, vcc, 0, v2, vcc
	global_load_dword v15, v[15:16], off
.LBB42_27:
	s_or_b64 exec, exec, s[30:31]
	v_or_b32_e32 v16, 0xd00, v0
	v_cmp_gt_u32_e64 s[30:31], s7, v16
	v_mov_b32_e32 v16, s42
	s_and_saveexec_b64 s[34:35], s[30:31]
	s_cbranch_execz .LBB42_29
; %bb.28:
	v_add_co_u32_e32 v16, vcc, 0x3000, v1
	v_addc_co_u32_e32 v17, vcc, 0, v2, vcc
	global_load_dword v16, v[16:17], off offset:1024
.LBB42_29:
	s_or_b64 exec, exec, s[34:35]
	v_or_b32_e32 v17, 0xe00, v0
	v_cmp_gt_u32_e64 s[34:35], s7, v17
	v_mov_b32_e32 v17, s42
	s_and_saveexec_b64 s[42:43], s[34:35]
	s_cbranch_execz .LBB42_31
; %bb.30:
	v_add_co_u32_e32 v1, vcc, 0x3000, v1
	v_addc_co_u32_e32 v2, vcc, 0, v2, vcc
	global_load_dword v17, v[1:2], off offset:2048
.LBB42_31:
	s_or_b64 exec, exec, s[42:43]
	s_sub_u32 s42, 0, s6
	s_subb_u32 s43, 0, 0
	s_cmp_eq_u64 s[52:53], s[42:43]
	s_cselect_b32 s42, 0, -4
	s_cselect_b32 s43, 0, -1
	s_add_u32 s42, s40, s42
	v_mad_u32_u24 v55, v0, 56, v69
	s_addc_u32 s43, s41, s43
	s_waitcnt vmcnt(0)
	ds_write2st64_b32 v69, v3, v4 offset1:4
	ds_write2st64_b32 v69, v5, v6 offset0:8 offset1:12
	ds_write2st64_b32 v69, v7, v8 offset0:16 offset1:20
	ds_write2st64_b32 v69, v9, v10 offset0:24 offset1:28
	ds_write2st64_b32 v69, v11, v12 offset0:32 offset1:36
	ds_write2st64_b32 v69, v13, v14 offset0:40 offset1:44
	ds_write2st64_b32 v69, v15, v16 offset0:48 offset1:52
	ds_write_b32 v69, v17 offset:14336
	s_waitcnt lgkmcnt(0)
	s_barrier
	ds_read2_b32 v[67:68], v55 offset1:1
	ds_read2_b32 v[65:66], v55 offset0:2 offset1:3
	ds_read2_b32 v[63:64], v55 offset0:4 offset1:5
	;; [unrolled: 1-line block ×6, first 2 shown]
	ds_read_b32 v70, v55 offset:56
	s_load_dword s42, s[42:43], 0x0
	s_movk_i32 s43, 0xffc8
	v_mad_i32_i24 v1, v0, s43, v55
	v_cmp_ne_u32_e32 vcc, 0, v0
	s_waitcnt lgkmcnt(0)
	ds_write_b32 v1, v70 offset:15360
	v_mov_b32_e32 v72, s42
	s_waitcnt lgkmcnt(0)
	s_barrier
	s_and_saveexec_b64 s[42:43], vcc
; %bb.32:
	v_mul_i32_i24_e32 v1, 0xffffffc8, v0
	v_add_u32_e32 v1, v55, v1
	ds_read_b32 v72, v1 offset:15356
; %bb.33:
	s_or_b64 exec, exec, s[42:43]
	v_mov_b32_e32 v2, s39
	v_add_co_u32_e32 v1, vcc, s38, v69
	v_addc_co_u32_e32 v2, vcc, 0, v2, vcc
	s_waitcnt lgkmcnt(0)
	s_barrier
                                        ; implicit-def: $vgpr3
	s_and_saveexec_b64 s[42:43], s[2:3]
	s_cbranch_execz .LBB42_48
; %bb.34:
	global_load_dword v3, v[1:2], off
	s_or_b64 exec, exec, s[42:43]
                                        ; implicit-def: $vgpr4
	s_and_saveexec_b64 s[2:3], s[36:37]
	s_cbranch_execnz .LBB42_49
.LBB42_35:
	s_or_b64 exec, exec, s[2:3]
                                        ; implicit-def: $vgpr5
	s_and_saveexec_b64 s[2:3], s[8:9]
	s_cbranch_execz .LBB42_50
.LBB42_36:
	global_load_dword v5, v[1:2], off offset:2048
	s_or_b64 exec, exec, s[2:3]
                                        ; implicit-def: $vgpr6
	s_and_saveexec_b64 s[2:3], s[10:11]
	s_cbranch_execnz .LBB42_51
.LBB42_37:
	s_or_b64 exec, exec, s[2:3]
                                        ; implicit-def: $vgpr7
	s_and_saveexec_b64 s[2:3], s[12:13]
	s_cbranch_execz .LBB42_52
.LBB42_38:
	v_add_co_u32_e32 v7, vcc, 0x1000, v1
	v_addc_co_u32_e32 v8, vcc, 0, v2, vcc
	global_load_dword v7, v[7:8], off
	s_or_b64 exec, exec, s[2:3]
                                        ; implicit-def: $vgpr8
	s_and_saveexec_b64 s[2:3], s[14:15]
	s_cbranch_execnz .LBB42_53
.LBB42_39:
	s_or_b64 exec, exec, s[2:3]
                                        ; implicit-def: $vgpr9
	s_and_saveexec_b64 s[2:3], s[16:17]
	s_cbranch_execz .LBB42_54
.LBB42_40:
	v_add_co_u32_e32 v9, vcc, 0x1000, v1
	v_addc_co_u32_e32 v10, vcc, 0, v2, vcc
	global_load_dword v9, v[9:10], off offset:2048
	s_or_b64 exec, exec, s[2:3]
                                        ; implicit-def: $vgpr10
	s_and_saveexec_b64 s[2:3], s[18:19]
	s_cbranch_execnz .LBB42_55
.LBB42_41:
	s_or_b64 exec, exec, s[2:3]
                                        ; implicit-def: $vgpr11
	s_and_saveexec_b64 s[2:3], s[20:21]
	s_cbranch_execz .LBB42_56
.LBB42_42:
	v_add_co_u32_e32 v11, vcc, 0x2000, v1
	v_addc_co_u32_e32 v12, vcc, 0, v2, vcc
	global_load_dword v11, v[11:12], off
	s_or_b64 exec, exec, s[2:3]
                                        ; implicit-def: $vgpr12
	s_and_saveexec_b64 s[2:3], s[22:23]
	s_cbranch_execnz .LBB42_57
.LBB42_43:
	s_or_b64 exec, exec, s[2:3]
                                        ; implicit-def: $vgpr13
	s_and_saveexec_b64 s[2:3], s[24:25]
	s_cbranch_execz .LBB42_58
.LBB42_44:
	v_add_co_u32_e32 v13, vcc, 0x2000, v1
	v_addc_co_u32_e32 v14, vcc, 0, v2, vcc
	global_load_dword v13, v[13:14], off offset:2048
	s_or_b64 exec, exec, s[2:3]
                                        ; implicit-def: $vgpr14
	s_and_saveexec_b64 s[2:3], s[26:27]
	s_cbranch_execnz .LBB42_59
.LBB42_45:
	s_or_b64 exec, exec, s[2:3]
                                        ; implicit-def: $vgpr15
	s_and_saveexec_b64 s[2:3], s[28:29]
	s_cbranch_execz .LBB42_60
.LBB42_46:
	v_add_co_u32_e32 v15, vcc, 0x3000, v1
	v_addc_co_u32_e32 v16, vcc, 0, v2, vcc
	global_load_dword v15, v[15:16], off
	s_or_b64 exec, exec, s[2:3]
                                        ; implicit-def: $vgpr16
	s_and_saveexec_b64 s[2:3], s[30:31]
	s_cbranch_execz .LBB42_62
	s_branch .LBB42_61
.LBB42_47:
	s_mov_b64 s[12:13], 0
                                        ; implicit-def: $sgpr8_sgpr9
                                        ; implicit-def: $vgpr56
                                        ; implicit-def: $vgpr9_vgpr10
                                        ; implicit-def: $vgpr1_vgpr2
                                        ; implicit-def: $vgpr3_vgpr4
                                        ; implicit-def: $vgpr5_vgpr6
                                        ; implicit-def: $vgpr7_vgpr8
                                        ; implicit-def: $vgpr39_vgpr40
                                        ; implicit-def: $vgpr41_vgpr42
                                        ; implicit-def: $vgpr43_vgpr44
                                        ; implicit-def: $vgpr45_vgpr46
                                        ; implicit-def: $vgpr47_vgpr48
                                        ; implicit-def: $vgpr49_vgpr50
                                        ; implicit-def: $vgpr51_vgpr52
                                        ; implicit-def: $vgpr53_vgpr54
                                        ; implicit-def: $vgpr35_vgpr36
                                        ; implicit-def: $vgpr33_vgpr34
                                        ; implicit-def: $vgpr31_vgpr32
                                        ; implicit-def: $vgpr29_vgpr30
                                        ; implicit-def: $vgpr27_vgpr28
                                        ; implicit-def: $vgpr25_vgpr26
                                        ; implicit-def: $vgpr23_vgpr24
                                        ; implicit-def: $vgpr21_vgpr22
                                        ; implicit-def: $vgpr19_vgpr20
                                        ; implicit-def: $vgpr17_vgpr18
                                        ; implicit-def: $vgpr15_vgpr16
                                        ; implicit-def: $vgpr13_vgpr14
                                        ; implicit-def: $vgpr11_vgpr12
	s_and_b64 vcc, exec, s[2:3]
	v_cmp_ne_u32_e64 s[2:3], 0, v0
	s_cbranch_vccz .LBB42_96
	s_branch .LBB42_93
.LBB42_48:
	s_or_b64 exec, exec, s[42:43]
                                        ; implicit-def: $vgpr4
	s_and_saveexec_b64 s[2:3], s[36:37]
	s_cbranch_execz .LBB42_35
.LBB42_49:
	global_load_dword v4, v[1:2], off offset:1024
	s_or_b64 exec, exec, s[2:3]
                                        ; implicit-def: $vgpr5
	s_and_saveexec_b64 s[2:3], s[8:9]
	s_cbranch_execnz .LBB42_36
.LBB42_50:
	s_or_b64 exec, exec, s[2:3]
                                        ; implicit-def: $vgpr6
	s_and_saveexec_b64 s[2:3], s[10:11]
	s_cbranch_execz .LBB42_37
.LBB42_51:
	global_load_dword v6, v[1:2], off offset:3072
	s_or_b64 exec, exec, s[2:3]
                                        ; implicit-def: $vgpr7
	s_and_saveexec_b64 s[2:3], s[12:13]
	s_cbranch_execnz .LBB42_38
.LBB42_52:
	s_or_b64 exec, exec, s[2:3]
                                        ; implicit-def: $vgpr8
	s_and_saveexec_b64 s[2:3], s[14:15]
	s_cbranch_execz .LBB42_39
.LBB42_53:
	v_add_co_u32_e32 v8, vcc, 0x1000, v1
	v_addc_co_u32_e32 v9, vcc, 0, v2, vcc
	global_load_dword v8, v[8:9], off offset:1024
	s_or_b64 exec, exec, s[2:3]
                                        ; implicit-def: $vgpr9
	s_and_saveexec_b64 s[2:3], s[16:17]
	s_cbranch_execnz .LBB42_40
.LBB42_54:
	s_or_b64 exec, exec, s[2:3]
                                        ; implicit-def: $vgpr10
	s_and_saveexec_b64 s[2:3], s[18:19]
	s_cbranch_execz .LBB42_41
.LBB42_55:
	v_add_co_u32_e32 v10, vcc, 0x1000, v1
	v_addc_co_u32_e32 v11, vcc, 0, v2, vcc
	global_load_dword v10, v[10:11], off offset:3072
	s_or_b64 exec, exec, s[2:3]
                                        ; implicit-def: $vgpr11
	s_and_saveexec_b64 s[2:3], s[20:21]
	s_cbranch_execnz .LBB42_42
.LBB42_56:
	s_or_b64 exec, exec, s[2:3]
                                        ; implicit-def: $vgpr12
	s_and_saveexec_b64 s[2:3], s[22:23]
	s_cbranch_execz .LBB42_43
.LBB42_57:
	v_add_co_u32_e32 v12, vcc, 0x2000, v1
	v_addc_co_u32_e32 v13, vcc, 0, v2, vcc
	global_load_dword v12, v[12:13], off offset:1024
	s_or_b64 exec, exec, s[2:3]
                                        ; implicit-def: $vgpr13
	s_and_saveexec_b64 s[2:3], s[24:25]
	s_cbranch_execnz .LBB42_44
.LBB42_58:
	s_or_b64 exec, exec, s[2:3]
                                        ; implicit-def: $vgpr14
	s_and_saveexec_b64 s[2:3], s[26:27]
	s_cbranch_execz .LBB42_45
.LBB42_59:
	v_add_co_u32_e32 v14, vcc, 0x2000, v1
	v_addc_co_u32_e32 v15, vcc, 0, v2, vcc
	global_load_dword v14, v[14:15], off offset:3072
	s_or_b64 exec, exec, s[2:3]
                                        ; implicit-def: $vgpr15
	s_and_saveexec_b64 s[2:3], s[28:29]
	s_cbranch_execnz .LBB42_46
.LBB42_60:
	s_or_b64 exec, exec, s[2:3]
                                        ; implicit-def: $vgpr16
	s_and_saveexec_b64 s[2:3], s[30:31]
	s_cbranch_execz .LBB42_62
.LBB42_61:
	v_add_co_u32_e32 v16, vcc, 0x3000, v1
	v_addc_co_u32_e32 v17, vcc, 0, v2, vcc
	global_load_dword v16, v[16:17], off offset:1024
.LBB42_62:
	s_or_b64 exec, exec, s[2:3]
	v_mul_u32_u24_e32 v71, 15, v0
                                        ; implicit-def: $vgpr17
	s_and_saveexec_b64 s[2:3], s[34:35]
	s_cbranch_execz .LBB42_64
; %bb.63:
	v_add_co_u32_e32 v1, vcc, 0x3000, v1
	v_addc_co_u32_e32 v2, vcc, 0, v2, vcc
	global_load_dword v17, v[1:2], off offset:2048
.LBB42_64:
	s_or_b64 exec, exec, s[2:3]
	s_waitcnt vmcnt(0)
	ds_write2st64_b32 v69, v3, v4 offset1:4
	ds_write2st64_b32 v69, v5, v6 offset0:8 offset1:12
	ds_write2st64_b32 v69, v7, v8 offset0:16 offset1:20
	;; [unrolled: 1-line block ×6, first 2 shown]
	ds_write_b32 v69, v17 offset:14336
	v_mov_b32_e32 v9, 0
	v_mov_b32_e32 v1, 0
	;; [unrolled: 1-line block ×26, first 2 shown]
	v_cmp_gt_u32_e32 vcc, s7, v71
	s_mov_b64 s[2:3], 0
	v_mov_b32_e32 v10, 0
	v_mov_b32_e32 v2, 0
	v_mov_b32_e32 v4, 0
	v_mov_b32_e32 v6, 0
	v_mov_b32_e32 v8, 0
	v_mov_b32_e32 v40, 0
	v_mov_b32_e32 v42, 0
	v_mov_b32_e32 v44, 0
	v_mov_b32_e32 v46, 0
	v_mov_b32_e32 v48, 0
	v_mov_b32_e32 v50, 0
	v_mov_b32_e32 v52, 0
	v_mov_b32_e32 v54, 0
	v_mov_b32_e32 v36, 0
	v_mov_b32_e32 v34, 0
	v_mov_b32_e32 v32, 0
	v_mov_b32_e32 v30, 0
	v_mov_b32_e32 v28, 0
	v_mov_b32_e32 v26, 0
	v_mov_b32_e32 v24, 0
	v_mov_b32_e32 v22, 0
	v_mov_b32_e32 v20, 0
	v_mov_b32_e32 v18, 0
	v_mov_b32_e32 v16, 0
	v_mov_b32_e32 v14, 0
	v_mov_b32_e32 v12, 0
	s_mov_b64 s[12:13], 0
	s_waitcnt lgkmcnt(0)
	s_barrier
                                        ; implicit-def: $sgpr8_sgpr9
                                        ; implicit-def: $vgpr56
	s_and_saveexec_b64 s[10:11], vcc
	s_cbranch_execz .LBB42_92
; %bb.65:
	ds_read_b32 v9, v55
	v_cmp_ne_u32_e32 vcc, v72, v67
	v_add_u32_e32 v1, 1, v71
	v_cndmask_b32_e64 v10, 0, 1, vcc
	v_cmp_gt_u32_e32 vcc, s7, v1
	v_mov_b32_e32 v1, 0
	v_mov_b32_e32 v3, 0
	;; [unrolled: 1-line block ×48, first 2 shown]
	s_mov_b64 s[14:15], 0
                                        ; implicit-def: $sgpr8_sgpr9
                                        ; implicit-def: $vgpr56
	s_and_saveexec_b64 s[12:13], vcc
	s_cbranch_execz .LBB42_91
; %bb.66:
	ds_read2_b32 v[1:2], v55 offset0:1 offset1:2
	v_cmp_ne_u32_e32 vcc, v67, v68
	v_add_u32_e32 v3, 2, v71
	v_cndmask_b32_e64 v33, 0, 1, vcc
	v_cmp_gt_u32_e32 vcc, s7, v3
	v_mov_b32_e32 v3, 0
	v_mov_b32_e32 v5, 0
	;; [unrolled: 1-line block ×44, first 2 shown]
	s_mov_b64 s[16:17], 0
                                        ; implicit-def: $sgpr8_sgpr9
                                        ; implicit-def: $vgpr56
	s_and_saveexec_b64 s[14:15], vcc
	s_cbranch_execz .LBB42_90
; %bb.67:
	v_cmp_ne_u32_e32 vcc, v68, v65
	v_add_u32_e32 v3, 3, v71
	v_mov_b32_e32 v5, 0
	v_mov_b32_e32 v7, 0
	;; [unrolled: 1-line block ×20, first 2 shown]
	v_cndmask_b32_e64 v4, 0, 1, vcc
	v_cmp_gt_u32_e32 vcc, s7, v3
	v_mov_b32_e32 v6, 0
	v_mov_b32_e32 v8, 0
	;; [unrolled: 1-line block ×20, first 2 shown]
	s_mov_b64 s[18:19], 0
                                        ; implicit-def: $sgpr8_sgpr9
                                        ; implicit-def: $vgpr56
	s_and_saveexec_b64 s[16:17], vcc
	s_cbranch_execz .LBB42_89
; %bb.68:
	ds_read2_b32 v[5:6], v55 offset0:3 offset1:4
	v_cmp_ne_u32_e32 vcc, v65, v66
	v_add_u32_e32 v7, 4, v71
	v_cndmask_b32_e64 v3, 0, 1, vcc
	v_cmp_gt_u32_e32 vcc, s7, v7
	v_mov_b32_e32 v7, 0
	v_mov_b32_e32 v39, 0
	;; [unrolled: 1-line block ×36, first 2 shown]
	s_mov_b64 s[20:21], 0
                                        ; implicit-def: $sgpr8_sgpr9
                                        ; implicit-def: $vgpr56
	s_and_saveexec_b64 s[18:19], vcc
	s_cbranch_execz .LBB42_88
; %bb.69:
	v_cmp_ne_u32_e32 vcc, v66, v63
	v_add_u32_e32 v7, 5, v71
	v_mov_b32_e32 v39, 0
	v_mov_b32_e32 v41, 0
	;; [unrolled: 1-line block ×16, first 2 shown]
	v_cndmask_b32_e64 v8, 0, 1, vcc
	v_cmp_gt_u32_e32 vcc, s7, v7
	v_mov_b32_e32 v40, 0
	v_mov_b32_e32 v42, 0
	;; [unrolled: 1-line block ×16, first 2 shown]
	s_mov_b64 s[22:23], 0
                                        ; implicit-def: $sgpr8_sgpr9
                                        ; implicit-def: $vgpr56
	s_and_saveexec_b64 s[20:21], vcc
	s_cbranch_execz .LBB42_87
; %bb.70:
	ds_read2_b32 v[39:40], v55 offset0:5 offset1:6
	v_cmp_ne_u32_e32 vcc, v63, v64
	v_add_u32_e32 v11, 6, v71
	v_cndmask_b32_e64 v7, 0, 1, vcc
	v_cmp_gt_u32_e32 vcc, s7, v11
	v_mov_b32_e32 v41, 0
	v_mov_b32_e32 v43, 0
	;; [unrolled: 1-line block ×28, first 2 shown]
	s_mov_b64 s[24:25], 0
                                        ; implicit-def: $sgpr8_sgpr9
                                        ; implicit-def: $vgpr56
	s_and_saveexec_b64 s[22:23], vcc
	s_cbranch_execz .LBB42_86
; %bb.71:
	v_cmp_ne_u32_e32 vcc, v64, v61
	v_add_u32_e32 v11, 7, v71
	v_cndmask_b32_e64 v42, 0, 1, vcc
	v_cmp_gt_u32_e32 vcc, s7, v11
	v_mov_b32_e32 v43, 0
	v_mov_b32_e32 v45, 0
	;; [unrolled: 1-line block ×24, first 2 shown]
	s_mov_b64 s[26:27], 0
                                        ; implicit-def: $sgpr8_sgpr9
                                        ; implicit-def: $vgpr56
	s_and_saveexec_b64 s[24:25], vcc
	s_cbranch_execz .LBB42_85
; %bb.72:
	ds_read2_b32 v[43:44], v55 offset0:7 offset1:8
	v_cmp_ne_u32_e32 vcc, v61, v62
	v_add_u32_e32 v11, 8, v71
	v_cndmask_b32_e64 v21, 0, 1, vcc
	v_cmp_gt_u32_e32 vcc, s7, v11
	v_mov_b32_e32 v45, 0
	v_mov_b32_e32 v47, 0
	;; [unrolled: 1-line block ×20, first 2 shown]
	s_mov_b64 s[28:29], 0
                                        ; implicit-def: $sgpr8_sgpr9
                                        ; implicit-def: $vgpr56
	s_and_saveexec_b64 s[26:27], vcc
	s_cbranch_execz .LBB42_84
; %bb.73:
	v_cmp_ne_u32_e32 vcc, v62, v59
	v_add_u32_e32 v11, 9, v71
	v_cndmask_b32_e64 v46, 0, 1, vcc
	v_cmp_gt_u32_e32 vcc, s7, v11
	v_mov_b32_e32 v47, 0
	v_mov_b32_e32 v49, 0
	;; [unrolled: 1-line block ×16, first 2 shown]
	s_mov_b64 s[30:31], 0
                                        ; implicit-def: $sgpr8_sgpr9
                                        ; implicit-def: $vgpr56
	s_and_saveexec_b64 s[28:29], vcc
	s_cbranch_execz .LBB42_83
; %bb.74:
	ds_read2_b32 v[47:48], v55 offset0:9 offset1:10
	v_cmp_ne_u32_e32 vcc, v59, v60
	v_add_u32_e32 v11, 10, v71
	v_cndmask_b32_e64 v17, 0, 1, vcc
	v_cmp_gt_u32_e32 vcc, s7, v11
	v_mov_b32_e32 v49, 0
	v_mov_b32_e32 v51, 0
	v_mov_b32_e32 v53, 0
	v_mov_b32_e32 v15, 0
	v_mov_b32_e32 v13, 0
	v_mov_b32_e32 v11, 0
	v_mov_b32_e32 v50, 0
	v_mov_b32_e32 v52, 0
	v_mov_b32_e32 v54, 0
	v_mov_b32_e32 v16, 0
	v_mov_b32_e32 v14, 0
	v_mov_b32_e32 v12, 0
	s_mov_b64 s[34:35], 0
                                        ; implicit-def: $sgpr8_sgpr9
                                        ; implicit-def: $vgpr56
	s_and_saveexec_b64 s[30:31], vcc
	s_cbranch_execz .LBB42_82
; %bb.75:
	v_cmp_ne_u32_e32 vcc, v60, v57
	v_add_u32_e32 v11, 11, v71
	v_cndmask_b32_e64 v50, 0, 1, vcc
	v_cmp_gt_u32_e32 vcc, s7, v11
	v_mov_b32_e32 v51, 0
	v_mov_b32_e32 v53, 0
	;; [unrolled: 1-line block ×8, first 2 shown]
	s_mov_b64 s[36:37], 0
                                        ; implicit-def: $sgpr8_sgpr9
                                        ; implicit-def: $vgpr56
	s_and_saveexec_b64 s[34:35], vcc
	s_cbranch_execz .LBB42_81
; %bb.76:
	ds_read2_b32 v[51:52], v55 offset0:11 offset1:12
	v_cmp_ne_u32_e32 vcc, v57, v58
	v_add_u32_e32 v11, 12, v71
	v_cndmask_b32_e64 v13, 0, 1, vcc
	v_cmp_gt_u32_e32 vcc, s7, v11
	v_mov_b32_e32 v53, 0
	v_mov_b32_e32 v11, 0
	;; [unrolled: 1-line block ×4, first 2 shown]
	s_mov_b64 s[42:43], 0
                                        ; implicit-def: $sgpr8_sgpr9
                                        ; implicit-def: $vgpr56
	s_and_saveexec_b64 s[36:37], vcc
	s_cbranch_execz .LBB42_80
; %bb.77:
	v_cmp_ne_u32_e32 vcc, v58, v37
	v_add_u32_e32 v11, 13, v71
	v_cndmask_b32_e64 v54, 0, 1, vcc
	v_cmp_gt_u32_e32 vcc, s7, v11
	v_mov_b32_e32 v11, 0
	v_mov_b32_e32 v12, 0
                                        ; implicit-def: $sgpr8_sgpr9
                                        ; implicit-def: $vgpr56
	s_and_saveexec_b64 s[44:45], vcc
	s_xor_b64 s[44:45], exec, s[44:45]
	s_cbranch_execz .LBB42_79
; %bb.78:
	ds_read2_b32 v[55:56], v55 offset0:13 offset1:14
	v_cmp_ne_u32_e32 vcc, v37, v38
	v_add_u32_e32 v14, 14, v71
	v_cndmask_b32_e64 v12, 0, 1, vcc
	v_cmp_gt_u32_e32 vcc, s7, v14
	v_cmp_ne_u32_e64 s[8:9], v38, v70
	s_waitcnt lgkmcnt(0)
	v_mov_b32_e32 v11, v55
	s_and_b64 s[42:43], vcc, exec
.LBB42_79:
	s_or_b64 exec, exec, s[44:45]
	s_waitcnt lgkmcnt(0)
	v_mov_b32_e32 v53, v52
	s_and_b64 s[42:43], s[42:43], exec
.LBB42_80:
	s_or_b64 exec, exec, s[36:37]
	s_waitcnt lgkmcnt(0)
	v_mov_b32_e32 v52, v13
	v_mov_b32_e32 v13, v53
	s_and_b64 s[36:37], s[42:43], exec
	v_mov_b32_e32 v14, v54
.LBB42_81:
	s_or_b64 exec, exec, s[34:35]
	v_mov_b32_e32 v15, v51
	s_waitcnt lgkmcnt(0)
	v_mov_b32_e32 v49, v48
	s_and_b64 s[34:35], s[36:37], exec
	v_mov_b32_e32 v16, v52
.LBB42_82:
	s_or_b64 exec, exec, s[30:31]
	s_waitcnt lgkmcnt(0)
	v_mov_b32_e32 v48, v17
	v_mov_b32_e32 v17, v49
	s_and_b64 s[30:31], s[34:35], exec
	v_mov_b32_e32 v18, v50
.LBB42_83:
	s_or_b64 exec, exec, s[28:29]
	v_mov_b32_e32 v19, v47
	s_waitcnt lgkmcnt(0)
	v_mov_b32_e32 v45, v44
	s_and_b64 s[28:29], s[30:31], exec
	v_mov_b32_e32 v20, v48
.LBB42_84:
	s_or_b64 exec, exec, s[26:27]
	s_waitcnt lgkmcnt(0)
	v_mov_b32_e32 v44, v21
	v_mov_b32_e32 v21, v45
	s_and_b64 s[26:27], s[28:29], exec
	v_mov_b32_e32 v22, v46
.LBB42_85:
	s_or_b64 exec, exec, s[24:25]
	v_mov_b32_e32 v23, v43
	s_waitcnt lgkmcnt(0)
	v_mov_b32_e32 v41, v40
	s_and_b64 s[24:25], s[26:27], exec
	v_mov_b32_e32 v24, v44
.LBB42_86:
	s_or_b64 exec, exec, s[22:23]
	v_mov_b32_e32 v25, v41
	s_waitcnt lgkmcnt(0)
	v_mov_b32_e32 v40, v7
	s_and_b64 s[22:23], s[24:25], exec
	v_mov_b32_e32 v26, v42
.LBB42_87:
	s_or_b64 exec, exec, s[20:21]
	v_mov_b32_e32 v27, v39
	s_waitcnt lgkmcnt(0)
	v_mov_b32_e32 v7, v6
	s_and_b64 s[20:21], s[22:23], exec
	v_mov_b32_e32 v28, v40
.LBB42_88:
	s_or_b64 exec, exec, s[18:19]
	v_mov_b32_e32 v30, v8
	s_waitcnt lgkmcnt(0)
	v_mov_b32_e32 v6, v3
	s_and_b64 s[18:19], s[20:21], exec
	v_mov_b32_e32 v29, v7
.LBB42_89:
	s_or_b64 exec, exec, s[16:17]
	v_mov_b32_e32 v32, v6
	s_waitcnt lgkmcnt(0)
	v_mov_b32_e32 v3, v2
	s_and_b64 s[16:17], s[18:19], exec
	v_mov_b32_e32 v31, v5
.LBB42_90:
	s_or_b64 exec, exec, s[14:15]
	s_waitcnt lgkmcnt(0)
	v_mov_b32_e32 v2, v33
	v_mov_b32_e32 v34, v4
	s_and_b64 s[14:15], s[16:17], exec
	v_mov_b32_e32 v33, v3
.LBB42_91:
	s_or_b64 exec, exec, s[12:13]
	v_mov_b32_e32 v36, v2
	s_and_b64 s[12:13], s[14:15], exec
	v_mov_b32_e32 v35, v1
.LBB42_92:
	s_or_b64 exec, exec, s[10:11]
	s_and_b64 vcc, exec, s[2:3]
	v_cmp_ne_u32_e64 s[2:3], 0, v0
	s_cbranch_vccz .LBB42_96
.LBB42_93:
	v_mov_b32_e32 v1, s41
	v_add_co_u32_e32 v5, vcc, s40, v69
	v_addc_co_u32_e32 v6, vcc, 0, v1, vcc
	v_add_co_u32_e32 v1, vcc, 0x1000, v5
	v_addc_co_u32_e32 v2, vcc, 0, v6, vcc
	;; [unrolled: 2-line block ×3, first 2 shown]
	global_load_dword v7, v69, s[40:41]
	global_load_dword v8, v69, s[40:41] offset:1024
	s_waitcnt lgkmcnt(0)
	global_load_dword v9, v69, s[40:41] offset:2048
	global_load_dword v10, v69, s[40:41] offset:3072
	global_load_dword v11, v[1:2], off
	global_load_dword v12, v[1:2], off offset:1024
	global_load_dword v13, v[1:2], off offset:2048
	;; [unrolled: 1-line block ×3, first 2 shown]
	global_load_dword v15, v[3:4], off
	global_load_dword v16, v[3:4], off offset:1024
	global_load_dword v17, v[3:4], off offset:2048
	;; [unrolled: 1-line block ×3, first 2 shown]
	v_add_co_u32_e32 v1, vcc, 0x3000, v5
	v_addc_co_u32_e32 v2, vcc, 0, v6, vcc
	global_load_dword v3, v[1:2], off
	global_load_dword v4, v[1:2], off offset:1024
	global_load_dword v5, v[1:2], off offset:2048
	s_sub_u32 s8, 0, s6
	s_subb_u32 s9, 0, 0
	s_cmp_eq_u64 s[52:53], s[8:9]
	s_cselect_b32 s8, 0, -4
	s_cselect_b32 s9, 0, -1
	s_add_u32 s8, s40, s8
	v_mad_u32_u24 v1, v0, 56, v69
	s_addc_u32 s9, s41, s9
	s_movk_i32 s12, 0xffc8
	s_movk_i32 s11, 0x1000
	s_movk_i32 s10, 0x2000
	s_movk_i32 s7, 0x3000
	v_mad_i32_i24 v21, v0, s12, v1
	s_waitcnt vmcnt(13)
	ds_write2st64_b32 v69, v7, v8 offset1:4
	s_waitcnt vmcnt(11)
	ds_write2st64_b32 v69, v9, v10 offset0:8 offset1:12
	s_waitcnt vmcnt(9)
	ds_write2st64_b32 v69, v11, v12 offset0:16 offset1:20
	;; [unrolled: 2-line block ×6, first 2 shown]
	s_waitcnt vmcnt(0)
	ds_write_b32 v69, v5 offset:14336
	s_waitcnt lgkmcnt(0)
	s_barrier
	ds_read2_b32 v[15:16], v1 offset0:8 offset1:9
	ds_read2_b32 v[13:14], v1 offset0:10 offset1:11
	;; [unrolled: 1-line block ×3, first 2 shown]
	ds_read_b32 v4, v1 offset:56
	ds_read2_b32 v[2:3], v1 offset1:1
	ds_read2_b32 v[6:7], v1 offset0:2 offset1:3
	ds_read2_b32 v[19:20], v1 offset0:4 offset1:5
	;; [unrolled: 1-line block ×3, first 2 shown]
	s_load_dword s8, s[8:9], 0x0
	s_waitcnt lgkmcnt(0)
	ds_write_b32 v21, v4 offset:15360
	s_waitcnt lgkmcnt(0)
	s_barrier
	v_mov_b32_e32 v5, s8
	s_and_saveexec_b64 s[8:9], s[2:3]
; %bb.94:
	v_mul_i32_i24_e32 v5, 0xffffffc8, v0
	v_add_u32_e32 v5, v1, v5
	ds_read_b32 v5, v5 offset:15356
; %bb.95:
	s_or_b64 exec, exec, s[8:9]
	v_mov_b32_e32 v8, s39
	v_add_co_u32_e32 v10, vcc, s38, v69
	v_addc_co_u32_e32 v24, vcc, 0, v8, vcc
	v_add_co_u32_e32 v8, vcc, s11, v10
	v_addc_co_u32_e32 v9, vcc, 0, v24, vcc
	;; [unrolled: 2-line block ×3, first 2 shown]
	v_add_co_u32_e32 v23, vcc, s7, v10
	s_waitcnt lgkmcnt(0)
	s_barrier
	global_load_dword v25, v69, s[38:39]
	global_load_dword v26, v69, s[38:39] offset:1024
	global_load_dword v27, v69, s[38:39] offset:2048
	;; [unrolled: 1-line block ×3, first 2 shown]
	global_load_dword v29, v[21:22], off offset:1024
	global_load_dword v30, v[21:22], off offset:2048
	;; [unrolled: 1-line block ×3, first 2 shown]
	v_addc_co_u32_e32 v24, vcc, 0, v24, vcc
	global_load_dword v32, v[21:22], off offset:-4096
	global_load_dword v33, v[8:9], off offset:1024
	global_load_dword v34, v[8:9], off offset:2048
	;; [unrolled: 1-line block ×3, first 2 shown]
	global_load_dword v36, v[21:22], off
	global_load_dword v37, v[23:24], off
	global_load_dword v38, v[23:24], off offset:1024
	global_load_dword v39, v[23:24], off offset:2048
	v_cmp_ne_u32_e32 vcc, v5, v2
	v_cndmask_b32_e64 v10, 0, 1, vcc
	v_cmp_ne_u32_e32 vcc, v2, v3
	v_cndmask_b32_e64 v2, 0, 1, vcc
	v_cmp_ne_u32_e32 vcc, v3, v6
	v_cmp_ne_u32_e64 s[8:9], v12, v4
	v_cndmask_b32_e64 v4, 0, 1, vcc
	v_cmp_ne_u32_e32 vcc, v6, v7
	v_cndmask_b32_e64 v6, 0, 1, vcc
	v_cmp_ne_u32_e32 vcc, v7, v19
	;; [unrolled: 2-line block ×11, first 2 shown]
	v_cndmask_b32_e64 v12, 0, 1, vcc
	s_mov_b64 s[12:13], -1
	s_waitcnt vmcnt(13)
	ds_write2st64_b32 v69, v25, v26 offset1:4
	s_waitcnt vmcnt(11)
	ds_write2st64_b32 v69, v27, v28 offset0:8 offset1:12
	s_waitcnt vmcnt(6)
	ds_write2st64_b32 v69, v32, v33 offset0:16 offset1:20
	;; [unrolled: 2-line block ×4, first 2 shown]
	ds_write2st64_b32 v69, v30, v31 offset0:40 offset1:44
	s_waitcnt vmcnt(1)
	ds_write2st64_b32 v69, v37, v38 offset0:48 offset1:52
	s_waitcnt vmcnt(0)
	ds_write_b32 v69, v39 offset:14336
	s_waitcnt lgkmcnt(0)
	s_barrier
	ds_read2_b32 v[15:16], v1 offset1:1
	ds_read2_b32 v[17:18], v1 offset0:2 offset1:3
	ds_read2_b32 v[19:20], v1 offset0:4 offset1:5
	ds_read2_b32 v[21:22], v1 offset0:6 offset1:7
	ds_read2_b32 v[23:24], v1 offset0:8 offset1:9
	ds_read2_b32 v[25:26], v1 offset0:10 offset1:11
	ds_read2_b32 v[27:28], v1 offset0:12 offset1:13
	ds_read_b32 v56, v1 offset:56
	s_waitcnt lgkmcnt(5)
	v_mov_b32_e32 v39, v20
	s_waitcnt lgkmcnt(4)
	v_mov_b32_e32 v41, v21
	v_mov_b32_e32 v43, v22
	s_waitcnt lgkmcnt(3)
	v_mov_b32_e32 v45, v23
	;; [unrolled: 3-line block ×4, first 2 shown]
	v_mov_b32_e32 v9, v15
	v_mov_b32_e32 v1, v16
	;; [unrolled: 1-line block ×30, first 2 shown]
.LBB42_96:
	v_mov_b32_e32 v37, 0
	v_mov_b32_e32 v38, 0
	s_and_saveexec_b64 s[2:3], s[12:13]
	s_cbranch_execz .LBB42_98
; %bb.97:
	v_mov_b32_e32 v13, v53
	v_mov_b32_e32 v15, v51
	;; [unrolled: 1-line block ×12, first 2 shown]
	v_cndmask_b32_e64 v38, 0, 1, s[8:9]
	s_waitcnt lgkmcnt(0)
	v_mov_b32_e32 v37, v56
	v_mov_b32_e32 v14, v54
	;; [unrolled: 1-line block ×13, first 2 shown]
.LBB42_98:
	s_or_b64 exec, exec, s[2:3]
	s_mov_b32 s30, 0
	s_cmp_lg_u32 s6, 0
	v_or_b32_e32 v55, v24, v22
	v_or3_b32 v54, v12, v38, v14
	v_lshrrev_b32_e32 v53, 2, v0
	v_cmp_gt_u32_e32 vcc, 64, v0
	s_waitcnt lgkmcnt(0)
	s_barrier
	s_cbranch_scc0 .LBB42_128
; %bb.99:
	s_mov_b32 s31, 1
	v_cmp_gt_u64_e64 s[2:3], s[30:31], v[35:36]
	v_cmp_gt_u64_e64 s[42:43], s[30:31], v[33:34]
	v_cndmask_b32_e64 v1, 0, v9, s[2:3]
	v_add_u32_e32 v1, v1, v35
	v_cndmask_b32_e64 v1, 0, v1, s[42:43]
	v_cmp_gt_u64_e64 s[8:9], s[30:31], v[31:32]
	v_add_u32_e32 v1, v1, v33
	v_cndmask_b32_e64 v1, 0, v1, s[8:9]
	v_cmp_gt_u64_e64 s[10:11], s[30:31], v[29:30]
	;; [unrolled: 3-line block ×12, first 2 shown]
	v_or3_b32 v2, v55, v26, v28
	v_add_u32_e32 v1, v1, v11
	v_or3_b32 v2, v2, v30, v32
	v_cndmask_b32_e64 v1, 0, v1, s[30:31]
	v_or3_b32 v2, v2, v34, v36
	v_add_u32_e32 v43, v1, v37
	v_or3_b32 v1, v54, v16, v18
	v_or3_b32 v1, v1, v20, v2
	v_and_b32_e32 v2, 0xff, v1
	v_mov_b32_e32 v1, 0
	v_cmp_eq_u64_e64 s[34:35], 0, v[1:2]
	v_and_b32_e32 v1, 56, v53
	v_cndmask_b32_e64 v44, 1, v10, s[34:35]
	v_lshl_add_u32 v1, v0, 3, v1
	ds_write_b32 v1, v43
	ds_write_b8 v1, v44 offset:4
	s_waitcnt lgkmcnt(0)
	s_barrier
	s_and_saveexec_b64 s[52:53], vcc
	s_cbranch_execz .LBB42_111
; %bb.100:
	v_and_b32_e32 v1, 0xf8, v0
	v_lshlrev_b32_e32 v2, 5, v0
	v_add_u32_e32 v5, v1, v2
	ds_read2_b32 v[1:2], v5 offset0:2 offset1:4
	ds_read_b64 v[3:4], v5
	ds_read_u8 v42, v5 offset:12
	ds_read_u8 v8, v5 offset:20
	ds_read_b32 v6, v5 offset:24
	ds_read_u8 v39, v5 offset:28
	s_waitcnt lgkmcnt(4)
	v_and_b32_e32 v7, 1, v4
	s_waitcnt lgkmcnt(3)
	v_cmp_eq_u16_e64 s[38:39], 0, v42
	s_waitcnt lgkmcnt(2)
	v_or_b32_e32 v41, v8, v42
	v_cndmask_b32_e64 v40, 0, v3, s[38:39]
	v_cmp_eq_u16_e64 s[36:37], 0, v41
	v_add_u32_e32 v40, v40, v1
	v_cmp_eq_u16_e64 s[34:35], 0, v8
	v_cndmask_b32_e64 v41, 1, v7, s[36:37]
	s_waitcnt lgkmcnt(0)
	v_cmp_eq_u16_e64 s[36:37], 0, v39
	v_and_b32_e32 v39, 1, v39
	v_cndmask_b32_e64 v40, 0, v40, s[34:35]
	v_cmp_eq_u32_e64 s[40:41], 1, v39
	v_add_u32_e32 v40, v40, v2
	v_cndmask_b32_e64 v45, v41, 1, s[40:41]
	v_mbcnt_lo_u32_b32 v41, -1, 0
	v_cndmask_b32_e64 v40, 0, v40, s[36:37]
	v_and_b32_e32 v39, 0xffffff00, v4
	v_mbcnt_hi_u32_b32 v41, -1, v41
	v_add_u32_e32 v40, v40, v6
	v_and_b32_e32 v48, 15, v41
	v_or_b32_sdwa v46, v39, v45 dst_sel:DWORD dst_unused:UNUSED_PAD src0_sel:DWORD src1_sel:WORD_0
	v_mov_b32_dpp v47, v40 row_shr:1 row_mask:0xf bank_mask:0xf
	v_cmp_ne_u32_e64 s[44:45], 0, v48
	v_mov_b32_dpp v49, v46 row_shr:1 row_mask:0xf bank_mask:0xf
	s_and_saveexec_b64 s[54:55], s[44:45]
; %bb.101:
	v_and_b32_e32 v46, 1, v45
	v_and_b32_e32 v49, 1, v49
	v_cmp_eq_u32_e64 s[44:45], 1, v46
	v_cndmask_b32_e64 v49, v49, 1, s[44:45]
	v_cmp_eq_u16_e64 s[44:45], 0, v45
	v_cndmask_b32_e64 v45, 0, v47, s[44:45]
	v_add_u32_e32 v40, v45, v40
	v_or_b32_sdwa v46, v39, v49 dst_sel:DWORD dst_unused:UNUSED_PAD src0_sel:DWORD src1_sel:WORD_0
	v_mov_b32_e32 v45, v49
; %bb.102:
	s_or_b64 exec, exec, s[54:55]
	v_mov_b32_dpp v49, v40 row_shr:2 row_mask:0xf bank_mask:0xf
	v_mov_b32_dpp v50, v46 row_shr:2 row_mask:0xf bank_mask:0xf
	v_cmp_lt_u32_e64 s[44:45], 1, v48
	v_mov_b32_e32 v47, v46
	s_and_saveexec_b64 s[54:55], s[44:45]
	s_cbranch_execz .LBB42_104
; %bb.103:
	v_and_b32_e32 v45, 1, v46
	v_and_b32_e32 v47, 1, v50
	v_cmp_eq_u32_e64 s[44:45], 1, v45
	v_cndmask_b32_e64 v45, v47, 1, s[44:45]
	v_mov_b32_e32 v47, 0
	v_cmp_eq_u16_sdwa s[44:45], v46, v47 src0_sel:BYTE_0 src1_sel:DWORD
	v_cndmask_b32_e64 v46, 0, v49, s[44:45]
	v_add_u32_e32 v40, v46, v40
	v_or_b32_sdwa v46, v39, v45 dst_sel:DWORD dst_unused:UNUSED_PAD src0_sel:DWORD src1_sel:WORD_0
	v_mov_b32_e32 v47, v45
.LBB42_104:
	s_or_b64 exec, exec, s[54:55]
	v_mov_b32_dpp v49, v40 row_shr:4 row_mask:0xf bank_mask:0xf
	v_mov_b32_dpp v50, v46 row_shr:4 row_mask:0xf bank_mask:0xf
	v_cmp_lt_u32_e64 s[44:45], 3, v48
	s_and_saveexec_b64 s[54:55], s[44:45]
	s_cbranch_execz .LBB42_106
; %bb.105:
	v_and_b32_e32 v45, 1, v47
	v_and_b32_e32 v46, 1, v50
	v_cmp_eq_u32_e64 s[44:45], 1, v45
	v_cndmask_b32_e64 v45, v46, 1, s[44:45]
	v_mov_b32_e32 v46, 0
	v_cmp_eq_u16_sdwa s[44:45], v47, v46 src0_sel:BYTE_0 src1_sel:DWORD
	v_cndmask_b32_e64 v46, 0, v49, s[44:45]
	v_add_u32_e32 v40, v46, v40
	v_or_b32_sdwa v46, v39, v45 dst_sel:DWORD dst_unused:UNUSED_PAD src0_sel:DWORD src1_sel:WORD_0
	v_mov_b32_e32 v47, v45
.LBB42_106:
	s_or_b64 exec, exec, s[54:55]
	v_mov_b32_dpp v49, v40 row_shr:8 row_mask:0xf bank_mask:0xf
	v_mov_b32_dpp v50, v46 row_shr:8 row_mask:0xf bank_mask:0xf
	v_cmp_lt_u32_e64 s[44:45], 7, v48
	s_and_saveexec_b64 s[54:55], s[44:45]
	s_cbranch_execz .LBB42_108
; %bb.107:
	v_and_b32_e32 v45, 1, v47
	v_and_b32_e32 v46, 1, v50
	v_cmp_eq_u32_e64 s[44:45], 1, v45
	v_cndmask_b32_e64 v45, v46, 1, s[44:45]
	v_mov_b32_e32 v46, 0
	v_cmp_eq_u16_sdwa s[44:45], v47, v46 src0_sel:BYTE_0 src1_sel:DWORD
	v_cndmask_b32_e64 v46, 0, v49, s[44:45]
	v_add_u32_e32 v40, v46, v40
	v_or_b32_sdwa v46, v39, v45 dst_sel:DWORD dst_unused:UNUSED_PAD src0_sel:DWORD src1_sel:WORD_0
	v_mov_b32_e32 v47, v45
.LBB42_108:
	s_or_b64 exec, exec, s[54:55]
	v_and_b32_e32 v50, 16, v41
	v_mov_b32_dpp v48, v40 row_bcast:15 row_mask:0xf bank_mask:0xf
	v_mov_b32_dpp v49, v46 row_bcast:15 row_mask:0xf bank_mask:0xf
	v_cmp_ne_u32_e64 s[44:45], 0, v50
	s_and_saveexec_b64 s[54:55], s[44:45]
	s_cbranch_execz .LBB42_110
; %bb.109:
	v_and_b32_e32 v45, 1, v47
	v_and_b32_e32 v46, 1, v49
	v_cmp_eq_u32_e64 s[44:45], 1, v45
	v_cndmask_b32_e64 v45, v46, 1, s[44:45]
	v_mov_b32_e32 v46, 0
	v_cmp_eq_u16_sdwa s[44:45], v47, v46 src0_sel:BYTE_0 src1_sel:DWORD
	v_cndmask_b32_e64 v46, 0, v48, s[44:45]
	v_add_u32_e32 v40, v46, v40
	v_or_b32_sdwa v46, v39, v45 dst_sel:DWORD dst_unused:UNUSED_PAD src0_sel:DWORD src1_sel:WORD_0
	v_mov_b32_e32 v47, v45
.LBB42_110:
	s_or_b64 exec, exec, s[54:55]
	v_mov_b32_dpp v46, v46 row_bcast:31 row_mask:0xf bank_mask:0xf
	v_and_b32_e32 v49, 1, v47
	v_and_b32_e32 v46, 1, v46
	v_cmp_eq_u32_e64 s[44:45], 1, v49
	v_mov_b32_e32 v49, 0
	v_cndmask_b32_e64 v46, v46, 1, s[44:45]
	v_cmp_eq_u16_sdwa s[54:55], v47, v49 src0_sel:BYTE_0 src1_sel:DWORD
	v_cmp_lt_u32_e64 s[44:45], 31, v41
	v_mov_b32_dpp v48, v40 row_bcast:31 row_mask:0xf bank_mask:0xf
	v_cndmask_b32_e64 v45, v45, v46, s[44:45]
	s_and_b64 s[44:45], s[44:45], s[54:55]
	v_cndmask_b32_e64 v46, 0, v48, s[44:45]
	v_add_u32_e32 v40, v46, v40
	v_add_u32_e32 v46, -1, v41
	v_and_b32_e32 v47, 64, v41
	v_cmp_lt_i32_e64 s[44:45], v46, v47
	v_cndmask_b32_e64 v41, v46, v41, s[44:45]
	v_lshlrev_b32_e32 v41, 2, v41
	ds_bpermute_b32 v40, v41, v40
	v_or_b32_sdwa v39, v39, v45 dst_sel:DWORD dst_unused:UNUSED_PAD src0_sel:DWORD src1_sel:WORD_0
	ds_bpermute_b32 v39, v41, v39
	v_cmp_eq_u16_sdwa s[44:45], v4, v49 src0_sel:BYTE_0 src1_sel:DWORD
	v_and_b32_e32 v42, 1, v42
	s_waitcnt lgkmcnt(1)
	v_cndmask_b32_e64 v4, 0, v40, s[44:45]
	v_add_u32_e32 v3, v4, v3
	s_waitcnt lgkmcnt(0)
	v_and_b32_e32 v4, 1, v39
	v_cmp_eq_u32_e64 s[44:45], 1, v7
	v_cndmask_b32_e64 v4, v4, 1, s[44:45]
	v_cmp_eq_u32_e64 s[44:45], 0, v0
	v_cndmask_b32_e64 v3, v3, v43, s[44:45]
	v_cndmask_b32_e64 v7, 0, v3, s[38:39]
	;; [unrolled: 1-line block ×3, first 2 shown]
	v_add_u32_e32 v1, v7, v1
	v_cmp_eq_u32_e64 s[38:39], 1, v42
	ds_write_b8 v5, v4 offset:4
	v_cndmask_b32_e64 v4, v4, 1, s[38:39]
	ds_write2_b32 v5, v3, v1 offset1:2
	ds_write_b8 v5, v4 offset:12
	v_cndmask_b32_e64 v1, 0, v1, s[34:35]
	v_and_b32_e32 v8, 1, v8
	v_add_u32_e32 v1, v1, v2
	v_cmp_eq_u32_e64 s[34:35], 1, v8
	v_cndmask_b32_e64 v3, 0, v1, s[36:37]
	v_cndmask_b32_e64 v2, v4, 1, s[34:35]
	v_add_u32_e32 v3, v3, v6
	ds_write_b8 v5, v2 offset:20
	v_cndmask_b32_e64 v2, v2, 1, s[40:41]
	ds_write2_b32 v5, v1, v3 offset0:4 offset1:6
	ds_write_b8 v5, v2 offset:28
.LBB42_111:
	s_or_b64 exec, exec, s[52:53]
	v_cmp_eq_u32_e64 s[34:35], 0, v0
	v_cmp_ne_u32_e64 s[36:37], 0, v0
	s_waitcnt lgkmcnt(0)
	s_barrier
	s_and_saveexec_b64 s[38:39], s[36:37]
	s_cbranch_execz .LBB42_113
; %bb.112:
	v_add_u32_e32 v1, -1, v0
	v_lshrrev_b32_e32 v2, 2, v1
	v_and_b32_e32 v2, 0x3ffffff8, v2
	v_lshl_add_u32 v1, v1, 3, v2
	ds_read_b32 v43, v1
	ds_read_u8 v44, v1 offset:4
.LBB42_113:
	s_or_b64 exec, exec, s[38:39]
	s_and_saveexec_b64 s[38:39], vcc
	s_cbranch_execz .LBB42_133
; %bb.114:
	v_mov_b32_e32 v4, 0
	ds_read_b64 v[1:2], v4 offset:2096
	v_mbcnt_lo_u32_b32 v3, -1, 0
	v_mbcnt_hi_u32_b32 v42, -1, v3
	s_mov_b32 s45, 0
	v_cmp_eq_u32_e64 s[36:37], 0, v42
	s_and_saveexec_b64 s[40:41], s[36:37]
	s_cbranch_execz .LBB42_116
; %bb.115:
	s_add_i32 s44, s6, 64
	s_lshl_b64 s[44:45], s[44:45], 4
	s_add_u32 s44, s48, s44
	s_addc_u32 s45, s49, s45
	v_mov_b32_e32 v5, s44
	v_mov_b32_e32 v3, 1
	;; [unrolled: 1-line block ×3, first 2 shown]
	s_waitcnt lgkmcnt(0)
	;;#ASMSTART
	global_store_dwordx4 v[5:6], v[1:4] off	
s_waitcnt vmcnt(0)
	;;#ASMEND
.LBB42_116:
	s_or_b64 exec, exec, s[40:41]
	v_xad_u32 v39, v42, -1, s6
	v_add_u32_e32 v3, 64, v39
	v_lshlrev_b64 v[5:6], 4, v[3:4]
	v_mov_b32_e32 v3, s49
	v_add_co_u32_e32 v40, vcc, s48, v5
	v_addc_co_u32_e32 v41, vcc, v3, v6, vcc
	;;#ASMSTART
	global_load_dwordx4 v[5:8], v[40:41] off glc	
s_waitcnt vmcnt(0)
	;;#ASMEND
	v_cmp_eq_u16_sdwa s[44:45], v7, v4 src0_sel:BYTE_0 src1_sel:DWORD
	s_and_saveexec_b64 s[40:41], s[44:45]
	s_cbranch_execz .LBB42_120
; %bb.117:
	s_mov_b64 s[44:45], 0
	v_mov_b32_e32 v3, 0
.LBB42_118:                             ; =>This Inner Loop Header: Depth=1
	;;#ASMSTART
	global_load_dwordx4 v[5:8], v[40:41] off glc	
s_waitcnt vmcnt(0)
	;;#ASMEND
	v_cmp_ne_u16_sdwa s[52:53], v7, v3 src0_sel:BYTE_0 src1_sel:DWORD
	s_or_b64 s[44:45], s[52:53], s[44:45]
	s_andn2_b64 exec, exec, s[44:45]
	s_cbranch_execnz .LBB42_118
; %bb.119:
	s_or_b64 exec, exec, s[44:45]
.LBB42_120:
	s_or_b64 exec, exec, s[40:41]
	v_mov_b32_e32 v45, 2
	v_lshlrev_b64 v[3:4], v42, -1
	v_cmp_eq_u16_sdwa s[40:41], v7, v45 src0_sel:BYTE_0 src1_sel:DWORD
	v_and_b32_e32 v8, s41, v4
	v_or_b32_e32 v8, 0x80000000, v8
	v_and_b32_e32 v46, s40, v3
	v_ffbl_b32_e32 v8, v8
	v_and_b32_e32 v57, 63, v42
	v_add_u32_e32 v8, 32, v8
	v_ffbl_b32_e32 v46, v46
	v_cmp_ne_u32_e32 vcc, 63, v57
	v_min_u32_e32 v8, v46, v8
	v_addc_co_u32_e32 v46, vcc, 0, v42, vcc
	v_and_b32_e32 v41, 0xff, v6
	v_lshlrev_b32_e32 v46, 2, v46
	ds_bpermute_b32 v48, v46, v41
	ds_bpermute_b32 v49, v46, v5
	s_mov_b32 s40, 0
	v_and_b32_e32 v6, 1, v6
	v_mov_b32_e32 v40, v5
	s_mov_b32 s41, 1
	s_waitcnt lgkmcnt(1)
	v_and_b32_e32 v48, 1, v48
	v_cmp_eq_u32_e32 vcc, 1, v6
	v_cndmask_b32_e64 v6, v48, 1, vcc
	v_cmp_gt_u64_e32 vcc, s[40:41], v[40:41]
	v_add_u32_e32 v47, 1, v42
	v_and_b32_e32 v48, 0xffff, v6
	s_waitcnt lgkmcnt(0)
	v_cndmask_b32_e32 v40, 0, v49, vcc
	v_cmp_gt_u32_e32 vcc, v47, v8
	v_cndmask_b32_e32 v6, v6, v41, vcc
	v_cndmask_b32_e64 v40, v40, 0, vcc
	v_cndmask_b32_e32 v41, v48, v41, vcc
	v_cmp_gt_u32_e32 vcc, 62, v57
	v_cndmask_b32_e64 v48, 0, 2, vcc
	v_add_lshl_u32 v48, v48, v42, 2
	ds_bpermute_b32 v50, v48, v41
	v_add_u32_e32 v5, v40, v5
	ds_bpermute_b32 v40, v48, v5
	v_and_b32_e32 v51, 1, v6
	v_cmp_eq_u32_e32 vcc, 1, v51
	s_waitcnt lgkmcnt(1)
	v_and_b32_e32 v50, 1, v50
	v_add_u32_e32 v49, 2, v42
	v_cndmask_b32_e64 v50, v50, 1, vcc
	v_cmp_eq_u16_e32 vcc, 0, v6
	v_and_b32_e32 v51, 0xffff, v50
	s_waitcnt lgkmcnt(0)
	v_cndmask_b32_e32 v40, 0, v40, vcc
	v_cmp_gt_u32_e32 vcc, v49, v8
	v_cndmask_b32_e32 v6, v50, v6, vcc
	v_cndmask_b32_e64 v40, v40, 0, vcc
	v_cndmask_b32_e32 v41, v51, v41, vcc
	v_cmp_gt_u32_e32 vcc, 60, v57
	v_cndmask_b32_e64 v50, 0, 4, vcc
	v_add_lshl_u32 v50, v50, v42, 2
	ds_bpermute_b32 v52, v50, v41
	v_add_u32_e32 v5, v40, v5
	ds_bpermute_b32 v40, v50, v5
	v_and_b32_e32 v56, 1, v6
	v_cmp_eq_u32_e32 vcc, 1, v56
	s_waitcnt lgkmcnt(1)
	v_and_b32_e32 v52, 1, v52
	v_add_u32_e32 v51, 4, v42
	v_cndmask_b32_e64 v52, v52, 1, vcc
	v_cmp_eq_u16_e32 vcc, 0, v6
	;; [unrolled: 20-line block ×3, first 2 shown]
	v_and_b32_e32 v59, 0xffff, v58
	s_waitcnt lgkmcnt(0)
	v_cndmask_b32_e32 v40, 0, v40, vcc
	v_cmp_gt_u32_e32 vcc, v56, v8
	v_cndmask_b32_e32 v6, v58, v6, vcc
	v_cndmask_b32_e64 v40, v40, 0, vcc
	v_cndmask_b32_e32 v41, v59, v41, vcc
	v_cmp_gt_u32_e32 vcc, 48, v57
	v_cndmask_b32_e64 v57, 0, 16, vcc
	v_add_lshl_u32 v57, v57, v42, 2
	ds_bpermute_b32 v58, v57, v41
	v_add_u32_e32 v5, v40, v5
	ds_bpermute_b32 v59, v57, v5
	v_and_b32_e32 v40, 1, v6
	v_cmp_eq_u32_e32 vcc, 1, v40
	s_waitcnt lgkmcnt(1)
	v_and_b32_e32 v58, 1, v58
	v_mov_b32_e32 v40, 0
	v_add_u32_e32 v60, 16, v42
	v_cndmask_b32_e64 v58, v58, 1, vcc
	v_cmp_eq_u16_sdwa vcc, v6, v40 src0_sel:BYTE_0 src1_sel:DWORD
	s_waitcnt lgkmcnt(0)
	v_cndmask_b32_e32 v59, 0, v59, vcc
	v_cmp_gt_u32_e32 vcc, v60, v8
	v_and_b32_e32 v62, 0xffff, v58
	v_cndmask_b32_e32 v6, v58, v6, vcc
	v_cndmask_b32_e64 v58, v59, 0, vcc
	v_add_u32_e32 v5, v58, v5
	v_mov_b32_e32 v58, 0x80
	v_lshl_or_b32 v61, v42, 2, v58
	ds_bpermute_b32 v58, v61, v5
	v_cndmask_b32_e32 v41, v62, v41, vcc
	ds_bpermute_b32 v41, v61, v41
	v_cmp_eq_u16_sdwa vcc, v6, v40 src0_sel:BYTE_0 src1_sel:DWORD
	v_add_u32_e32 v62, 32, v42
	s_waitcnt lgkmcnt(1)
	v_cndmask_b32_e32 v42, 0, v58, vcc
	v_and_b32_e32 v58, 1, v6
	s_waitcnt lgkmcnt(0)
	v_and_b32_e32 v41, 1, v41
	v_cmp_eq_u32_e32 vcc, 1, v58
	v_cndmask_b32_e64 v41, v41, 1, vcc
	v_cmp_gt_u32_e32 vcc, v62, v8
	v_cndmask_b32_e64 v8, v42, 0, vcc
	v_cndmask_b32_e32 v6, v41, v6, vcc
	v_add_u32_e32 v5, v8, v5
	s_branch .LBB42_124
.LBB42_121:                             ;   in Loop: Header=BB42_124 Depth=1
	s_or_b64 exec, exec, s[52:53]
.LBB42_122:                             ;   in Loop: Header=BB42_124 Depth=1
	s_or_b64 exec, exec, s[44:45]
	v_cmp_eq_u16_sdwa s[44:45], v7, v45 src0_sel:BYTE_0 src1_sel:DWORD
	v_and_b32_e32 v42, 0xff, v6
	v_and_b32_e32 v8, s45, v4
	v_or_b32_e32 v8, 0x80000000, v8
	ds_bpermute_b32 v64, v46, v42
	v_and_b32_e32 v63, s44, v3
	v_ffbl_b32_e32 v8, v8
	v_add_u32_e32 v8, 32, v8
	v_ffbl_b32_e32 v63, v63
	v_min_u32_e32 v8, v63, v8
	ds_bpermute_b32 v63, v46, v5
	v_and_b32_e32 v6, 1, v6
	v_mov_b32_e32 v41, v5
	s_waitcnt lgkmcnt(1)
	v_and_b32_e32 v64, 1, v64
	v_cmp_eq_u32_e32 vcc, 1, v6
	v_cndmask_b32_e64 v6, v64, 1, vcc
	v_cmp_gt_u64_e32 vcc, s[40:41], v[41:42]
	v_and_b32_e32 v64, 0xffff, v6
	s_waitcnt lgkmcnt(0)
	v_cndmask_b32_e32 v41, 0, v63, vcc
	v_cmp_gt_u32_e32 vcc, v47, v8
	v_cndmask_b32_e32 v6, v6, v42, vcc
	v_cndmask_b32_e32 v42, v64, v42, vcc
	ds_bpermute_b32 v63, v48, v42
	v_cndmask_b32_e64 v41, v41, 0, vcc
	v_add_u32_e32 v5, v41, v5
	ds_bpermute_b32 v41, v48, v5
	v_and_b32_e32 v64, 1, v6
	s_waitcnt lgkmcnt(1)
	v_and_b32_e32 v63, 1, v63
	v_cmp_eq_u32_e32 vcc, 1, v64
	v_cndmask_b32_e64 v63, v63, 1, vcc
	v_cmp_eq_u16_e32 vcc, 0, v6
	v_and_b32_e32 v64, 0xffff, v63
	s_waitcnt lgkmcnt(0)
	v_cndmask_b32_e32 v41, 0, v41, vcc
	v_cmp_gt_u32_e32 vcc, v49, v8
	v_cndmask_b32_e32 v42, v64, v42, vcc
	v_cndmask_b32_e32 v6, v63, v6, vcc
	ds_bpermute_b32 v63, v50, v42
	v_cndmask_b32_e64 v41, v41, 0, vcc
	v_add_u32_e32 v5, v41, v5
	ds_bpermute_b32 v41, v50, v5
	v_and_b32_e32 v64, 1, v6
	s_waitcnt lgkmcnt(1)
	v_and_b32_e32 v63, 1, v63
	v_cmp_eq_u32_e32 vcc, 1, v64
	v_cndmask_b32_e64 v63, v63, 1, vcc
	v_cmp_eq_u16_e32 vcc, 0, v6
	;; [unrolled: 16-line block ×3, first 2 shown]
	v_and_b32_e32 v64, 0xffff, v63
	s_waitcnt lgkmcnt(0)
	v_cndmask_b32_e32 v41, 0, v41, vcc
	v_cmp_gt_u32_e32 vcc, v56, v8
	v_cndmask_b32_e32 v42, v64, v42, vcc
	v_cndmask_b32_e32 v6, v63, v6, vcc
	ds_bpermute_b32 v63, v57, v42
	v_cndmask_b32_e64 v41, v41, 0, vcc
	v_add_u32_e32 v5, v41, v5
	ds_bpermute_b32 v41, v57, v5
	v_and_b32_e32 v64, 1, v6
	s_waitcnt lgkmcnt(1)
	v_and_b32_e32 v63, 1, v63
	v_cmp_eq_u32_e32 vcc, 1, v64
	v_cndmask_b32_e64 v63, v63, 1, vcc
	v_cmp_eq_u16_sdwa vcc, v6, v40 src0_sel:BYTE_0 src1_sel:DWORD
	s_waitcnt lgkmcnt(0)
	v_cndmask_b32_e32 v41, 0, v41, vcc
	v_cmp_gt_u32_e32 vcc, v60, v8
	v_cndmask_b32_e64 v41, v41, 0, vcc
	v_cndmask_b32_e32 v6, v63, v6, vcc
	v_add_u32_e32 v5, v41, v5
	v_and_b32_e32 v63, 0xffff, v63
	ds_bpermute_b32 v41, v61, v5
	v_cndmask_b32_e32 v42, v63, v42, vcc
	ds_bpermute_b32 v42, v61, v42
	v_cmp_eq_u16_sdwa vcc, v6, v40 src0_sel:BYTE_0 src1_sel:DWORD
	v_and_b32_e32 v63, 1, v6
	s_waitcnt lgkmcnt(1)
	v_cndmask_b32_e32 v41, 0, v41, vcc
	v_cmp_eq_u32_e32 vcc, 1, v63
	s_waitcnt lgkmcnt(0)
	v_cndmask_b32_e64 v42, v42, 1, vcc
	v_cmp_gt_u32_e32 vcc, v62, v8
	v_cndmask_b32_e64 v8, v41, 0, vcc
	v_cndmask_b32_e32 v6, v42, v6, vcc
	v_add_u32_e32 v5, v8, v5
	v_cmp_eq_u16_sdwa vcc, v58, v40 src0_sel:BYTE_0 src1_sel:DWORD
	v_and_b32_e32 v8, 1, v58
	v_cndmask_b32_e32 v5, 0, v5, vcc
	v_and_b32_e32 v6, 1, v6
	v_cmp_eq_u32_e32 vcc, 1, v8
	v_subrev_u32_e32 v39, 64, v39
	v_add_u32_e32 v5, v5, v59
	v_cndmask_b32_e64 v6, v6, 1, vcc
	s_mov_b64 s[44:45], 0
.LBB42_123:                             ;   in Loop: Header=BB42_124 Depth=1
	s_and_b64 vcc, exec, s[44:45]
	s_cbranch_vccnz .LBB42_129
.LBB42_124:                             ; =>This Loop Header: Depth=1
                                        ;     Child Loop BB42_127 Depth 2
	v_cmp_ne_u16_sdwa s[44:45], v7, v45 src0_sel:BYTE_0 src1_sel:DWORD
	v_mov_b32_e32 v58, v6
	v_mov_b32_e32 v59, v5
	s_cmp_lg_u64 s[44:45], exec
	s_mov_b64 s[44:45], -1
                                        ; implicit-def: $vgpr6
                                        ; implicit-def: $vgpr5
                                        ; implicit-def: $vgpr7
	s_cbranch_scc1 .LBB42_123
; %bb.125:                              ;   in Loop: Header=BB42_124 Depth=1
	v_lshlrev_b64 v[5:6], 4, v[39:40]
	v_mov_b32_e32 v7, s49
	v_add_co_u32_e32 v41, vcc, s48, v5
	v_addc_co_u32_e32 v42, vcc, v7, v6, vcc
	;;#ASMSTART
	global_load_dwordx4 v[5:8], v[41:42] off glc	
s_waitcnt vmcnt(0)
	;;#ASMEND
	v_cmp_eq_u16_sdwa s[52:53], v7, v40 src0_sel:BYTE_0 src1_sel:DWORD
	s_and_saveexec_b64 s[44:45], s[52:53]
	s_cbranch_execz .LBB42_122
; %bb.126:                              ;   in Loop: Header=BB42_124 Depth=1
	s_mov_b64 s[52:53], 0
.LBB42_127:                             ;   Parent Loop BB42_124 Depth=1
                                        ; =>  This Inner Loop Header: Depth=2
	;;#ASMSTART
	global_load_dwordx4 v[5:8], v[41:42] off glc	
s_waitcnt vmcnt(0)
	;;#ASMEND
	v_cmp_ne_u16_sdwa s[54:55], v7, v40 src0_sel:BYTE_0 src1_sel:DWORD
	s_or_b64 s[52:53], s[54:55], s[52:53]
	s_andn2_b64 exec, exec, s[52:53]
	s_cbranch_execnz .LBB42_127
	s_branch .LBB42_121
.LBB42_128:
                                        ; implicit-def: $vgpr1_vgpr2
                                        ; implicit-def: $vgpr39
                                        ; implicit-def: $vgpr40
                                        ; implicit-def: $vgpr41
                                        ; implicit-def: $vgpr42
                                        ; implicit-def: $vgpr43
                                        ; implicit-def: $vgpr44
                                        ; implicit-def: $vgpr45
                                        ; implicit-def: $vgpr46
                                        ; implicit-def: $vgpr47
                                        ; implicit-def: $vgpr48
                                        ; implicit-def: $vgpr49
                                        ; implicit-def: $vgpr50
                                        ; implicit-def: $vgpr51
                                        ; implicit-def: $vgpr52
	s_cbranch_execnz .LBB42_134
	s_branch .LBB42_153
.LBB42_129:
	s_and_saveexec_b64 s[40:41], s[36:37]
	s_cbranch_execz .LBB42_131
; %bb.130:
	s_mov_b32 s7, 0
	v_mov_b32_e32 v4, 0
	s_add_i32 s6, s6, 64
	v_cmp_eq_u32_sdwa vcc, v2, v4 src0_sel:BYTE_0 src1_sel:DWORD
	s_lshl_b64 s[6:7], s[6:7], 4
	v_cndmask_b32_e32 v3, 0, v59, vcc
	v_and_b32_e32 v2, 1, v2
	s_add_u32 s6, s48, s6
	v_add_u32_e32 v1, v3, v1
	s_addc_u32 s7, s49, s7
	v_and_b32_e32 v3, 1, v58
	v_cmp_eq_u32_e32 vcc, 1, v2
	v_mov_b32_e32 v5, s6
	v_cndmask_b32_e64 v2, v3, 1, vcc
	v_mov_b32_e32 v3, 2
	v_mov_b32_e32 v6, s7
	;;#ASMSTART
	global_store_dwordx4 v[5:6], v[1:4] off	
s_waitcnt vmcnt(0)
	;;#ASMEND
.LBB42_131:
	s_or_b64 exec, exec, s[40:41]
	s_and_b64 exec, exec, s[34:35]
	s_cbranch_execz .LBB42_133
; %bb.132:
	v_mov_b32_e32 v1, 0
	ds_write_b32 v1, v59
	ds_write_b8 v1, v58 offset:4
.LBB42_133:
	s_or_b64 exec, exec, s[38:39]
	s_mov_b32 s6, 0
	s_mov_b32 s7, 1
	v_mov_b32_e32 v1, 0
	v_cmp_gt_u64_e32 vcc, s[6:7], v[9:10]
	s_waitcnt lgkmcnt(0)
	s_barrier
	ds_read_b32 v2, v1
	v_and_b32_e32 v4, 1, v10
	v_cndmask_b32_e32 v3, 0, v43, vcc
	v_cmp_eq_u32_e32 vcc, 1, v4
	v_cndmask_b32_e64 v4, v44, 1, vcc
	v_cndmask_b32_e64 v4, v4, v10, s[34:35]
	v_cmp_eq_u16_sdwa vcc, v4, v1 src0_sel:BYTE_0 src1_sel:DWORD
	v_cndmask_b32_e64 v3, v3, 0, s[34:35]
	s_waitcnt lgkmcnt(0)
	v_cndmask_b32_e32 v1, 0, v2, vcc
	v_add3_u32 v1, v3, v9, v1
	v_cndmask_b32_e64 v2, 0, v1, s[2:3]
	v_add_u32_e32 v39, v2, v35
	v_cndmask_b32_e64 v2, 0, v39, s[42:43]
	v_add_u32_e32 v40, v2, v33
	;; [unrolled: 2-line block ×14, first 2 shown]
	s_branch .LBB42_153
.LBB42_134:
	s_cmp_lg_u64 s[56:57], 0
	s_cselect_b64 s[6:7], -1, 0
	v_cmp_eq_u32_e32 vcc, 0, v0
	s_mov_b32 s34, 0
	v_cmp_ne_u32_e64 s[2:3], 0, v0
	s_and_b64 s[6:7], vcc, s[6:7]
	s_and_saveexec_b64 s[8:9], s[6:7]
	s_cbranch_execz .LBB42_136
; %bb.135:
	v_mov_b32_e32 v1, 0
	global_load_dword v3, v1, s[56:57]
	global_load_ubyte v4, v1, s[56:57] offset:4
	s_mov_b32 s35, 1
	v_cmp_gt_u64_e64 s[6:7], s[34:35], v[9:10]
	v_and_b32_e32 v2, 1, v10
	s_waitcnt vmcnt(1)
	v_cndmask_b32_e64 v3, 0, v3, s[6:7]
	v_cmp_eq_u64_e64 s[6:7], 0, v[1:2]
	s_waitcnt vmcnt(0)
	v_and_b32_e32 v4, 1, v4
	v_add_u32_e32 v9, v3, v9
	v_cndmask_b32_e64 v10, 1, v4, s[6:7]
.LBB42_136:
	s_or_b64 exec, exec, s[8:9]
	s_mov_b32 s35, 1
	v_cmp_gt_u64_e64 s[6:7], s[34:35], v[35:36]
	v_cmp_gt_u64_e64 s[8:9], s[34:35], v[33:34]
	v_cndmask_b32_e64 v1, 0, v9, s[6:7]
	v_add_u32_e32 v39, v1, v35
	v_cndmask_b32_e64 v1, 0, v39, s[8:9]
	v_cmp_gt_u64_e64 s[10:11], s[34:35], v[31:32]
	v_add_u32_e32 v40, v1, v33
	v_cndmask_b32_e64 v1, 0, v40, s[10:11]
	v_cmp_gt_u64_e64 s[12:13], s[34:35], v[29:30]
	;; [unrolled: 3-line block ×12, first 2 shown]
	v_or3_b32 v1, v55, v26, v28
	v_add_u32_e32 v51, v2, v11
	v_or3_b32 v1, v1, v30, v32
	v_cndmask_b32_e64 v2, 0, v51, s[34:35]
	v_or3_b32 v1, v1, v34, v36
	v_add_u32_e32 v52, v2, v37
	v_or3_b32 v2, v54, v16, v18
	v_or3_b32 v1, v2, v20, v1
	v_and_b32_e32 v2, 0xff, v1
	v_mov_b32_e32 v1, 0
	v_cmp_eq_u64_e64 s[36:37], 0, v[1:2]
	v_and_b32_e32 v1, 56, v53
	v_cndmask_b32_e64 v5, 1, v10, s[36:37]
	v_lshl_add_u32 v1, v0, 3, v1
	v_cmp_gt_u32_e64 s[36:37], 64, v0
	ds_write_b32 v1, v52
	ds_write_b8 v1, v5 offset:4
	s_waitcnt lgkmcnt(0)
	s_barrier
	s_and_saveexec_b64 s[52:53], s[36:37]
	s_cbranch_execz .LBB42_148
; %bb.137:
	v_and_b32_e32 v1, 0xf8, v0
	v_lshlrev_b32_e32 v2, 5, v0
	v_add_u32_e32 v6, v1, v2
	ds_read2_b32 v[1:2], v6 offset0:2 offset1:4
	ds_read_b64 v[3:4], v6
	ds_read_u8 v20, v6 offset:12
	ds_read_u8 v12, v6 offset:20
	ds_read_b32 v7, v6 offset:24
	ds_read_u8 v14, v6 offset:28
	s_waitcnt lgkmcnt(4)
	v_and_b32_e32 v8, 1, v4
	s_waitcnt lgkmcnt(3)
	v_cmp_eq_u16_e64 s[40:41], 0, v20
	s_waitcnt lgkmcnt(2)
	v_or_b32_e32 v18, v12, v20
	v_cndmask_b32_e64 v16, 0, v3, s[40:41]
	v_cmp_eq_u16_e64 s[38:39], 0, v18
	v_add_u32_e32 v16, v16, v1
	v_cmp_eq_u16_e64 s[36:37], 0, v12
	v_cndmask_b32_e64 v18, 1, v8, s[38:39]
	s_waitcnt lgkmcnt(0)
	v_cmp_eq_u16_e64 s[38:39], 0, v14
	v_and_b32_e32 v14, 1, v14
	v_cndmask_b32_e64 v16, 0, v16, s[36:37]
	v_cmp_eq_u32_e64 s[42:43], 1, v14
	v_add_u32_e32 v16, v16, v2
	v_cndmask_b32_e64 v22, v18, 1, s[42:43]
	v_mbcnt_lo_u32_b32 v18, -1, 0
	v_cndmask_b32_e64 v16, 0, v16, s[38:39]
	v_and_b32_e32 v14, 0xffffff00, v4
	v_mbcnt_hi_u32_b32 v18, -1, v18
	v_add_u32_e32 v16, v16, v7
	v_and_b32_e32 v28, 15, v18
	v_or_b32_sdwa v24, v14, v22 dst_sel:DWORD dst_unused:UNUSED_PAD src0_sel:DWORD src1_sel:WORD_0
	v_mov_b32_dpp v26, v16 row_shr:1 row_mask:0xf bank_mask:0xf
	v_cmp_ne_u32_e64 s[44:45], 0, v28
	v_mov_b32_dpp v30, v24 row_shr:1 row_mask:0xf bank_mask:0xf
	s_and_saveexec_b64 s[54:55], s[44:45]
; %bb.138:
	v_and_b32_e32 v24, 1, v22
	v_and_b32_e32 v30, 1, v30
	v_cmp_eq_u32_e64 s[44:45], 1, v24
	v_cndmask_b32_e64 v30, v30, 1, s[44:45]
	v_cmp_eq_u16_e64 s[44:45], 0, v22
	v_cndmask_b32_e64 v22, 0, v26, s[44:45]
	v_add_u32_e32 v16, v22, v16
	v_or_b32_sdwa v24, v14, v30 dst_sel:DWORD dst_unused:UNUSED_PAD src0_sel:DWORD src1_sel:WORD_0
	v_mov_b32_e32 v22, v30
; %bb.139:
	s_or_b64 exec, exec, s[54:55]
	v_mov_b32_dpp v30, v16 row_shr:2 row_mask:0xf bank_mask:0xf
	v_mov_b32_dpp v32, v24 row_shr:2 row_mask:0xf bank_mask:0xf
	v_cmp_lt_u32_e64 s[44:45], 1, v28
	v_mov_b32_e32 v26, v24
	s_and_saveexec_b64 s[54:55], s[44:45]
	s_cbranch_execz .LBB42_141
; %bb.140:
	v_and_b32_e32 v22, 1, v24
	v_and_b32_e32 v26, 1, v32
	v_cmp_eq_u32_e64 s[44:45], 1, v22
	v_cndmask_b32_e64 v22, v26, 1, s[44:45]
	v_mov_b32_e32 v26, 0
	v_cmp_eq_u16_sdwa s[44:45], v24, v26 src0_sel:BYTE_0 src1_sel:DWORD
	v_cndmask_b32_e64 v24, 0, v30, s[44:45]
	v_add_u32_e32 v16, v24, v16
	v_or_b32_sdwa v24, v14, v22 dst_sel:DWORD dst_unused:UNUSED_PAD src0_sel:DWORD src1_sel:WORD_0
	v_mov_b32_e32 v26, v22
.LBB42_141:
	s_or_b64 exec, exec, s[54:55]
	v_mov_b32_dpp v30, v16 row_shr:4 row_mask:0xf bank_mask:0xf
	v_mov_b32_dpp v32, v24 row_shr:4 row_mask:0xf bank_mask:0xf
	v_cmp_lt_u32_e64 s[44:45], 3, v28
	s_and_saveexec_b64 s[54:55], s[44:45]
	s_cbranch_execz .LBB42_143
; %bb.142:
	v_and_b32_e32 v22, 1, v26
	v_and_b32_e32 v24, 1, v32
	v_cmp_eq_u32_e64 s[44:45], 1, v22
	v_cndmask_b32_e64 v22, v24, 1, s[44:45]
	v_mov_b32_e32 v24, 0
	v_cmp_eq_u16_sdwa s[44:45], v26, v24 src0_sel:BYTE_0 src1_sel:DWORD
	v_cndmask_b32_e64 v24, 0, v30, s[44:45]
	v_add_u32_e32 v16, v24, v16
	v_or_b32_sdwa v24, v14, v22 dst_sel:DWORD dst_unused:UNUSED_PAD src0_sel:DWORD src1_sel:WORD_0
	v_mov_b32_e32 v26, v22
.LBB42_143:
	s_or_b64 exec, exec, s[54:55]
	v_mov_b32_dpp v30, v16 row_shr:8 row_mask:0xf bank_mask:0xf
	v_mov_b32_dpp v32, v24 row_shr:8 row_mask:0xf bank_mask:0xf
	v_cmp_lt_u32_e64 s[44:45], 7, v28
	s_and_saveexec_b64 s[54:55], s[44:45]
	s_cbranch_execz .LBB42_145
; %bb.144:
	v_and_b32_e32 v22, 1, v26
	v_and_b32_e32 v24, 1, v32
	v_cmp_eq_u32_e64 s[44:45], 1, v22
	v_cndmask_b32_e64 v22, v24, 1, s[44:45]
	v_mov_b32_e32 v24, 0
	v_cmp_eq_u16_sdwa s[44:45], v26, v24 src0_sel:BYTE_0 src1_sel:DWORD
	v_cndmask_b32_e64 v24, 0, v30, s[44:45]
	v_add_u32_e32 v16, v24, v16
	v_or_b32_sdwa v24, v14, v22 dst_sel:DWORD dst_unused:UNUSED_PAD src0_sel:DWORD src1_sel:WORD_0
	v_mov_b32_e32 v26, v22
.LBB42_145:
	s_or_b64 exec, exec, s[54:55]
	v_and_b32_e32 v32, 16, v18
	v_mov_b32_dpp v28, v16 row_bcast:15 row_mask:0xf bank_mask:0xf
	v_mov_b32_dpp v30, v24 row_bcast:15 row_mask:0xf bank_mask:0xf
	v_cmp_ne_u32_e64 s[44:45], 0, v32
	s_and_saveexec_b64 s[54:55], s[44:45]
	s_cbranch_execz .LBB42_147
; %bb.146:
	v_and_b32_e32 v22, 1, v26
	v_and_b32_e32 v24, 1, v30
	v_cmp_eq_u32_e64 s[44:45], 1, v22
	v_cndmask_b32_e64 v22, v24, 1, s[44:45]
	v_mov_b32_e32 v24, 0
	v_cmp_eq_u16_sdwa s[44:45], v26, v24 src0_sel:BYTE_0 src1_sel:DWORD
	v_cndmask_b32_e64 v24, 0, v28, s[44:45]
	v_add_u32_e32 v16, v24, v16
	v_or_b32_sdwa v24, v14, v22 dst_sel:DWORD dst_unused:UNUSED_PAD src0_sel:DWORD src1_sel:WORD_0
	v_mov_b32_e32 v26, v22
.LBB42_147:
	s_or_b64 exec, exec, s[54:55]
	v_mov_b32_dpp v24, v24 row_bcast:31 row_mask:0xf bank_mask:0xf
	v_and_b32_e32 v30, 1, v26
	v_and_b32_e32 v24, 1, v24
	v_cmp_eq_u32_e64 s[44:45], 1, v30
	v_mov_b32_e32 v30, 0
	v_cndmask_b32_e64 v24, v24, 1, s[44:45]
	v_cmp_eq_u16_sdwa s[54:55], v26, v30 src0_sel:BYTE_0 src1_sel:DWORD
	v_cmp_lt_u32_e64 s[44:45], 31, v18
	v_mov_b32_dpp v28, v16 row_bcast:31 row_mask:0xf bank_mask:0xf
	v_cndmask_b32_e64 v22, v22, v24, s[44:45]
	s_and_b64 s[44:45], s[44:45], s[54:55]
	v_cndmask_b32_e64 v24, 0, v28, s[44:45]
	v_add_u32_e32 v16, v24, v16
	v_add_u32_e32 v24, -1, v18
	v_and_b32_e32 v26, 64, v18
	v_cmp_lt_i32_e64 s[44:45], v24, v26
	v_cndmask_b32_e64 v18, v24, v18, s[44:45]
	v_lshlrev_b32_e32 v18, 2, v18
	ds_bpermute_b32 v16, v18, v16
	v_or_b32_sdwa v14, v14, v22 dst_sel:DWORD dst_unused:UNUSED_PAD src0_sel:DWORD src1_sel:WORD_0
	ds_bpermute_b32 v14, v18, v14
	v_cmp_eq_u16_sdwa s[44:45], v4, v30 src0_sel:BYTE_0 src1_sel:DWORD
	v_and_b32_e32 v20, 1, v20
	s_waitcnt lgkmcnt(1)
	v_cndmask_b32_e64 v4, 0, v16, s[44:45]
	v_add_u32_e32 v3, v4, v3
	s_waitcnt lgkmcnt(0)
	v_and_b32_e32 v4, 1, v14
	v_cmp_eq_u32_e64 s[44:45], 1, v8
	v_cndmask_b32_e64 v4, v4, 1, s[44:45]
	v_cndmask_b32_e32 v3, v3, v52, vcc
	v_cndmask_b32_e32 v4, v4, v5, vcc
	v_cndmask_b32_e64 v5, 0, v3, s[40:41]
	v_add_u32_e32 v1, v5, v1
	v_cmp_eq_u32_e64 s[40:41], 1, v20
	ds_write_b8 v6, v4 offset:4
	v_cndmask_b32_e64 v4, v4, 1, s[40:41]
	ds_write2_b32 v6, v3, v1 offset1:2
	ds_write_b8 v6, v4 offset:12
	v_cndmask_b32_e64 v1, 0, v1, s[36:37]
	v_and_b32_e32 v12, 1, v12
	v_add_u32_e32 v1, v1, v2
	v_cmp_eq_u32_e64 s[36:37], 1, v12
	v_cndmask_b32_e64 v3, 0, v1, s[38:39]
	v_cndmask_b32_e64 v2, v4, 1, s[36:37]
	v_add_u32_e32 v3, v3, v7
	ds_write_b8 v6, v2 offset:20
	v_cndmask_b32_e64 v2, v2, 1, s[42:43]
	ds_write2_b32 v6, v1, v3 offset0:4 offset1:6
	ds_write_b8 v6, v2 offset:28
.LBB42_148:
	s_or_b64 exec, exec, s[52:53]
	s_waitcnt lgkmcnt(0)
	s_barrier
	s_and_saveexec_b64 s[36:37], s[2:3]
	s_cbranch_execz .LBB42_150
; %bb.149:
	v_add_u32_e32 v1, -1, v0
	v_lshrrev_b32_e32 v2, 2, v1
	v_and_b32_e32 v2, 0x3ffffff8, v2
	v_lshl_add_u32 v1, v1, 3, v2
	ds_read_b32 v1, v1
	s_mov_b32 s2, 0
	s_mov_b32 s3, 1
	v_cmp_gt_u64_e64 s[2:3], s[2:3], v[9:10]
	s_waitcnt lgkmcnt(0)
	v_cndmask_b32_e64 v1, 0, v1, s[2:3]
	v_add_u32_e32 v9, v1, v9
	v_cndmask_b32_e64 v1, 0, v9, s[6:7]
	v_add_u32_e32 v39, v1, v35
	;; [unrolled: 2-line block ×15, first 2 shown]
.LBB42_150:
	s_or_b64 exec, exec, s[36:37]
	s_and_saveexec_b64 s[2:3], vcc
	s_cbranch_execz .LBB42_152
; %bb.151:
	v_mov_b32_e32 v4, 0
	ds_read_b32 v1, v4 offset:2096
	ds_read_u8 v2, v4 offset:2100
	s_add_u32 s6, s48, 0x400
	s_addc_u32 s7, s49, 0
	v_mov_b32_e32 v5, s6
	v_mov_b32_e32 v3, 2
	;; [unrolled: 1-line block ×3, first 2 shown]
	s_waitcnt lgkmcnt(0)
	;;#ASMSTART
	global_store_dwordx4 v[5:6], v[1:4] off	
s_waitcnt vmcnt(0)
	;;#ASMEND
.LBB42_152:
	s_or_b64 exec, exec, s[2:3]
	v_mov_b32_e32 v1, v9
	v_mov_b32_e32 v2, v10
.LBB42_153:
	s_load_dwordx2 s[2:3], s[4:5], 0x18
	s_lshl_b64 s[4:5], s[46:47], 3
	s_waitcnt lgkmcnt(0)
	s_add_u32 s2, s2, s4
	s_addc_u32 s3, s3, s5
	s_and_b64 vcc, exec, s[0:1]
	s_cbranch_vccz .LBB42_207
; %bb.154:
	s_add_i32 s33, s33, s50
	v_mul_u32_u24_e32 v2, 15, v0
	v_cmp_gt_u32_e32 vcc, s33, v2
	s_and_saveexec_b64 s[0:1], vcc
	s_cbranch_execz .LBB42_178
; %bb.155:
	v_add_u32_e32 v3, 1, v2
	v_cmp_gt_u32_e32 vcc, s33, v3
	s_and_saveexec_b64 s[4:5], vcc
	s_cbranch_execz .LBB42_177
; %bb.156:
	v_add_u32_e32 v3, 2, v2
	;; [unrolled: 5-line block ×11, first 2 shown]
	v_cmp_gt_u32_e32 vcc, s33, v3
	s_and_saveexec_b64 s[24:25], vcc
; %bb.166:
	v_add_u32_e32 v3, 12, v2
	v_cmp_gt_u32_e32 vcc, s33, v3
	s_and_saveexec_b64 s[26:27], vcc
	s_or_b64 exec, exec, s[26:27]
; %bb.167:
	s_or_b64 exec, exec, s[24:25]
.LBB42_168:
	s_or_b64 exec, exec, s[22:23]
.LBB42_169:
	s_or_b64 exec, exec, s[20:21]
.LBB42_170:
	s_or_b64 exec, exec, s[18:19]
.LBB42_171:
	s_or_b64 exec, exec, s[16:17]
.LBB42_172:
	s_or_b64 exec, exec, s[14:15]
.LBB42_173:
	s_or_b64 exec, exec, s[12:13]
.LBB42_174:
	s_or_b64 exec, exec, s[10:11]
.LBB42_175:
	s_or_b64 exec, exec, s[8:9]
.LBB42_176:
	s_or_b64 exec, exec, s[6:7]
.LBB42_177:
	s_or_b64 exec, exec, s[4:5]
.LBB42_178:
	s_or_b64 exec, exec, s[0:1]
	v_lshlrev_b32_e32 v18, 2, v2
	s_movk_i32 s0, 0xffc8
	v_mad_i32_i24 v2, v0, s0, v18
	s_barrier
	ds_write2_b32 v18, v1, v39 offset1:1
	ds_write2_b32 v18, v40, v41 offset0:2 offset1:3
	ds_write2_b32 v18, v42, v43 offset0:4 offset1:5
	;; [unrolled: 1-line block ×6, first 2 shown]
	ds_write_b32 v18, v52 offset:56
	s_waitcnt lgkmcnt(0)
	s_barrier
	ds_read2st64_b32 v[16:17], v2 offset0:4 offset1:8
	ds_read2st64_b32 v[14:15], v2 offset0:12 offset1:16
	;; [unrolled: 1-line block ×7, first 2 shown]
	v_lshlrev_b32_e32 v4, 3, v0
	v_mov_b32_e32 v5, s3
	v_add_co_u32_e32 v4, vcc, s2, v4
	v_addc_co_u32_e32 v5, vcc, 0, v5, vcc
	v_cmp_gt_u32_e32 vcc, s33, v0
	s_and_saveexec_b64 s[0:1], vcc
	s_cbranch_execz .LBB42_180
; %bb.179:
	v_mul_i32_i24_e32 v19, 0xffffffc8, v0
	v_add_u32_e32 v18, v18, v19
	ds_read_b32 v18, v18
	s_waitcnt lgkmcnt(0)
	v_ashrrev_i32_e32 v19, 31, v18
	global_store_dwordx2 v[4:5], v[18:19], off
.LBB42_180:
	s_or_b64 exec, exec, s[0:1]
	v_or_b32_e32 v18, 0x100, v0
	v_cmp_gt_u32_e32 vcc, s33, v18
	s_and_saveexec_b64 s[0:1], vcc
	s_cbranch_execz .LBB42_182
; %bb.181:
	s_waitcnt lgkmcnt(6)
	v_ashrrev_i32_e32 v19, 31, v16
	v_mov_b32_e32 v18, v16
	global_store_dwordx2 v[4:5], v[18:19], off offset:2048
.LBB42_182:
	s_or_b64 exec, exec, s[0:1]
	s_waitcnt lgkmcnt(6)
	v_or_b32_e32 v16, 0x200, v0
	v_cmp_gt_u32_e32 vcc, s33, v16
	s_and_saveexec_b64 s[0:1], vcc
	s_cbranch_execz .LBB42_184
; %bb.183:
	v_add_co_u32_e32 v19, vcc, 0x1000, v4
	v_ashrrev_i32_e32 v18, 31, v17
	v_addc_co_u32_e32 v20, vcc, 0, v5, vcc
	global_store_dwordx2 v[19:20], v[17:18], off
.LBB42_184:
	s_or_b64 exec, exec, s[0:1]
	v_or_b32_e32 v16, 0x300, v0
	v_cmp_gt_u32_e32 vcc, s33, v16
	s_and_saveexec_b64 s[0:1], vcc
	s_cbranch_execz .LBB42_186
; %bb.185:
	v_add_co_u32_e32 v18, vcc, 0x1000, v4
	s_waitcnt lgkmcnt(5)
	v_ashrrev_i32_e32 v17, 31, v14
	v_mov_b32_e32 v16, v14
	v_addc_co_u32_e32 v19, vcc, 0, v5, vcc
	global_store_dwordx2 v[18:19], v[16:17], off offset:2048
.LBB42_186:
	s_or_b64 exec, exec, s[0:1]
	s_waitcnt lgkmcnt(5)
	v_or_b32_e32 v14, 0x400, v0
	v_cmp_gt_u32_e32 vcc, s33, v14
	s_and_saveexec_b64 s[0:1], vcc
	s_cbranch_execz .LBB42_188
; %bb.187:
	v_add_co_u32_e32 v17, vcc, 0x2000, v4
	v_ashrrev_i32_e32 v16, 31, v15
	v_addc_co_u32_e32 v18, vcc, 0, v5, vcc
	global_store_dwordx2 v[17:18], v[15:16], off
.LBB42_188:
	s_or_b64 exec, exec, s[0:1]
	v_or_b32_e32 v14, 0x500, v0
	v_cmp_gt_u32_e32 vcc, s33, v14
	s_and_saveexec_b64 s[0:1], vcc
	s_cbranch_execz .LBB42_190
; %bb.189:
	v_add_co_u32_e32 v16, vcc, 0x2000, v4
	s_waitcnt lgkmcnt(4)
	v_ashrrev_i32_e32 v15, 31, v12
	v_mov_b32_e32 v14, v12
	v_addc_co_u32_e32 v17, vcc, 0, v5, vcc
	global_store_dwordx2 v[16:17], v[14:15], off offset:2048
.LBB42_190:
	;; [unrolled: 25-line block ×6, first 2 shown]
	s_or_b64 exec, exec, s[0:1]
	s_waitcnt lgkmcnt(0)
	v_or_b32_e32 v2, 0xe00, v0
	v_cmp_gt_u32_e64 s[0:1], s33, v2
	s_branch .LBB42_209
.LBB42_207:
	s_mov_b64 s[0:1], 0
                                        ; implicit-def: $vgpr3
	s_cbranch_execz .LBB42_209
; %bb.208:
	v_mul_u32_u24_e32 v2, 60, v0
	s_waitcnt vmcnt(0)
	s_barrier
	ds_write2_b32 v2, v1, v39 offset1:1
	ds_write2_b32 v2, v40, v41 offset0:2 offset1:3
	ds_write2_b32 v2, v42, v43 offset0:4 offset1:5
	;; [unrolled: 1-line block ×6, first 2 shown]
	ds_write_b32 v2, v52 offset:56
	v_mul_i32_i24_e32 v1, 0xffffffc8, v0
	v_mad_u32_u24 v3, v0, 60, v1
	s_waitcnt lgkmcnt(0)
	s_barrier
	ds_read2st64_b32 v[1:2], v3 offset1:4
	ds_read2st64_b32 v[6:7], v3 offset0:8 offset1:12
	ds_read2st64_b32 v[14:15], v3 offset0:24 offset1:28
	;; [unrolled: 1-line block ×3, first 2 shown]
	s_movk_i32 s4, 0x1000
	s_waitcnt lgkmcnt(3)
	v_ashrrev_i32_e32 v5, 31, v1
	v_mov_b32_e32 v4, v1
	v_ashrrev_i32_e32 v9, 31, v2
	v_mov_b32_e32 v8, v2
	ds_read2st64_b32 v[1:2], v3 offset0:16 offset1:20
	s_waitcnt lgkmcnt(3)
	v_ashrrev_i32_e32 v11, 31, v6
	v_mov_b32_e32 v10, v6
	v_ashrrev_i32_e32 v13, 31, v7
	v_mov_b32_e32 v12, v7
	s_waitcnt lgkmcnt(0)
	v_ashrrev_i32_e32 v7, 31, v1
	v_mov_b32_e32 v6, v1
	v_ashrrev_i32_e32 v17, 31, v2
	v_mov_b32_e32 v16, v2
	ds_read2st64_b32 v[1:2], v3 offset0:32 offset1:36
	v_ashrrev_i32_e32 v19, 31, v14
	v_mov_b32_e32 v18, v14
	v_ashrrev_i32_e32 v21, 31, v15
	v_mov_b32_e32 v20, v15
	s_waitcnt lgkmcnt(0)
	v_ashrrev_i32_e32 v15, 31, v1
	v_mov_b32_e32 v14, v1
	v_ashrrev_i32_e32 v25, 31, v2
	v_mov_b32_e32 v24, v2
	ds_read2st64_b32 v[1:2], v3 offset0:48 offset1:52
	v_ashrrev_i32_e32 v27, 31, v22
	v_mov_b32_e32 v26, v22
	v_ashrrev_i32_e32 v29, 31, v23
	v_mov_b32_e32 v28, v23
	s_waitcnt lgkmcnt(0)
	v_ashrrev_i32_e32 v23, 31, v1
	v_mov_b32_e32 v22, v1
	v_lshlrev_b32_e32 v1, 3, v0
	v_ashrrev_i32_e32 v31, 31, v2
	v_mov_b32_e32 v30, v2
	v_mov_b32_e32 v2, s3
	v_add_co_u32_e32 v32, vcc, s2, v1
	v_addc_co_u32_e32 v33, vcc, 0, v2, vcc
	ds_read_b32 v3, v3 offset:14336
	global_store_dwordx2 v1, v[4:5], s[2:3]
	global_store_dwordx2 v1, v[8:9], s[2:3] offset:2048
	v_add_co_u32_e32 v1, vcc, s4, v32
	v_addc_co_u32_e32 v2, vcc, 0, v33, vcc
	s_movk_i32 s4, 0x2000
	v_add_co_u32_e32 v4, vcc, s4, v32
	v_addc_co_u32_e32 v5, vcc, 0, v33, vcc
	s_movk_i32 s4, 0x3000
	global_store_dwordx2 v[4:5], v[10:11], off offset:-4096
	global_store_dwordx2 v[1:2], v[12:13], off offset:2048
	global_store_dwordx2 v[4:5], v[6:7], off
	global_store_dwordx2 v[4:5], v[16:17], off offset:2048
	v_add_co_u32_e32 v1, vcc, s4, v32
	v_addc_co_u32_e32 v2, vcc, 0, v33, vcc
	s_movk_i32 s4, 0x4000
	v_add_co_u32_e32 v4, vcc, s4, v32
	v_addc_co_u32_e32 v5, vcc, 0, v33, vcc
	global_store_dwordx2 v[4:5], v[18:19], off offset:-4096
	global_store_dwordx2 v[1:2], v[20:21], off offset:2048
	global_store_dwordx2 v[4:5], v[14:15], off
	global_store_dwordx2 v[4:5], v[24:25], off offset:2048
	v_add_co_u32_e32 v1, vcc, 0x5000, v32
	v_addc_co_u32_e32 v2, vcc, 0, v33, vcc
	global_store_dwordx2 v[1:2], v[26:27], off
	global_store_dwordx2 v[1:2], v[28:29], off offset:2048
	v_add_co_u32_e32 v1, vcc, 0x6000, v32
	v_addc_co_u32_e32 v2, vcc, 0, v33, vcc
	s_or_b64 s[0:1], s[0:1], exec
	global_store_dwordx2 v[1:2], v[22:23], off
	global_store_dwordx2 v[1:2], v[30:31], off offset:2048
.LBB42_209:
	s_and_saveexec_b64 s[4:5], s[0:1]
	s_cbranch_execz .LBB42_211
; %bb.210:
	v_lshlrev_b32_e32 v0, 3, v0
	v_mov_b32_e32 v1, s3
	v_add_co_u32_e32 v2, vcc, s2, v0
	v_addc_co_u32_e32 v4, vcc, 0, v1, vcc
	v_add_co_u32_e32 v2, vcc, 0x7000, v2
	s_waitcnt lgkmcnt(0)
	v_ashrrev_i32_e32 v1, 31, v3
	v_mov_b32_e32 v0, v3
	v_addc_co_u32_e32 v3, vcc, 0, v4, vcc
	global_store_dwordx2 v[2:3], v[0:1], off
	s_endpgm
.LBB42_211:
	s_endpgm
	.section	.rodata,"a",@progbits
	.p2align	6, 0x0
	.amdhsa_kernel _ZN7rocprim6detail25device_scan_by_key_kernelILNS0_25lookback_scan_determinismE0ELb0ENS0_26wrapped_scan_by_key_configINS_14default_configEiiEEPiN6hipcub22TransformInputIteratorIiNS7_6CastOpIiEES6_lEEPliNS7_8EqualityENS7_3SumENS0_19lookback_scan_stateINS_5tupleIJibEEELb0ELb1EEEiEEvT2_T3_T4_T5_T6_T7_T8_mmmPKNSG_IJT9_bEEE
		.amdhsa_group_segment_fixed_size 17408
		.amdhsa_private_segment_fixed_size 0
		.amdhsa_kernarg_size 80
		.amdhsa_user_sgpr_count 6
		.amdhsa_user_sgpr_private_segment_buffer 1
		.amdhsa_user_sgpr_dispatch_ptr 0
		.amdhsa_user_sgpr_queue_ptr 0
		.amdhsa_user_sgpr_kernarg_segment_ptr 1
		.amdhsa_user_sgpr_dispatch_id 0
		.amdhsa_user_sgpr_flat_scratch_init 0
		.amdhsa_user_sgpr_private_segment_size 0
		.amdhsa_uses_dynamic_stack 0
		.amdhsa_system_sgpr_private_segment_wavefront_offset 0
		.amdhsa_system_sgpr_workgroup_id_x 1
		.amdhsa_system_sgpr_workgroup_id_y 0
		.amdhsa_system_sgpr_workgroup_id_z 0
		.amdhsa_system_sgpr_workgroup_info 0
		.amdhsa_system_vgpr_workitem_id 0
		.amdhsa_next_free_vgpr 73
		.amdhsa_next_free_sgpr 98
		.amdhsa_reserve_vcc 1
		.amdhsa_reserve_flat_scratch 0
		.amdhsa_float_round_mode_32 0
		.amdhsa_float_round_mode_16_64 0
		.amdhsa_float_denorm_mode_32 3
		.amdhsa_float_denorm_mode_16_64 3
		.amdhsa_dx10_clamp 1
		.amdhsa_ieee_mode 1
		.amdhsa_fp16_overflow 0
		.amdhsa_exception_fp_ieee_invalid_op 0
		.amdhsa_exception_fp_denorm_src 0
		.amdhsa_exception_fp_ieee_div_zero 0
		.amdhsa_exception_fp_ieee_overflow 0
		.amdhsa_exception_fp_ieee_underflow 0
		.amdhsa_exception_fp_ieee_inexact 0
		.amdhsa_exception_int_div_zero 0
	.end_amdhsa_kernel
	.section	.text._ZN7rocprim6detail25device_scan_by_key_kernelILNS0_25lookback_scan_determinismE0ELb0ENS0_26wrapped_scan_by_key_configINS_14default_configEiiEEPiN6hipcub22TransformInputIteratorIiNS7_6CastOpIiEES6_lEEPliNS7_8EqualityENS7_3SumENS0_19lookback_scan_stateINS_5tupleIJibEEELb0ELb1EEEiEEvT2_T3_T4_T5_T6_T7_T8_mmmPKNSG_IJT9_bEEE,"axG",@progbits,_ZN7rocprim6detail25device_scan_by_key_kernelILNS0_25lookback_scan_determinismE0ELb0ENS0_26wrapped_scan_by_key_configINS_14default_configEiiEEPiN6hipcub22TransformInputIteratorIiNS7_6CastOpIiEES6_lEEPliNS7_8EqualityENS7_3SumENS0_19lookback_scan_stateINS_5tupleIJibEEELb0ELb1EEEiEEvT2_T3_T4_T5_T6_T7_T8_mmmPKNSG_IJT9_bEEE,comdat
.Lfunc_end42:
	.size	_ZN7rocprim6detail25device_scan_by_key_kernelILNS0_25lookback_scan_determinismE0ELb0ENS0_26wrapped_scan_by_key_configINS_14default_configEiiEEPiN6hipcub22TransformInputIteratorIiNS7_6CastOpIiEES6_lEEPliNS7_8EqualityENS7_3SumENS0_19lookback_scan_stateINS_5tupleIJibEEELb0ELb1EEEiEEvT2_T3_T4_T5_T6_T7_T8_mmmPKNSG_IJT9_bEEE, .Lfunc_end42-_ZN7rocprim6detail25device_scan_by_key_kernelILNS0_25lookback_scan_determinismE0ELb0ENS0_26wrapped_scan_by_key_configINS_14default_configEiiEEPiN6hipcub22TransformInputIteratorIiNS7_6CastOpIiEES6_lEEPliNS7_8EqualityENS7_3SumENS0_19lookback_scan_stateINS_5tupleIJibEEELb0ELb1EEEiEEvT2_T3_T4_T5_T6_T7_T8_mmmPKNSG_IJT9_bEEE
                                        ; -- End function
	.set _ZN7rocprim6detail25device_scan_by_key_kernelILNS0_25lookback_scan_determinismE0ELb0ENS0_26wrapped_scan_by_key_configINS_14default_configEiiEEPiN6hipcub22TransformInputIteratorIiNS7_6CastOpIiEES6_lEEPliNS7_8EqualityENS7_3SumENS0_19lookback_scan_stateINS_5tupleIJibEEELb0ELb1EEEiEEvT2_T3_T4_T5_T6_T7_T8_mmmPKNSG_IJT9_bEEE.num_vgpr, 73
	.set _ZN7rocprim6detail25device_scan_by_key_kernelILNS0_25lookback_scan_determinismE0ELb0ENS0_26wrapped_scan_by_key_configINS_14default_configEiiEEPiN6hipcub22TransformInputIteratorIiNS7_6CastOpIiEES6_lEEPliNS7_8EqualityENS7_3SumENS0_19lookback_scan_stateINS_5tupleIJibEEELb0ELb1EEEiEEvT2_T3_T4_T5_T6_T7_T8_mmmPKNSG_IJT9_bEEE.num_agpr, 0
	.set _ZN7rocprim6detail25device_scan_by_key_kernelILNS0_25lookback_scan_determinismE0ELb0ENS0_26wrapped_scan_by_key_configINS_14default_configEiiEEPiN6hipcub22TransformInputIteratorIiNS7_6CastOpIiEES6_lEEPliNS7_8EqualityENS7_3SumENS0_19lookback_scan_stateINS_5tupleIJibEEELb0ELb1EEEiEEvT2_T3_T4_T5_T6_T7_T8_mmmPKNSG_IJT9_bEEE.numbered_sgpr, 58
	.set _ZN7rocprim6detail25device_scan_by_key_kernelILNS0_25lookback_scan_determinismE0ELb0ENS0_26wrapped_scan_by_key_configINS_14default_configEiiEEPiN6hipcub22TransformInputIteratorIiNS7_6CastOpIiEES6_lEEPliNS7_8EqualityENS7_3SumENS0_19lookback_scan_stateINS_5tupleIJibEEELb0ELb1EEEiEEvT2_T3_T4_T5_T6_T7_T8_mmmPKNSG_IJT9_bEEE.num_named_barrier, 0
	.set _ZN7rocprim6detail25device_scan_by_key_kernelILNS0_25lookback_scan_determinismE0ELb0ENS0_26wrapped_scan_by_key_configINS_14default_configEiiEEPiN6hipcub22TransformInputIteratorIiNS7_6CastOpIiEES6_lEEPliNS7_8EqualityENS7_3SumENS0_19lookback_scan_stateINS_5tupleIJibEEELb0ELb1EEEiEEvT2_T3_T4_T5_T6_T7_T8_mmmPKNSG_IJT9_bEEE.private_seg_size, 0
	.set _ZN7rocprim6detail25device_scan_by_key_kernelILNS0_25lookback_scan_determinismE0ELb0ENS0_26wrapped_scan_by_key_configINS_14default_configEiiEEPiN6hipcub22TransformInputIteratorIiNS7_6CastOpIiEES6_lEEPliNS7_8EqualityENS7_3SumENS0_19lookback_scan_stateINS_5tupleIJibEEELb0ELb1EEEiEEvT2_T3_T4_T5_T6_T7_T8_mmmPKNSG_IJT9_bEEE.uses_vcc, 1
	.set _ZN7rocprim6detail25device_scan_by_key_kernelILNS0_25lookback_scan_determinismE0ELb0ENS0_26wrapped_scan_by_key_configINS_14default_configEiiEEPiN6hipcub22TransformInputIteratorIiNS7_6CastOpIiEES6_lEEPliNS7_8EqualityENS7_3SumENS0_19lookback_scan_stateINS_5tupleIJibEEELb0ELb1EEEiEEvT2_T3_T4_T5_T6_T7_T8_mmmPKNSG_IJT9_bEEE.uses_flat_scratch, 0
	.set _ZN7rocprim6detail25device_scan_by_key_kernelILNS0_25lookback_scan_determinismE0ELb0ENS0_26wrapped_scan_by_key_configINS_14default_configEiiEEPiN6hipcub22TransformInputIteratorIiNS7_6CastOpIiEES6_lEEPliNS7_8EqualityENS7_3SumENS0_19lookback_scan_stateINS_5tupleIJibEEELb0ELb1EEEiEEvT2_T3_T4_T5_T6_T7_T8_mmmPKNSG_IJT9_bEEE.has_dyn_sized_stack, 0
	.set _ZN7rocprim6detail25device_scan_by_key_kernelILNS0_25lookback_scan_determinismE0ELb0ENS0_26wrapped_scan_by_key_configINS_14default_configEiiEEPiN6hipcub22TransformInputIteratorIiNS7_6CastOpIiEES6_lEEPliNS7_8EqualityENS7_3SumENS0_19lookback_scan_stateINS_5tupleIJibEEELb0ELb1EEEiEEvT2_T3_T4_T5_T6_T7_T8_mmmPKNSG_IJT9_bEEE.has_recursion, 0
	.set _ZN7rocprim6detail25device_scan_by_key_kernelILNS0_25lookback_scan_determinismE0ELb0ENS0_26wrapped_scan_by_key_configINS_14default_configEiiEEPiN6hipcub22TransformInputIteratorIiNS7_6CastOpIiEES6_lEEPliNS7_8EqualityENS7_3SumENS0_19lookback_scan_stateINS_5tupleIJibEEELb0ELb1EEEiEEvT2_T3_T4_T5_T6_T7_T8_mmmPKNSG_IJT9_bEEE.has_indirect_call, 0
	.section	.AMDGPU.csdata,"",@progbits
; Kernel info:
; codeLenInByte = 12736
; TotalNumSgprs: 62
; NumVgprs: 73
; ScratchSize: 0
; MemoryBound: 0
; FloatMode: 240
; IeeeMode: 1
; LDSByteSize: 17408 bytes/workgroup (compile time only)
; SGPRBlocks: 12
; VGPRBlocks: 18
; NumSGPRsForWavesPerEU: 102
; NumVGPRsForWavesPerEU: 73
; Occupancy: 3
; WaveLimiterHint : 1
; COMPUTE_PGM_RSRC2:SCRATCH_EN: 0
; COMPUTE_PGM_RSRC2:USER_SGPR: 6
; COMPUTE_PGM_RSRC2:TRAP_HANDLER: 0
; COMPUTE_PGM_RSRC2:TGID_X_EN: 1
; COMPUTE_PGM_RSRC2:TGID_Y_EN: 0
; COMPUTE_PGM_RSRC2:TGID_Z_EN: 0
; COMPUTE_PGM_RSRC2:TIDIG_COMP_CNT: 0
	.section	.text._ZN7rocprim6detail31init_lookback_scan_state_kernelINS0_19lookback_scan_stateINS_5tupleIJ6__halfbEEELb1ELb1EEEEEvT_jjPNS7_10value_typeE,"axG",@progbits,_ZN7rocprim6detail31init_lookback_scan_state_kernelINS0_19lookback_scan_stateINS_5tupleIJ6__halfbEEELb1ELb1EEEEEvT_jjPNS7_10value_typeE,comdat
	.protected	_ZN7rocprim6detail31init_lookback_scan_state_kernelINS0_19lookback_scan_stateINS_5tupleIJ6__halfbEEELb1ELb1EEEEEvT_jjPNS7_10value_typeE ; -- Begin function _ZN7rocprim6detail31init_lookback_scan_state_kernelINS0_19lookback_scan_stateINS_5tupleIJ6__halfbEEELb1ELb1EEEEEvT_jjPNS7_10value_typeE
	.globl	_ZN7rocprim6detail31init_lookback_scan_state_kernelINS0_19lookback_scan_stateINS_5tupleIJ6__halfbEEELb1ELb1EEEEEvT_jjPNS7_10value_typeE
	.p2align	8
	.type	_ZN7rocprim6detail31init_lookback_scan_state_kernelINS0_19lookback_scan_stateINS_5tupleIJ6__halfbEEELb1ELb1EEEEEvT_jjPNS7_10value_typeE,@function
_ZN7rocprim6detail31init_lookback_scan_state_kernelINS0_19lookback_scan_stateINS_5tupleIJ6__halfbEEELb1ELb1EEEEEvT_jjPNS7_10value_typeE: ; @_ZN7rocprim6detail31init_lookback_scan_state_kernelINS0_19lookback_scan_stateINS_5tupleIJ6__halfbEEELb1ELb1EEEEEvT_jjPNS7_10value_typeE
; %bb.0:
	s_load_dword s7, s[4:5], 0x24
	s_load_dwordx2 s[8:9], s[4:5], 0x10
	s_load_dwordx4 s[0:3], s[4:5], 0x0
	s_waitcnt lgkmcnt(0)
	s_and_b32 s4, s7, 0xffff
	s_mul_i32 s6, s6, s4
	s_cmp_eq_u64 s[8:9], 0
	v_add_u32_e32 v0, s6, v0
	s_cbranch_scc1 .LBB43_9
; %bb.1:
	s_cmp_lt_u32 s3, s2
	s_cselect_b32 s4, s3, 0
	s_mov_b32 s7, 0
	v_cmp_eq_u32_e32 vcc, s4, v0
	s_and_saveexec_b64 s[4:5], vcc
	s_cbranch_execz .LBB43_8
; %bb.2:
	s_add_i32 s6, s3, 64
	s_lshl_b64 s[6:7], s[6:7], 3
	s_add_u32 s6, s0, s6
	s_addc_u32 s7, s1, s7
	v_mov_b32_e32 v1, 0
	global_load_dwordx2 v[3:4], v1, s[6:7] glc
	s_waitcnt vmcnt(0)
	v_and_b32_e32 v2, 0xff, v4
	v_cmp_ne_u64_e32 vcc, 0, v[1:2]
	s_cbranch_vccnz .LBB43_7
; %bb.3:
	s_mov_b32 s3, 1
.LBB43_4:                               ; =>This Loop Header: Depth=1
                                        ;     Child Loop BB43_5 Depth 2
	s_mov_b32 s10, s3
.LBB43_5:                               ;   Parent Loop BB43_4 Depth=1
                                        ; =>  This Inner Loop Header: Depth=2
	s_add_i32 s10, s10, -1
	s_cmp_eq_u32 s10, 0
	s_sleep 1
	s_cbranch_scc0 .LBB43_5
; %bb.6:                                ;   in Loop: Header=BB43_4 Depth=1
	global_load_dwordx2 v[3:4], v1, s[6:7] glc
	s_cmp_lt_u32 s3, 32
	s_cselect_b64 s[10:11], -1, 0
	s_cmp_lg_u64 s[10:11], 0
	s_addc_u32 s3, s3, 0
	s_waitcnt vmcnt(0)
	v_and_b32_e32 v2, 0xff, v4
	v_cmp_ne_u64_e32 vcc, 0, v[1:2]
	s_cbranch_vccz .LBB43_4
.LBB43_7:
	v_mov_b32_e32 v1, 0
	global_store_short v1, v3, s[8:9]
	global_store_byte_d16_hi v1, v3, s[8:9] offset:2
.LBB43_8:
	s_or_b64 exec, exec, s[4:5]
.LBB43_9:
	v_cmp_gt_u32_e32 vcc, s2, v0
	s_and_saveexec_b64 s[2:3], vcc
	s_cbranch_execnz .LBB43_12
; %bb.10:
	s_or_b64 exec, exec, s[2:3]
	v_cmp_gt_u32_e32 vcc, 64, v0
	s_and_saveexec_b64 s[2:3], vcc
	s_cbranch_execnz .LBB43_13
.LBB43_11:
	s_endpgm
.LBB43_12:
	v_add_u32_e32 v1, 64, v0
	v_mov_b32_e32 v2, 0
	v_lshlrev_b64 v[3:4], 3, v[1:2]
	v_mov_b32_e32 v1, s1
	v_add_co_u32_e32 v3, vcc, s0, v3
	v_addc_co_u32_e32 v4, vcc, v1, v4, vcc
	v_mov_b32_e32 v1, v2
	global_store_dwordx2 v[3:4], v[1:2], off
	s_or_b64 exec, exec, s[2:3]
	v_cmp_gt_u32_e32 vcc, 64, v0
	s_and_saveexec_b64 s[2:3], vcc
	s_cbranch_execz .LBB43_11
.LBB43_13:
	v_mov_b32_e32 v1, 0
	v_lshlrev_b64 v[2:3], 3, v[0:1]
	v_mov_b32_e32 v0, s1
	v_add_co_u32_e32 v2, vcc, s0, v2
	v_addc_co_u32_e32 v3, vcc, v0, v3, vcc
	v_mov_b32_e32 v5, 0xff
	v_mov_b32_e32 v4, v1
	global_store_dwordx2 v[2:3], v[4:5], off
	s_endpgm
	.section	.rodata,"a",@progbits
	.p2align	6, 0x0
	.amdhsa_kernel _ZN7rocprim6detail31init_lookback_scan_state_kernelINS0_19lookback_scan_stateINS_5tupleIJ6__halfbEEELb1ELb1EEEEEvT_jjPNS7_10value_typeE
		.amdhsa_group_segment_fixed_size 0
		.amdhsa_private_segment_fixed_size 0
		.amdhsa_kernarg_size 280
		.amdhsa_user_sgpr_count 6
		.amdhsa_user_sgpr_private_segment_buffer 1
		.amdhsa_user_sgpr_dispatch_ptr 0
		.amdhsa_user_sgpr_queue_ptr 0
		.amdhsa_user_sgpr_kernarg_segment_ptr 1
		.amdhsa_user_sgpr_dispatch_id 0
		.amdhsa_user_sgpr_flat_scratch_init 0
		.amdhsa_user_sgpr_private_segment_size 0
		.amdhsa_uses_dynamic_stack 0
		.amdhsa_system_sgpr_private_segment_wavefront_offset 0
		.amdhsa_system_sgpr_workgroup_id_x 1
		.amdhsa_system_sgpr_workgroup_id_y 0
		.amdhsa_system_sgpr_workgroup_id_z 0
		.amdhsa_system_sgpr_workgroup_info 0
		.amdhsa_system_vgpr_workitem_id 0
		.amdhsa_next_free_vgpr 6
		.amdhsa_next_free_sgpr 12
		.amdhsa_reserve_vcc 1
		.amdhsa_reserve_flat_scratch 0
		.amdhsa_float_round_mode_32 0
		.amdhsa_float_round_mode_16_64 0
		.amdhsa_float_denorm_mode_32 3
		.amdhsa_float_denorm_mode_16_64 3
		.amdhsa_dx10_clamp 1
		.amdhsa_ieee_mode 1
		.amdhsa_fp16_overflow 0
		.amdhsa_exception_fp_ieee_invalid_op 0
		.amdhsa_exception_fp_denorm_src 0
		.amdhsa_exception_fp_ieee_div_zero 0
		.amdhsa_exception_fp_ieee_overflow 0
		.amdhsa_exception_fp_ieee_underflow 0
		.amdhsa_exception_fp_ieee_inexact 0
		.amdhsa_exception_int_div_zero 0
	.end_amdhsa_kernel
	.section	.text._ZN7rocprim6detail31init_lookback_scan_state_kernelINS0_19lookback_scan_stateINS_5tupleIJ6__halfbEEELb1ELb1EEEEEvT_jjPNS7_10value_typeE,"axG",@progbits,_ZN7rocprim6detail31init_lookback_scan_state_kernelINS0_19lookback_scan_stateINS_5tupleIJ6__halfbEEELb1ELb1EEEEEvT_jjPNS7_10value_typeE,comdat
.Lfunc_end43:
	.size	_ZN7rocprim6detail31init_lookback_scan_state_kernelINS0_19lookback_scan_stateINS_5tupleIJ6__halfbEEELb1ELb1EEEEEvT_jjPNS7_10value_typeE, .Lfunc_end43-_ZN7rocprim6detail31init_lookback_scan_state_kernelINS0_19lookback_scan_stateINS_5tupleIJ6__halfbEEELb1ELb1EEEEEvT_jjPNS7_10value_typeE
                                        ; -- End function
	.set _ZN7rocprim6detail31init_lookback_scan_state_kernelINS0_19lookback_scan_stateINS_5tupleIJ6__halfbEEELb1ELb1EEEEEvT_jjPNS7_10value_typeE.num_vgpr, 6
	.set _ZN7rocprim6detail31init_lookback_scan_state_kernelINS0_19lookback_scan_stateINS_5tupleIJ6__halfbEEELb1ELb1EEEEEvT_jjPNS7_10value_typeE.num_agpr, 0
	.set _ZN7rocprim6detail31init_lookback_scan_state_kernelINS0_19lookback_scan_stateINS_5tupleIJ6__halfbEEELb1ELb1EEEEEvT_jjPNS7_10value_typeE.numbered_sgpr, 12
	.set _ZN7rocprim6detail31init_lookback_scan_state_kernelINS0_19lookback_scan_stateINS_5tupleIJ6__halfbEEELb1ELb1EEEEEvT_jjPNS7_10value_typeE.num_named_barrier, 0
	.set _ZN7rocprim6detail31init_lookback_scan_state_kernelINS0_19lookback_scan_stateINS_5tupleIJ6__halfbEEELb1ELb1EEEEEvT_jjPNS7_10value_typeE.private_seg_size, 0
	.set _ZN7rocprim6detail31init_lookback_scan_state_kernelINS0_19lookback_scan_stateINS_5tupleIJ6__halfbEEELb1ELb1EEEEEvT_jjPNS7_10value_typeE.uses_vcc, 1
	.set _ZN7rocprim6detail31init_lookback_scan_state_kernelINS0_19lookback_scan_stateINS_5tupleIJ6__halfbEEELb1ELb1EEEEEvT_jjPNS7_10value_typeE.uses_flat_scratch, 0
	.set _ZN7rocprim6detail31init_lookback_scan_state_kernelINS0_19lookback_scan_stateINS_5tupleIJ6__halfbEEELb1ELb1EEEEEvT_jjPNS7_10value_typeE.has_dyn_sized_stack, 0
	.set _ZN7rocprim6detail31init_lookback_scan_state_kernelINS0_19lookback_scan_stateINS_5tupleIJ6__halfbEEELb1ELb1EEEEEvT_jjPNS7_10value_typeE.has_recursion, 0
	.set _ZN7rocprim6detail31init_lookback_scan_state_kernelINS0_19lookback_scan_stateINS_5tupleIJ6__halfbEEELb1ELb1EEEEEvT_jjPNS7_10value_typeE.has_indirect_call, 0
	.section	.AMDGPU.csdata,"",@progbits
; Kernel info:
; codeLenInByte = 352
; TotalNumSgprs: 16
; NumVgprs: 6
; ScratchSize: 0
; MemoryBound: 0
; FloatMode: 240
; IeeeMode: 1
; LDSByteSize: 0 bytes/workgroup (compile time only)
; SGPRBlocks: 1
; VGPRBlocks: 1
; NumSGPRsForWavesPerEU: 16
; NumVGPRsForWavesPerEU: 6
; Occupancy: 10
; WaveLimiterHint : 0
; COMPUTE_PGM_RSRC2:SCRATCH_EN: 0
; COMPUTE_PGM_RSRC2:USER_SGPR: 6
; COMPUTE_PGM_RSRC2:TRAP_HANDLER: 0
; COMPUTE_PGM_RSRC2:TGID_X_EN: 1
; COMPUTE_PGM_RSRC2:TGID_Y_EN: 0
; COMPUTE_PGM_RSRC2:TGID_Z_EN: 0
; COMPUTE_PGM_RSRC2:TIDIG_COMP_CNT: 0
	.section	.text._ZN7rocprim6detail31init_lookback_scan_state_kernelINS0_19lookback_scan_stateINS_5tupleIJ6__halfbEEELb0ELb1EEEEEvT_jjPNS7_10value_typeE,"axG",@progbits,_ZN7rocprim6detail31init_lookback_scan_state_kernelINS0_19lookback_scan_stateINS_5tupleIJ6__halfbEEELb0ELb1EEEEEvT_jjPNS7_10value_typeE,comdat
	.protected	_ZN7rocprim6detail31init_lookback_scan_state_kernelINS0_19lookback_scan_stateINS_5tupleIJ6__halfbEEELb0ELb1EEEEEvT_jjPNS7_10value_typeE ; -- Begin function _ZN7rocprim6detail31init_lookback_scan_state_kernelINS0_19lookback_scan_stateINS_5tupleIJ6__halfbEEELb0ELb1EEEEEvT_jjPNS7_10value_typeE
	.globl	_ZN7rocprim6detail31init_lookback_scan_state_kernelINS0_19lookback_scan_stateINS_5tupleIJ6__halfbEEELb0ELb1EEEEEvT_jjPNS7_10value_typeE
	.p2align	8
	.type	_ZN7rocprim6detail31init_lookback_scan_state_kernelINS0_19lookback_scan_stateINS_5tupleIJ6__halfbEEELb0ELb1EEEEEvT_jjPNS7_10value_typeE,@function
_ZN7rocprim6detail31init_lookback_scan_state_kernelINS0_19lookback_scan_stateINS_5tupleIJ6__halfbEEELb0ELb1EEEEEvT_jjPNS7_10value_typeE: ; @_ZN7rocprim6detail31init_lookback_scan_state_kernelINS0_19lookback_scan_stateINS_5tupleIJ6__halfbEEELb0ELb1EEEEEvT_jjPNS7_10value_typeE
; %bb.0:
	s_load_dword s7, s[4:5], 0x24
	s_load_dwordx2 s[8:9], s[4:5], 0x10
	s_load_dwordx4 s[0:3], s[4:5], 0x0
	s_waitcnt lgkmcnt(0)
	s_and_b32 s4, s7, 0xffff
	s_mul_i32 s6, s6, s4
	s_cmp_eq_u64 s[8:9], 0
	v_add_u32_e32 v0, s6, v0
	s_cbranch_scc1 .LBB44_6
; %bb.1:
	s_cmp_lt_u32 s3, s2
	s_cselect_b32 s4, s3, 0
	s_mov_b32 s7, 0
	v_cmp_eq_u32_e32 vcc, s4, v0
	s_and_saveexec_b64 s[4:5], vcc
	s_cbranch_execz .LBB44_5
; %bb.2:
	s_add_i32 s6, s3, 64
	s_lshl_b64 s[6:7], s[6:7], 3
	s_add_u32 s6, s0, s6
	s_addc_u32 s7, s1, s7
	v_mov_b32_e32 v3, 0
	global_load_dwordx2 v[1:2], v3, s[6:7] glc
	s_waitcnt vmcnt(0)
	v_and_b32_e32 v4, 0xff, v2
	v_cmp_ne_u64_e32 vcc, 0, v[3:4]
	s_cbranch_vccnz .LBB44_4
.LBB44_3:                               ; =>This Inner Loop Header: Depth=1
	global_load_dwordx2 v[1:2], v3, s[6:7] glc
	s_waitcnt vmcnt(0)
	v_and_b32_e32 v4, 0xff, v2
	v_cmp_eq_u64_e32 vcc, 0, v[3:4]
	s_cbranch_vccnz .LBB44_3
.LBB44_4:
	v_mov_b32_e32 v2, 0
	global_store_short v2, v1, s[8:9]
	global_store_byte_d16_hi v2, v1, s[8:9] offset:2
.LBB44_5:
	s_or_b64 exec, exec, s[4:5]
.LBB44_6:
	v_cmp_gt_u32_e32 vcc, s2, v0
	s_and_saveexec_b64 s[2:3], vcc
	s_cbranch_execnz .LBB44_9
; %bb.7:
	s_or_b64 exec, exec, s[2:3]
	v_cmp_gt_u32_e32 vcc, 64, v0
	s_and_saveexec_b64 s[2:3], vcc
	s_cbranch_execnz .LBB44_10
.LBB44_8:
	s_endpgm
.LBB44_9:
	v_add_u32_e32 v1, 64, v0
	v_mov_b32_e32 v2, 0
	v_lshlrev_b64 v[3:4], 3, v[1:2]
	v_mov_b32_e32 v1, s1
	v_add_co_u32_e32 v3, vcc, s0, v3
	v_addc_co_u32_e32 v4, vcc, v1, v4, vcc
	v_mov_b32_e32 v1, v2
	global_store_dwordx2 v[3:4], v[1:2], off
	s_or_b64 exec, exec, s[2:3]
	v_cmp_gt_u32_e32 vcc, 64, v0
	s_and_saveexec_b64 s[2:3], vcc
	s_cbranch_execz .LBB44_8
.LBB44_10:
	v_mov_b32_e32 v1, 0
	v_lshlrev_b64 v[2:3], 3, v[0:1]
	v_mov_b32_e32 v0, s1
	v_add_co_u32_e32 v2, vcc, s0, v2
	v_addc_co_u32_e32 v3, vcc, v0, v3, vcc
	v_mov_b32_e32 v5, 0xff
	v_mov_b32_e32 v4, v1
	global_store_dwordx2 v[2:3], v[4:5], off
	s_endpgm
	.section	.rodata,"a",@progbits
	.p2align	6, 0x0
	.amdhsa_kernel _ZN7rocprim6detail31init_lookback_scan_state_kernelINS0_19lookback_scan_stateINS_5tupleIJ6__halfbEEELb0ELb1EEEEEvT_jjPNS7_10value_typeE
		.amdhsa_group_segment_fixed_size 0
		.amdhsa_private_segment_fixed_size 0
		.amdhsa_kernarg_size 280
		.amdhsa_user_sgpr_count 6
		.amdhsa_user_sgpr_private_segment_buffer 1
		.amdhsa_user_sgpr_dispatch_ptr 0
		.amdhsa_user_sgpr_queue_ptr 0
		.amdhsa_user_sgpr_kernarg_segment_ptr 1
		.amdhsa_user_sgpr_dispatch_id 0
		.amdhsa_user_sgpr_flat_scratch_init 0
		.amdhsa_user_sgpr_private_segment_size 0
		.amdhsa_uses_dynamic_stack 0
		.amdhsa_system_sgpr_private_segment_wavefront_offset 0
		.amdhsa_system_sgpr_workgroup_id_x 1
		.amdhsa_system_sgpr_workgroup_id_y 0
		.amdhsa_system_sgpr_workgroup_id_z 0
		.amdhsa_system_sgpr_workgroup_info 0
		.amdhsa_system_vgpr_workitem_id 0
		.amdhsa_next_free_vgpr 6
		.amdhsa_next_free_sgpr 10
		.amdhsa_reserve_vcc 1
		.amdhsa_reserve_flat_scratch 0
		.amdhsa_float_round_mode_32 0
		.amdhsa_float_round_mode_16_64 0
		.amdhsa_float_denorm_mode_32 3
		.amdhsa_float_denorm_mode_16_64 3
		.amdhsa_dx10_clamp 1
		.amdhsa_ieee_mode 1
		.amdhsa_fp16_overflow 0
		.amdhsa_exception_fp_ieee_invalid_op 0
		.amdhsa_exception_fp_denorm_src 0
		.amdhsa_exception_fp_ieee_div_zero 0
		.amdhsa_exception_fp_ieee_overflow 0
		.amdhsa_exception_fp_ieee_underflow 0
		.amdhsa_exception_fp_ieee_inexact 0
		.amdhsa_exception_int_div_zero 0
	.end_amdhsa_kernel
	.section	.text._ZN7rocprim6detail31init_lookback_scan_state_kernelINS0_19lookback_scan_stateINS_5tupleIJ6__halfbEEELb0ELb1EEEEEvT_jjPNS7_10value_typeE,"axG",@progbits,_ZN7rocprim6detail31init_lookback_scan_state_kernelINS0_19lookback_scan_stateINS_5tupleIJ6__halfbEEELb0ELb1EEEEEvT_jjPNS7_10value_typeE,comdat
.Lfunc_end44:
	.size	_ZN7rocprim6detail31init_lookback_scan_state_kernelINS0_19lookback_scan_stateINS_5tupleIJ6__halfbEEELb0ELb1EEEEEvT_jjPNS7_10value_typeE, .Lfunc_end44-_ZN7rocprim6detail31init_lookback_scan_state_kernelINS0_19lookback_scan_stateINS_5tupleIJ6__halfbEEELb0ELb1EEEEEvT_jjPNS7_10value_typeE
                                        ; -- End function
	.set _ZN7rocprim6detail31init_lookback_scan_state_kernelINS0_19lookback_scan_stateINS_5tupleIJ6__halfbEEELb0ELb1EEEEEvT_jjPNS7_10value_typeE.num_vgpr, 6
	.set _ZN7rocprim6detail31init_lookback_scan_state_kernelINS0_19lookback_scan_stateINS_5tupleIJ6__halfbEEELb0ELb1EEEEEvT_jjPNS7_10value_typeE.num_agpr, 0
	.set _ZN7rocprim6detail31init_lookback_scan_state_kernelINS0_19lookback_scan_stateINS_5tupleIJ6__halfbEEELb0ELb1EEEEEvT_jjPNS7_10value_typeE.numbered_sgpr, 10
	.set _ZN7rocprim6detail31init_lookback_scan_state_kernelINS0_19lookback_scan_stateINS_5tupleIJ6__halfbEEELb0ELb1EEEEEvT_jjPNS7_10value_typeE.num_named_barrier, 0
	.set _ZN7rocprim6detail31init_lookback_scan_state_kernelINS0_19lookback_scan_stateINS_5tupleIJ6__halfbEEELb0ELb1EEEEEvT_jjPNS7_10value_typeE.private_seg_size, 0
	.set _ZN7rocprim6detail31init_lookback_scan_state_kernelINS0_19lookback_scan_stateINS_5tupleIJ6__halfbEEELb0ELb1EEEEEvT_jjPNS7_10value_typeE.uses_vcc, 1
	.set _ZN7rocprim6detail31init_lookback_scan_state_kernelINS0_19lookback_scan_stateINS_5tupleIJ6__halfbEEELb0ELb1EEEEEvT_jjPNS7_10value_typeE.uses_flat_scratch, 0
	.set _ZN7rocprim6detail31init_lookback_scan_state_kernelINS0_19lookback_scan_stateINS_5tupleIJ6__halfbEEELb0ELb1EEEEEvT_jjPNS7_10value_typeE.has_dyn_sized_stack, 0
	.set _ZN7rocprim6detail31init_lookback_scan_state_kernelINS0_19lookback_scan_stateINS_5tupleIJ6__halfbEEELb0ELb1EEEEEvT_jjPNS7_10value_typeE.has_recursion, 0
	.set _ZN7rocprim6detail31init_lookback_scan_state_kernelINS0_19lookback_scan_stateINS_5tupleIJ6__halfbEEELb0ELb1EEEEEvT_jjPNS7_10value_typeE.has_indirect_call, 0
	.section	.AMDGPU.csdata,"",@progbits
; Kernel info:
; codeLenInByte = 312
; TotalNumSgprs: 14
; NumVgprs: 6
; ScratchSize: 0
; MemoryBound: 0
; FloatMode: 240
; IeeeMode: 1
; LDSByteSize: 0 bytes/workgroup (compile time only)
; SGPRBlocks: 1
; VGPRBlocks: 1
; NumSGPRsForWavesPerEU: 14
; NumVGPRsForWavesPerEU: 6
; Occupancy: 10
; WaveLimiterHint : 0
; COMPUTE_PGM_RSRC2:SCRATCH_EN: 0
; COMPUTE_PGM_RSRC2:USER_SGPR: 6
; COMPUTE_PGM_RSRC2:TRAP_HANDLER: 0
; COMPUTE_PGM_RSRC2:TGID_X_EN: 1
; COMPUTE_PGM_RSRC2:TGID_Y_EN: 0
; COMPUTE_PGM_RSRC2:TGID_Z_EN: 0
; COMPUTE_PGM_RSRC2:TIDIG_COMP_CNT: 0
	.section	.text._ZN7rocprim6detail25device_scan_by_key_kernelILNS0_25lookback_scan_determinismE0ELb0ENS0_26wrapped_scan_by_key_configINS_14default_configEi6__halfEEPiN6hipcub22TransformInputIteratorIS5_NS8_6CastOpIS5_EEPS5_lEESC_S5_NS8_8EqualityENS8_3SumENS0_19lookback_scan_stateINS_5tupleIJS5_bEEELb1ELb1EEES5_EEvT2_T3_T4_T5_T6_T7_T8_mmmPKNSH_IJT9_bEEE,"axG",@progbits,_ZN7rocprim6detail25device_scan_by_key_kernelILNS0_25lookback_scan_determinismE0ELb0ENS0_26wrapped_scan_by_key_configINS_14default_configEi6__halfEEPiN6hipcub22TransformInputIteratorIS5_NS8_6CastOpIS5_EEPS5_lEESC_S5_NS8_8EqualityENS8_3SumENS0_19lookback_scan_stateINS_5tupleIJS5_bEEELb1ELb1EEES5_EEvT2_T3_T4_T5_T6_T7_T8_mmmPKNSH_IJT9_bEEE,comdat
	.protected	_ZN7rocprim6detail25device_scan_by_key_kernelILNS0_25lookback_scan_determinismE0ELb0ENS0_26wrapped_scan_by_key_configINS_14default_configEi6__halfEEPiN6hipcub22TransformInputIteratorIS5_NS8_6CastOpIS5_EEPS5_lEESC_S5_NS8_8EqualityENS8_3SumENS0_19lookback_scan_stateINS_5tupleIJS5_bEEELb1ELb1EEES5_EEvT2_T3_T4_T5_T6_T7_T8_mmmPKNSH_IJT9_bEEE ; -- Begin function _ZN7rocprim6detail25device_scan_by_key_kernelILNS0_25lookback_scan_determinismE0ELb0ENS0_26wrapped_scan_by_key_configINS_14default_configEi6__halfEEPiN6hipcub22TransformInputIteratorIS5_NS8_6CastOpIS5_EEPS5_lEESC_S5_NS8_8EqualityENS8_3SumENS0_19lookback_scan_stateINS_5tupleIJS5_bEEELb1ELb1EEES5_EEvT2_T3_T4_T5_T6_T7_T8_mmmPKNSH_IJT9_bEEE
	.globl	_ZN7rocprim6detail25device_scan_by_key_kernelILNS0_25lookback_scan_determinismE0ELb0ENS0_26wrapped_scan_by_key_configINS_14default_configEi6__halfEEPiN6hipcub22TransformInputIteratorIS5_NS8_6CastOpIS5_EEPS5_lEESC_S5_NS8_8EqualityENS8_3SumENS0_19lookback_scan_stateINS_5tupleIJS5_bEEELb1ELb1EEES5_EEvT2_T3_T4_T5_T6_T7_T8_mmmPKNSH_IJT9_bEEE
	.p2align	8
	.type	_ZN7rocprim6detail25device_scan_by_key_kernelILNS0_25lookback_scan_determinismE0ELb0ENS0_26wrapped_scan_by_key_configINS_14default_configEi6__halfEEPiN6hipcub22TransformInputIteratorIS5_NS8_6CastOpIS5_EEPS5_lEESC_S5_NS8_8EqualityENS8_3SumENS0_19lookback_scan_stateINS_5tupleIJS5_bEEELb1ELb1EEES5_EEvT2_T3_T4_T5_T6_T7_T8_mmmPKNSH_IJT9_bEEE,@function
_ZN7rocprim6detail25device_scan_by_key_kernelILNS0_25lookback_scan_determinismE0ELb0ENS0_26wrapped_scan_by_key_configINS_14default_configEi6__halfEEPiN6hipcub22TransformInputIteratorIS5_NS8_6CastOpIS5_EEPS5_lEESC_S5_NS8_8EqualityENS8_3SumENS0_19lookback_scan_stateINS_5tupleIJS5_bEEELb1ELb1EEES5_EEvT2_T3_T4_T5_T6_T7_T8_mmmPKNSH_IJT9_bEEE: ; @_ZN7rocprim6detail25device_scan_by_key_kernelILNS0_25lookback_scan_determinismE0ELb0ENS0_26wrapped_scan_by_key_configINS_14default_configEi6__halfEEPiN6hipcub22TransformInputIteratorIS5_NS8_6CastOpIS5_EEPS5_lEESC_S5_NS8_8EqualityENS8_3SumENS0_19lookback_scan_stateINS_5tupleIJS5_bEEELb1ELb1EEES5_EEvT2_T3_T4_T5_T6_T7_T8_mmmPKNSH_IJT9_bEEE
; %bb.0:
	s_endpgm
	.section	.rodata,"a",@progbits
	.p2align	6, 0x0
	.amdhsa_kernel _ZN7rocprim6detail25device_scan_by_key_kernelILNS0_25lookback_scan_determinismE0ELb0ENS0_26wrapped_scan_by_key_configINS_14default_configEi6__halfEEPiN6hipcub22TransformInputIteratorIS5_NS8_6CastOpIS5_EEPS5_lEESC_S5_NS8_8EqualityENS8_3SumENS0_19lookback_scan_stateINS_5tupleIJS5_bEEELb1ELb1EEES5_EEvT2_T3_T4_T5_T6_T7_T8_mmmPKNSH_IJT9_bEEE
		.amdhsa_group_segment_fixed_size 0
		.amdhsa_private_segment_fixed_size 0
		.amdhsa_kernarg_size 80
		.amdhsa_user_sgpr_count 6
		.amdhsa_user_sgpr_private_segment_buffer 1
		.amdhsa_user_sgpr_dispatch_ptr 0
		.amdhsa_user_sgpr_queue_ptr 0
		.amdhsa_user_sgpr_kernarg_segment_ptr 1
		.amdhsa_user_sgpr_dispatch_id 0
		.amdhsa_user_sgpr_flat_scratch_init 0
		.amdhsa_user_sgpr_private_segment_size 0
		.amdhsa_uses_dynamic_stack 0
		.amdhsa_system_sgpr_private_segment_wavefront_offset 0
		.amdhsa_system_sgpr_workgroup_id_x 1
		.amdhsa_system_sgpr_workgroup_id_y 0
		.amdhsa_system_sgpr_workgroup_id_z 0
		.amdhsa_system_sgpr_workgroup_info 0
		.amdhsa_system_vgpr_workitem_id 0
		.amdhsa_next_free_vgpr 1
		.amdhsa_next_free_sgpr 0
		.amdhsa_reserve_vcc 0
		.amdhsa_reserve_flat_scratch 0
		.amdhsa_float_round_mode_32 0
		.amdhsa_float_round_mode_16_64 0
		.amdhsa_float_denorm_mode_32 3
		.amdhsa_float_denorm_mode_16_64 3
		.amdhsa_dx10_clamp 1
		.amdhsa_ieee_mode 1
		.amdhsa_fp16_overflow 0
		.amdhsa_exception_fp_ieee_invalid_op 0
		.amdhsa_exception_fp_denorm_src 0
		.amdhsa_exception_fp_ieee_div_zero 0
		.amdhsa_exception_fp_ieee_overflow 0
		.amdhsa_exception_fp_ieee_underflow 0
		.amdhsa_exception_fp_ieee_inexact 0
		.amdhsa_exception_int_div_zero 0
	.end_amdhsa_kernel
	.section	.text._ZN7rocprim6detail25device_scan_by_key_kernelILNS0_25lookback_scan_determinismE0ELb0ENS0_26wrapped_scan_by_key_configINS_14default_configEi6__halfEEPiN6hipcub22TransformInputIteratorIS5_NS8_6CastOpIS5_EEPS5_lEESC_S5_NS8_8EqualityENS8_3SumENS0_19lookback_scan_stateINS_5tupleIJS5_bEEELb1ELb1EEES5_EEvT2_T3_T4_T5_T6_T7_T8_mmmPKNSH_IJT9_bEEE,"axG",@progbits,_ZN7rocprim6detail25device_scan_by_key_kernelILNS0_25lookback_scan_determinismE0ELb0ENS0_26wrapped_scan_by_key_configINS_14default_configEi6__halfEEPiN6hipcub22TransformInputIteratorIS5_NS8_6CastOpIS5_EEPS5_lEESC_S5_NS8_8EqualityENS8_3SumENS0_19lookback_scan_stateINS_5tupleIJS5_bEEELb1ELb1EEES5_EEvT2_T3_T4_T5_T6_T7_T8_mmmPKNSH_IJT9_bEEE,comdat
.Lfunc_end45:
	.size	_ZN7rocprim6detail25device_scan_by_key_kernelILNS0_25lookback_scan_determinismE0ELb0ENS0_26wrapped_scan_by_key_configINS_14default_configEi6__halfEEPiN6hipcub22TransformInputIteratorIS5_NS8_6CastOpIS5_EEPS5_lEESC_S5_NS8_8EqualityENS8_3SumENS0_19lookback_scan_stateINS_5tupleIJS5_bEEELb1ELb1EEES5_EEvT2_T3_T4_T5_T6_T7_T8_mmmPKNSH_IJT9_bEEE, .Lfunc_end45-_ZN7rocprim6detail25device_scan_by_key_kernelILNS0_25lookback_scan_determinismE0ELb0ENS0_26wrapped_scan_by_key_configINS_14default_configEi6__halfEEPiN6hipcub22TransformInputIteratorIS5_NS8_6CastOpIS5_EEPS5_lEESC_S5_NS8_8EqualityENS8_3SumENS0_19lookback_scan_stateINS_5tupleIJS5_bEEELb1ELb1EEES5_EEvT2_T3_T4_T5_T6_T7_T8_mmmPKNSH_IJT9_bEEE
                                        ; -- End function
	.set _ZN7rocprim6detail25device_scan_by_key_kernelILNS0_25lookback_scan_determinismE0ELb0ENS0_26wrapped_scan_by_key_configINS_14default_configEi6__halfEEPiN6hipcub22TransformInputIteratorIS5_NS8_6CastOpIS5_EEPS5_lEESC_S5_NS8_8EqualityENS8_3SumENS0_19lookback_scan_stateINS_5tupleIJS5_bEEELb1ELb1EEES5_EEvT2_T3_T4_T5_T6_T7_T8_mmmPKNSH_IJT9_bEEE.num_vgpr, 0
	.set _ZN7rocprim6detail25device_scan_by_key_kernelILNS0_25lookback_scan_determinismE0ELb0ENS0_26wrapped_scan_by_key_configINS_14default_configEi6__halfEEPiN6hipcub22TransformInputIteratorIS5_NS8_6CastOpIS5_EEPS5_lEESC_S5_NS8_8EqualityENS8_3SumENS0_19lookback_scan_stateINS_5tupleIJS5_bEEELb1ELb1EEES5_EEvT2_T3_T4_T5_T6_T7_T8_mmmPKNSH_IJT9_bEEE.num_agpr, 0
	.set _ZN7rocprim6detail25device_scan_by_key_kernelILNS0_25lookback_scan_determinismE0ELb0ENS0_26wrapped_scan_by_key_configINS_14default_configEi6__halfEEPiN6hipcub22TransformInputIteratorIS5_NS8_6CastOpIS5_EEPS5_lEESC_S5_NS8_8EqualityENS8_3SumENS0_19lookback_scan_stateINS_5tupleIJS5_bEEELb1ELb1EEES5_EEvT2_T3_T4_T5_T6_T7_T8_mmmPKNSH_IJT9_bEEE.numbered_sgpr, 0
	.set _ZN7rocprim6detail25device_scan_by_key_kernelILNS0_25lookback_scan_determinismE0ELb0ENS0_26wrapped_scan_by_key_configINS_14default_configEi6__halfEEPiN6hipcub22TransformInputIteratorIS5_NS8_6CastOpIS5_EEPS5_lEESC_S5_NS8_8EqualityENS8_3SumENS0_19lookback_scan_stateINS_5tupleIJS5_bEEELb1ELb1EEES5_EEvT2_T3_T4_T5_T6_T7_T8_mmmPKNSH_IJT9_bEEE.num_named_barrier, 0
	.set _ZN7rocprim6detail25device_scan_by_key_kernelILNS0_25lookback_scan_determinismE0ELb0ENS0_26wrapped_scan_by_key_configINS_14default_configEi6__halfEEPiN6hipcub22TransformInputIteratorIS5_NS8_6CastOpIS5_EEPS5_lEESC_S5_NS8_8EqualityENS8_3SumENS0_19lookback_scan_stateINS_5tupleIJS5_bEEELb1ELb1EEES5_EEvT2_T3_T4_T5_T6_T7_T8_mmmPKNSH_IJT9_bEEE.private_seg_size, 0
	.set _ZN7rocprim6detail25device_scan_by_key_kernelILNS0_25lookback_scan_determinismE0ELb0ENS0_26wrapped_scan_by_key_configINS_14default_configEi6__halfEEPiN6hipcub22TransformInputIteratorIS5_NS8_6CastOpIS5_EEPS5_lEESC_S5_NS8_8EqualityENS8_3SumENS0_19lookback_scan_stateINS_5tupleIJS5_bEEELb1ELb1EEES5_EEvT2_T3_T4_T5_T6_T7_T8_mmmPKNSH_IJT9_bEEE.uses_vcc, 0
	.set _ZN7rocprim6detail25device_scan_by_key_kernelILNS0_25lookback_scan_determinismE0ELb0ENS0_26wrapped_scan_by_key_configINS_14default_configEi6__halfEEPiN6hipcub22TransformInputIteratorIS5_NS8_6CastOpIS5_EEPS5_lEESC_S5_NS8_8EqualityENS8_3SumENS0_19lookback_scan_stateINS_5tupleIJS5_bEEELb1ELb1EEES5_EEvT2_T3_T4_T5_T6_T7_T8_mmmPKNSH_IJT9_bEEE.uses_flat_scratch, 0
	.set _ZN7rocprim6detail25device_scan_by_key_kernelILNS0_25lookback_scan_determinismE0ELb0ENS0_26wrapped_scan_by_key_configINS_14default_configEi6__halfEEPiN6hipcub22TransformInputIteratorIS5_NS8_6CastOpIS5_EEPS5_lEESC_S5_NS8_8EqualityENS8_3SumENS0_19lookback_scan_stateINS_5tupleIJS5_bEEELb1ELb1EEES5_EEvT2_T3_T4_T5_T6_T7_T8_mmmPKNSH_IJT9_bEEE.has_dyn_sized_stack, 0
	.set _ZN7rocprim6detail25device_scan_by_key_kernelILNS0_25lookback_scan_determinismE0ELb0ENS0_26wrapped_scan_by_key_configINS_14default_configEi6__halfEEPiN6hipcub22TransformInputIteratorIS5_NS8_6CastOpIS5_EEPS5_lEESC_S5_NS8_8EqualityENS8_3SumENS0_19lookback_scan_stateINS_5tupleIJS5_bEEELb1ELb1EEES5_EEvT2_T3_T4_T5_T6_T7_T8_mmmPKNSH_IJT9_bEEE.has_recursion, 0
	.set _ZN7rocprim6detail25device_scan_by_key_kernelILNS0_25lookback_scan_determinismE0ELb0ENS0_26wrapped_scan_by_key_configINS_14default_configEi6__halfEEPiN6hipcub22TransformInputIteratorIS5_NS8_6CastOpIS5_EEPS5_lEESC_S5_NS8_8EqualityENS8_3SumENS0_19lookback_scan_stateINS_5tupleIJS5_bEEELb1ELb1EEES5_EEvT2_T3_T4_T5_T6_T7_T8_mmmPKNSH_IJT9_bEEE.has_indirect_call, 0
	.section	.AMDGPU.csdata,"",@progbits
; Kernel info:
; codeLenInByte = 4
; TotalNumSgprs: 4
; NumVgprs: 0
; ScratchSize: 0
; MemoryBound: 0
; FloatMode: 240
; IeeeMode: 1
; LDSByteSize: 0 bytes/workgroup (compile time only)
; SGPRBlocks: 0
; VGPRBlocks: 0
; NumSGPRsForWavesPerEU: 4
; NumVGPRsForWavesPerEU: 1
; Occupancy: 10
; WaveLimiterHint : 0
; COMPUTE_PGM_RSRC2:SCRATCH_EN: 0
; COMPUTE_PGM_RSRC2:USER_SGPR: 6
; COMPUTE_PGM_RSRC2:TRAP_HANDLER: 0
; COMPUTE_PGM_RSRC2:TGID_X_EN: 1
; COMPUTE_PGM_RSRC2:TGID_Y_EN: 0
; COMPUTE_PGM_RSRC2:TGID_Z_EN: 0
; COMPUTE_PGM_RSRC2:TIDIG_COMP_CNT: 0
	.section	.text._ZN7rocprim6detail25device_scan_by_key_kernelILNS0_25lookback_scan_determinismE0ELb0ENS0_26wrapped_scan_by_key_configINS_14default_configEi6__halfEEPiN6hipcub22TransformInputIteratorIS5_NS8_6CastOpIS5_EEPS5_lEESC_S5_NS8_8EqualityENS8_3SumENS0_19lookback_scan_stateINS_5tupleIJS5_bEEELb0ELb1EEES5_EEvT2_T3_T4_T5_T6_T7_T8_mmmPKNSH_IJT9_bEEE,"axG",@progbits,_ZN7rocprim6detail25device_scan_by_key_kernelILNS0_25lookback_scan_determinismE0ELb0ENS0_26wrapped_scan_by_key_configINS_14default_configEi6__halfEEPiN6hipcub22TransformInputIteratorIS5_NS8_6CastOpIS5_EEPS5_lEESC_S5_NS8_8EqualityENS8_3SumENS0_19lookback_scan_stateINS_5tupleIJS5_bEEELb0ELb1EEES5_EEvT2_T3_T4_T5_T6_T7_T8_mmmPKNSH_IJT9_bEEE,comdat
	.protected	_ZN7rocprim6detail25device_scan_by_key_kernelILNS0_25lookback_scan_determinismE0ELb0ENS0_26wrapped_scan_by_key_configINS_14default_configEi6__halfEEPiN6hipcub22TransformInputIteratorIS5_NS8_6CastOpIS5_EEPS5_lEESC_S5_NS8_8EqualityENS8_3SumENS0_19lookback_scan_stateINS_5tupleIJS5_bEEELb0ELb1EEES5_EEvT2_T3_T4_T5_T6_T7_T8_mmmPKNSH_IJT9_bEEE ; -- Begin function _ZN7rocprim6detail25device_scan_by_key_kernelILNS0_25lookback_scan_determinismE0ELb0ENS0_26wrapped_scan_by_key_configINS_14default_configEi6__halfEEPiN6hipcub22TransformInputIteratorIS5_NS8_6CastOpIS5_EEPS5_lEESC_S5_NS8_8EqualityENS8_3SumENS0_19lookback_scan_stateINS_5tupleIJS5_bEEELb0ELb1EEES5_EEvT2_T3_T4_T5_T6_T7_T8_mmmPKNSH_IJT9_bEEE
	.globl	_ZN7rocprim6detail25device_scan_by_key_kernelILNS0_25lookback_scan_determinismE0ELb0ENS0_26wrapped_scan_by_key_configINS_14default_configEi6__halfEEPiN6hipcub22TransformInputIteratorIS5_NS8_6CastOpIS5_EEPS5_lEESC_S5_NS8_8EqualityENS8_3SumENS0_19lookback_scan_stateINS_5tupleIJS5_bEEELb0ELb1EEES5_EEvT2_T3_T4_T5_T6_T7_T8_mmmPKNSH_IJT9_bEEE
	.p2align	8
	.type	_ZN7rocprim6detail25device_scan_by_key_kernelILNS0_25lookback_scan_determinismE0ELb0ENS0_26wrapped_scan_by_key_configINS_14default_configEi6__halfEEPiN6hipcub22TransformInputIteratorIS5_NS8_6CastOpIS5_EEPS5_lEESC_S5_NS8_8EqualityENS8_3SumENS0_19lookback_scan_stateINS_5tupleIJS5_bEEELb0ELb1EEES5_EEvT2_T3_T4_T5_T6_T7_T8_mmmPKNSH_IJT9_bEEE,@function
_ZN7rocprim6detail25device_scan_by_key_kernelILNS0_25lookback_scan_determinismE0ELb0ENS0_26wrapped_scan_by_key_configINS_14default_configEi6__halfEEPiN6hipcub22TransformInputIteratorIS5_NS8_6CastOpIS5_EEPS5_lEESC_S5_NS8_8EqualityENS8_3SumENS0_19lookback_scan_stateINS_5tupleIJS5_bEEELb0ELb1EEES5_EEvT2_T3_T4_T5_T6_T7_T8_mmmPKNSH_IJT9_bEEE: ; @_ZN7rocprim6detail25device_scan_by_key_kernelILNS0_25lookback_scan_determinismE0ELb0ENS0_26wrapped_scan_by_key_configINS_14default_configEi6__halfEEPiN6hipcub22TransformInputIteratorIS5_NS8_6CastOpIS5_EEPS5_lEESC_S5_NS8_8EqualityENS8_3SumENS0_19lookback_scan_stateINS_5tupleIJS5_bEEELb0ELb1EEES5_EEvT2_T3_T4_T5_T6_T7_T8_mmmPKNSH_IJT9_bEEE
; %bb.0:
	s_load_dwordx4 s[0:3], s[4:5], 0x0
	s_load_dwordx8 s[40:47], s[4:5], 0x28
	s_load_dwordx2 s[48:49], s[4:5], 0x48
	s_mul_i32 s8, s6, 0xe00
	s_mov_b32 s9, 0
	s_lshl_b64 s[10:11], s[8:9], 2
	s_waitcnt lgkmcnt(0)
	s_add_u32 s50, s0, s10
	s_addc_u32 s51, s1, s11
	s_lshl_b64 s[38:39], s[8:9], 1
	s_add_u32 s36, s2, s38
	s_addc_u32 s37, s3, s39
	s_add_u32 s0, s44, s6
	s_addc_u32 s1, s45, 0
	s_add_u32 s2, s46, -1
	s_addc_u32 s3, s47, -1
	v_mov_b32_e32 v1, s2
	v_mov_b32_e32 v2, s3
	v_cmp_ge_u64_e64 s[0:1], s[0:1], v[1:2]
	s_mov_b64 s[22:23], -1
	s_and_b64 vcc, exec, s[0:1]
	s_mul_i32 s33, s2, 0xfffff200
	s_cbranch_vccz .LBB46_74
; %bb.1:
	s_load_dword s43, s[50:51], 0x0
	v_lshlrev_b32_e32 v3, 2, v0
	s_add_i32 s7, s33, s42
	v_mov_b32_e32 v2, s51
	v_add_co_u32_e32 v1, vcc, s50, v3
	v_addc_co_u32_e32 v2, vcc, 0, v2, vcc
	v_cmp_gt_u32_e64 s[2:3], s7, v0
	s_waitcnt lgkmcnt(0)
	v_mov_b32_e32 v4, s43
	s_and_saveexec_b64 s[8:9], s[2:3]
	s_cbranch_execz .LBB46_3
; %bb.2:
	global_load_dword v4, v[1:2], off
.LBB46_3:
	s_or_b64 exec, exec, s[8:9]
	v_or_b32_e32 v5, 0x100, v0
	v_cmp_gt_u32_e64 s[34:35], s7, v5
	v_mov_b32_e32 v5, s43
	s_and_saveexec_b64 s[8:9], s[34:35]
	s_cbranch_execz .LBB46_5
; %bb.4:
	global_load_dword v5, v[1:2], off offset:1024
.LBB46_5:
	s_or_b64 exec, exec, s[8:9]
	v_or_b32_e32 v6, 0x200, v0
	v_cmp_gt_u32_e64 s[8:9], s7, v6
	v_mov_b32_e32 v6, s43
	s_and_saveexec_b64 s[10:11], s[8:9]
	s_cbranch_execz .LBB46_7
; %bb.6:
	global_load_dword v6, v[1:2], off offset:2048
.LBB46_7:
	;; [unrolled: 9-line block ×3, first 2 shown]
	s_or_b64 exec, exec, s[12:13]
	v_or_b32_e32 v8, 0x400, v0
	v_cmp_gt_u32_e64 s[12:13], s7, v8
	v_mov_b32_e32 v8, s43
	s_and_saveexec_b64 s[14:15], s[12:13]
	s_cbranch_execz .LBB46_11
; %bb.10:
	v_add_co_u32_e32 v8, vcc, 0x1000, v1
	v_addc_co_u32_e32 v9, vcc, 0, v2, vcc
	global_load_dword v8, v[8:9], off
.LBB46_11:
	s_or_b64 exec, exec, s[14:15]
	v_or_b32_e32 v9, 0x500, v0
	v_cmp_gt_u32_e64 s[14:15], s7, v9
	v_mov_b32_e32 v9, s43
	s_and_saveexec_b64 s[16:17], s[14:15]
	s_cbranch_execz .LBB46_13
; %bb.12:
	v_add_co_u32_e32 v9, vcc, 0x1000, v1
	v_addc_co_u32_e32 v10, vcc, 0, v2, vcc
	global_load_dword v9, v[9:10], off offset:1024
.LBB46_13:
	s_or_b64 exec, exec, s[16:17]
	v_or_b32_e32 v10, 0x600, v0
	v_cmp_gt_u32_e64 s[16:17], s7, v10
	v_mov_b32_e32 v10, s43
	s_and_saveexec_b64 s[18:19], s[16:17]
	s_cbranch_execz .LBB46_15
; %bb.14:
	v_add_co_u32_e32 v10, vcc, 0x1000, v1
	v_addc_co_u32_e32 v11, vcc, 0, v2, vcc
	global_load_dword v10, v[10:11], off offset:2048
.LBB46_15:
	;; [unrolled: 11-line block ×3, first 2 shown]
	s_or_b64 exec, exec, s[20:21]
	v_or_b32_e32 v12, 0x800, v0
	v_cmp_gt_u32_e64 s[20:21], s7, v12
	v_mov_b32_e32 v12, s43
	s_and_saveexec_b64 s[22:23], s[20:21]
	s_cbranch_execz .LBB46_19
; %bb.18:
	v_add_co_u32_e32 v12, vcc, 0x2000, v1
	v_addc_co_u32_e32 v13, vcc, 0, v2, vcc
	global_load_dword v12, v[12:13], off
.LBB46_19:
	s_or_b64 exec, exec, s[22:23]
	v_or_b32_e32 v13, 0x900, v0
	v_cmp_gt_u32_e64 s[22:23], s7, v13
	v_mov_b32_e32 v13, s43
	s_and_saveexec_b64 s[24:25], s[22:23]
	s_cbranch_execz .LBB46_21
; %bb.20:
	v_add_co_u32_e32 v13, vcc, 0x2000, v1
	v_addc_co_u32_e32 v14, vcc, 0, v2, vcc
	global_load_dword v13, v[13:14], off offset:1024
.LBB46_21:
	s_or_b64 exec, exec, s[24:25]
	v_or_b32_e32 v14, 0xa00, v0
	v_cmp_gt_u32_e64 s[24:25], s7, v14
	v_mov_b32_e32 v14, s43
	s_and_saveexec_b64 s[26:27], s[24:25]
	s_cbranch_execz .LBB46_23
; %bb.22:
	v_add_co_u32_e32 v14, vcc, 0x2000, v1
	v_addc_co_u32_e32 v15, vcc, 0, v2, vcc
	global_load_dword v14, v[14:15], off offset:2048
.LBB46_23:
	;; [unrolled: 11-line block ×3, first 2 shown]
	s_or_b64 exec, exec, s[28:29]
	v_or_b32_e32 v16, 0xc00, v0
	v_cmp_gt_u32_e64 s[28:29], s7, v16
	v_mov_b32_e32 v16, s43
	s_and_saveexec_b64 s[30:31], s[28:29]
	s_cbranch_execz .LBB46_27
; %bb.26:
	v_add_co_u32_e32 v16, vcc, 0x3000, v1
	v_addc_co_u32_e32 v17, vcc, 0, v2, vcc
	global_load_dword v16, v[16:17], off
.LBB46_27:
	s_or_b64 exec, exec, s[30:31]
	v_or_b32_e32 v17, 0xd00, v0
	v_cmp_gt_u32_e64 s[30:31], s7, v17
	v_mov_b32_e32 v17, s43
	s_and_saveexec_b64 s[46:47], s[30:31]
	s_cbranch_execz .LBB46_29
; %bb.28:
	v_add_co_u32_e32 v1, vcc, 0x3000, v1
	v_addc_co_u32_e32 v2, vcc, 0, v2, vcc
	global_load_dword v17, v[1:2], off offset:1024
.LBB46_29:
	s_or_b64 exec, exec, s[46:47]
	s_sub_u32 s46, 0, s6
	s_subb_u32 s47, 0, 0
	s_cmp_eq_u64 s[44:45], s[46:47]
	s_cselect_b32 s46, 0, -4
	s_cselect_b32 s43, 0, -1
	s_add_u32 s46, s50, s46
	s_addc_u32 s47, s51, s43
	s_waitcnt vmcnt(0)
	ds_write2st64_b32 v3, v4, v5 offset1:4
	ds_write2st64_b32 v3, v6, v7 offset0:8 offset1:12
	ds_write2st64_b32 v3, v8, v9 offset0:16 offset1:20
	;; [unrolled: 1-line block ×6, first 2 shown]
	s_waitcnt lgkmcnt(0)
	s_barrier
	s_load_dword s43, s[46:47], 0x0
	v_mad_u32_u24 v1, v0, 52, v3
	s_movk_i32 s46, 0xffcc
	v_mad_i32_i24 v4, v0, s46, v1
	v_cmp_ne_u32_e32 vcc, 0, v0
	s_waitcnt lgkmcnt(0)
	v_mov_b32_e32 v3, s43
	ds_read_b32 v65, v1 offset:52
	ds_read2_b32 v[26:27], v1 offset0:11 offset1:12
	ds_read2_b64 v[5:8], v1 offset0:4 offset1:5
	ds_read2_b32 v[28:29], v1 offset0:9 offset1:10
	ds_read2_b64 v[13:16], v1 offset0:2 offset1:3
	ds_read2_b64 v[9:12], v1 offset1:1
	s_waitcnt lgkmcnt(5)
	ds_write_b32 v4, v65 offset:14336
	s_waitcnt lgkmcnt(0)
	s_barrier
	s_and_saveexec_b64 s[46:47], vcc
; %bb.30:
	ds_read_b32 v3, v4 offset:14332
; %bb.31:
	s_or_b64 exec, exec, s[46:47]
	v_lshlrev_b32_e32 v17, 1, v0
	v_mov_b32_e32 v2, s37
	v_add_co_u32_e32 v1, vcc, s36, v17
	v_addc_co_u32_e32 v2, vcc, 0, v2, vcc
	s_waitcnt lgkmcnt(0)
	s_barrier
                                        ; implicit-def: $vgpr18
	s_and_saveexec_b64 s[46:47], s[2:3]
	s_cbranch_execz .LBB46_142
; %bb.32:
	global_load_ushort v18, v[1:2], off
	s_or_b64 exec, exec, s[46:47]
                                        ; implicit-def: $vgpr19
	s_and_saveexec_b64 s[2:3], s[34:35]
	s_cbranch_execnz .LBB46_143
.LBB46_33:
	s_or_b64 exec, exec, s[2:3]
                                        ; implicit-def: $vgpr20
	s_and_saveexec_b64 s[2:3], s[8:9]
	s_cbranch_execz .LBB46_144
.LBB46_34:
	global_load_ushort v20, v[1:2], off offset:1024
	s_or_b64 exec, exec, s[2:3]
                                        ; implicit-def: $vgpr21
	s_and_saveexec_b64 s[2:3], s[10:11]
	s_cbranch_execnz .LBB46_145
.LBB46_35:
	s_or_b64 exec, exec, s[2:3]
                                        ; implicit-def: $vgpr22
	s_and_saveexec_b64 s[2:3], s[12:13]
	s_cbranch_execz .LBB46_146
.LBB46_36:
	global_load_ushort v22, v[1:2], off offset:2048
	s_or_b64 exec, exec, s[2:3]
                                        ; implicit-def: $vgpr23
	s_and_saveexec_b64 s[2:3], s[14:15]
	s_cbranch_execnz .LBB46_147
.LBB46_37:
	s_or_b64 exec, exec, s[2:3]
                                        ; implicit-def: $vgpr24
	s_and_saveexec_b64 s[2:3], s[16:17]
	s_cbranch_execz .LBB46_148
.LBB46_38:
	global_load_ushort v24, v[1:2], off offset:3072
	s_or_b64 exec, exec, s[2:3]
                                        ; implicit-def: $vgpr25
	s_and_saveexec_b64 s[2:3], s[18:19]
	s_cbranch_execnz .LBB46_149
.LBB46_39:
	s_or_b64 exec, exec, s[2:3]
                                        ; implicit-def: $vgpr30
	s_and_saveexec_b64 s[2:3], s[20:21]
	s_cbranch_execz .LBB46_150
.LBB46_40:
	v_add_co_u32_e32 v30, vcc, 0x1000, v1
	v_addc_co_u32_e32 v31, vcc, 0, v2, vcc
	global_load_ushort v30, v[30:31], off
	s_or_b64 exec, exec, s[2:3]
                                        ; implicit-def: $vgpr31
	s_and_saveexec_b64 s[2:3], s[22:23]
	s_cbranch_execnz .LBB46_151
.LBB46_41:
	s_or_b64 exec, exec, s[2:3]
                                        ; implicit-def: $vgpr32
	s_and_saveexec_b64 s[2:3], s[24:25]
	s_cbranch_execz .LBB46_152
.LBB46_42:
	v_add_co_u32_e32 v32, vcc, 0x1000, v1
	v_addc_co_u32_e32 v33, vcc, 0, v2, vcc
	global_load_ushort v32, v[32:33], off offset:1024
	s_or_b64 exec, exec, s[2:3]
                                        ; implicit-def: $vgpr33
	s_and_saveexec_b64 s[2:3], s[26:27]
	s_cbranch_execnz .LBB46_153
.LBB46_43:
	s_or_b64 exec, exec, s[2:3]
                                        ; implicit-def: $vgpr34
	s_and_saveexec_b64 s[2:3], s[28:29]
	s_cbranch_execz .LBB46_45
.LBB46_44:
	v_add_co_u32_e32 v34, vcc, 0x1000, v1
	v_addc_co_u32_e32 v35, vcc, 0, v2, vcc
	global_load_ushort v34, v[34:35], off offset:2048
.LBB46_45:
	s_or_b64 exec, exec, s[2:3]
	v_mul_u32_u24_e32 v67, 14, v0
                                        ; implicit-def: $vgpr35
	s_and_saveexec_b64 s[2:3], s[30:31]
	s_cbranch_execz .LBB46_47
; %bb.46:
	v_add_co_u32_e32 v1, vcc, 0x1000, v1
	v_addc_co_u32_e32 v2, vcc, 0, v2, vcc
	global_load_ushort v35, v[1:2], off offset:2560
.LBB46_47:
	s_or_b64 exec, exec, s[2:3]
	v_sub_u32_e32 v4, v4, v17
	s_waitcnt vmcnt(0)
	ds_write_b16 v4, v18
	ds_write_b16 v4, v19 offset:512
	ds_write_b16 v4, v20 offset:1024
	;; [unrolled: 1-line block ×13, first 2 shown]
	v_cmp_gt_u32_e32 vcc, s7, v67
	v_mov_b32_e32 v54, 0
	s_mov_b64 s[22:23], 0
	s_mov_b64 s[8:9], 0
	v_mov_b32_e32 v55, 0
	v_mov_b32_e32 v64, 0
	;; [unrolled: 1-line block ×45, first 2 shown]
	s_waitcnt lgkmcnt(0)
	s_barrier
                                        ; implicit-def: $sgpr20_sgpr21
	s_and_saveexec_b64 s[24:25], vcc
	s_cbranch_execz .LBB46_73
; %bb.48:
	v_mad_u32_u24 v1, v0, 26, v4
	ds_read_u16 v17, v1
	v_or_b32_e32 v1, 1, v67
	v_cmp_ne_u32_e32 vcc, v3, v9
	v_cmp_gt_u32_e64 s[2:3], s7, v1
	v_mov_b32_e32 v54, 0
	v_mov_b32_e32 v55, 0
	;; [unrolled: 1-line block ×43, first 2 shown]
                                        ; implicit-def: $sgpr20_sgpr21
	s_and_saveexec_b64 s[26:27], s[2:3]
	s_cbranch_execz .LBB46_72
; %bb.49:
	v_mul_u32_u24_e32 v1, 26, v0
	v_add_u32_e32 v20, v4, v1
	ds_read_b128 v[1:4], v20 offset:2
	v_cmp_ne_u32_e64 s[18:19], v10, v11
	v_cmp_ne_u32_e64 s[12:13], v11, v12
	v_cndmask_b32_e64 v11, 0, 1, s[18:19]
	v_cmp_ne_u32_e64 s[18:19], v9, v10
	v_cmp_ne_u32_e64 s[14:15], v12, v13
	v_lshlrev_b16_e32 v12, 8, v11
	v_cndmask_b32_e64 v9, 0, 1, s[18:19]
	v_or_b32_e32 v54, v9, v12
	v_add_u32_e32 v9, 2, v67
	v_cmp_ne_u32_e64 s[2:3], v15, v16
	v_cmp_ne_u32_e64 s[16:17], v16, v5
	;; [unrolled: 1-line block ×4, first 2 shown]
	v_cmp_gt_u32_e64 s[18:19], s7, v9
	v_mov_b32_e32 v55, 0
	s_mov_b64 s[30:31], 0
	v_mov_b32_e32 v64, 0
	v_mov_b32_e32 v21, 0
	;; [unrolled: 1-line block ×39, first 2 shown]
                                        ; implicit-def: $sgpr20_sgpr21
	s_and_saveexec_b64 s[28:29], s[18:19]
	s_cbranch_execz .LBB46_71
; %bb.50:
	v_cndmask_b32_e64 v9, 0, 1, s[14:15]
	v_lshlrev_b16_e32 v9, 8, v9
	v_cndmask_b32_e64 v10, 0, 1, s[12:13]
	v_or_b32_e32 v11, v10, v9
	v_lshlrev_b32_e32 v9, 16, v11
	v_or_b32_e32 v10, v12, v9
	v_lshrrev_b32_e32 v55, 8, v10
	v_add_u32_e32 v10, 3, v67
	v_cmp_gt_u32_e64 s[12:13], s7, v10
	v_mov_b32_e32 v64, 0
	s_mov_b64 s[18:19], 0
	v_mov_b32_e32 v21, 0
	v_mov_b32_e32 v62, 0
	;; [unrolled: 1-line block ×35, first 2 shown]
                                        ; implicit-def: $sgpr20_sgpr21
	s_and_saveexec_b64 s[14:15], s[12:13]
	s_cbranch_execz .LBB46_70
; %bb.51:
	v_add_u32_e32 v10, 4, v67
	v_cmp_gt_u32_e64 s[12:13], s7, v10
	v_mov_b32_e32 v21, 0
	v_mov_b32_e32 v62, 0
	;; [unrolled: 1-line block ×32, first 2 shown]
                                        ; implicit-def: $sgpr20_sgpr21
	s_and_saveexec_b64 s[18:19], s[12:13]
	s_cbranch_execz .LBB46_69
; %bb.52:
	v_cndmask_b32_e64 v10, 0, 1, s[10:11]
	v_lshlrev_b16_e32 v10, 8, v10
	v_cndmask_b32_e64 v12, 0, 1, s[8:9]
	v_or_b32_e32 v12, v12, v10
	v_cndmask_b32_e64 v10, 0, 1, s[16:17]
	v_lshlrev_b16_e32 v10, 8, v10
	v_cndmask_b32_e64 v13, 0, 1, s[2:3]
	v_or_b32_e32 v13, v13, v10
	v_lshlrev_b32_e32 v14, 16, v13
	v_or_b32_sdwa v10, v12, v14 dst_sel:DWORD dst_unused:UNUSED_PAD src0_sel:WORD_0 src1_sel:DWORD
	v_lshrrev_b64 v[21:22], 24, v[9:10]
	v_add_u32_e32 v9, 5, v67
	v_cmp_gt_u32_e64 s[2:3], s7, v9
	v_mov_b32_e32 v62, 0
	s_mov_b64 s[8:9], 0
	v_mov_b32_e32 v56, 0
	v_mov_b32_e32 v60, 0
	;; [unrolled: 1-line block ×27, first 2 shown]
                                        ; implicit-def: $sgpr20_sgpr21
	s_and_saveexec_b64 s[12:13], s[2:3]
	s_cbranch_execz .LBB46_68
; %bb.53:
	v_add_u32_e32 v9, 6, v67
	v_cmp_gt_u32_e64 s[2:3], s7, v9
	v_mov_b32_e32 v56, 0
	v_mov_b32_e32 v60, 0
	;; [unrolled: 1-line block ×25, first 2 shown]
                                        ; implicit-def: $sgpr20_sgpr21
	s_and_saveexec_b64 s[16:17], s[2:3]
	s_cbranch_execz .LBB46_67
; %bb.54:
	v_add_u32_e32 v9, 7, v67
	v_lshrrev_b32_e32 v56, 8, v10
	v_cmp_gt_u32_e64 s[2:3], s7, v9
	v_mov_b32_e32 v60, 0
	v_mov_b32_e32 v59, 0
	;; [unrolled: 1-line block ×18, first 2 shown]
                                        ; implicit-def: $sgpr20_sgpr21
	s_and_saveexec_b64 s[30:31], s[2:3]
	s_cbranch_execz .LBB46_66
; %bb.55:
	v_add_u32_e32 v9, 8, v67
	v_cmp_gt_u32_e64 s[2:3], s7, v9
	v_mov_b32_e32 v59, 0
	v_mov_b32_e32 v58, 0
	;; [unrolled: 1-line block ×14, first 2 shown]
                                        ; implicit-def: $sgpr20_sgpr21
	s_and_saveexec_b64 s[34:35], s[2:3]
	s_cbranch_execz .LBB46_65
; %bb.56:
	v_add_u32_e32 v9, 9, v67
	v_cmp_gt_u32_e64 s[2:3], s7, v9
	v_mov_b32_e32 v58, 0
	v_mov_b32_e32 v23, 0
	;; [unrolled: 1-line block ×10, first 2 shown]
                                        ; implicit-def: $sgpr20_sgpr21
	s_and_saveexec_b64 s[46:47], s[2:3]
	s_cbranch_execz .LBB46_64
; %bb.57:
	ds_read_u16 v57, v20 offset:18
	v_cmp_ne_u32_e64 s[10:11], v6, v29
	v_cmp_ne_u32_e64 s[2:3], v7, v26
	v_cndmask_b32_e64 v6, 0, 1, s[10:11]
	v_cmp_ne_u32_e64 s[10:11], v5, v28
	v_add_u32_e32 v7, 10, v67
	v_cmp_ne_u32_e64 s[8:9], v8, v27
	v_lshlrev_b16_e32 v6, 8, v6
	v_cndmask_b32_e64 v5, 0, 1, s[10:11]
	v_cmp_gt_u32_e64 s[10:11], s7, v7
	v_mov_b32_e32 v58, 0
	s_mov_b64 s[54:55], 0
	v_mov_b32_e32 v23, 0
	v_mov_b32_e32 v34, 0
	v_mov_b32_e32 v37, 0
	v_mov_b32_e32 v35, 0
	v_mov_b32_e32 v30, 0
	v_mov_b32_e32 v19, 0
                                        ; implicit-def: $sgpr20_sgpr21
	s_and_saveexec_b64 s[52:53], s[10:11]
	s_cbranch_execz .LBB46_63
; %bb.58:
	v_cndmask_b32_e64 v7, 0, 1, s[8:9]
	v_lshlrev_b16_e32 v7, 8, v7
	v_cndmask_b32_e64 v8, 0, 1, s[2:3]
	v_or_b32_e32 v7, v8, v7
	ds_read2_b32 v[19:20], v20 offset0:5 offset1:6
	v_lshlrev_b32_e32 v8, 16, v7
	v_or_b32_e32 v9, v6, v8
	v_lshrrev_b32_e32 v34, 8, v9
	v_add_u32_e32 v9, 11, v67
	v_cmp_gt_u32_e64 s[2:3], s7, v9
	v_mov_b32_e32 v58, 0
	s_mov_b64 s[10:11], 0
	v_mov_b32_e32 v37, 0
	v_mov_b32_e32 v35, 0
	;; [unrolled: 1-line block ×3, first 2 shown]
                                        ; implicit-def: $sgpr20_sgpr21
	s_and_saveexec_b64 s[8:9], s[2:3]
	s_cbranch_execz .LBB46_62
; %bb.59:
	v_add_u32_e32 v9, 12, v67
	v_cmp_gt_u32_e64 s[2:3], s7, v9
	v_mov_b32_e32 v35, 0
	v_mov_b32_e32 v30, 0
                                        ; implicit-def: $sgpr20_sgpr21
	s_and_saveexec_b64 s[54:55], s[2:3]
	s_xor_b64 s[54:55], exec, s[54:55]
	s_cbranch_execz .LBB46_61
; %bb.60:
	v_lshrrev_b32_e32 v35, 24, v8
	v_add_u32_e32 v8, 13, v67
	v_cmp_gt_u32_e64 s[2:3], s7, v8
	v_cmp_ne_u32_e64 s[20:21], v27, v65
	s_and_b64 s[10:11], s[2:3], exec
	s_waitcnt lgkmcnt(0)
	v_mov_b32_e32 v30, v20
.LBB46_61:
	s_or_b64 exec, exec, s[54:55]
	s_waitcnt lgkmcnt(0)
	v_lshrrev_b32_e32 v58, 16, v19
	s_and_b64 s[10:11], s[10:11], exec
	v_mov_b32_e32 v37, v7
.LBB46_62:
	s_or_b64 exec, exec, s[8:9]
	s_and_b64 s[54:55], s[10:11], exec
	s_waitcnt lgkmcnt(0)
	v_mov_b32_e32 v23, v19
.LBB46_63:
	s_or_b64 exec, exec, s[52:53]
	v_or_b32_e32 v38, v5, v6
	s_and_b64 s[8:9], s[54:55], exec
	v_mov_b32_e32 v31, v58
.LBB46_64:
	s_or_b64 exec, exec, s[46:47]
	s_waitcnt lgkmcnt(0)
	v_lshrrev_b32_e32 v22, 16, v4
	v_lshrrev_b32_e32 v59, 24, v14
	s_and_b64 s[8:9], s[8:9], exec
	v_mov_b32_e32 v32, v57
	v_mov_b32_e32 v33, v22
.LBB46_65:
	s_or_b64 exec, exec, s[34:35]
	s_and_b64 s[8:9], s[8:9], exec
	v_mov_b32_e32 v60, v13
	s_waitcnt lgkmcnt(0)
	v_mov_b32_e32 v61, v4
	v_mov_b32_e32 v42, v59
	v_mov_b32_e32 v36, v4
.LBB46_66:
	s_or_b64 exec, exec, s[30:31]
	s_waitcnt lgkmcnt(0)
	v_lshrrev_b32_e32 v25, 16, v3
	s_and_b64 s[8:9], s[8:9], exec
	v_mov_b32_e32 v44, v54
	v_mov_b32_e32 v45, v55
	;; [unrolled: 1-line block ×5, first 2 shown]
.LBB46_67:
	s_or_b64 exec, exec, s[16:17]
	s_and_b64 s[8:9], s[8:9], exec
	v_mov_b32_e32 v62, v12
	s_waitcnt lgkmcnt(0)
	v_mov_b32_e32 v63, v3
	v_mov_b32_e32 v40, v3
.LBB46_68:
	s_or_b64 exec, exec, s[12:13]
	s_waitcnt lgkmcnt(0)
	v_lshrrev_b32_e32 v24, 16, v2
	s_and_b64 s[30:31], s[8:9], exec
	v_mov_b32_e32 v50, v62
	v_mov_b32_e32 v41, v24
.LBB46_69:
	s_or_b64 exec, exec, s[18:19]
	s_and_b64 s[18:19], s[30:31], exec
	v_mov_b32_e32 v64, v11
	s_waitcnt lgkmcnt(0)
	v_mov_b32_e32 v66, v2
	v_mov_b32_e32 v52, v21
	;; [unrolled: 1-line block ×3, first 2 shown]
.LBB46_70:
	s_or_b64 exec, exec, s[14:15]
	s_waitcnt lgkmcnt(0)
	v_lshrrev_b32_e32 v18, 16, v1
	s_and_b64 s[30:31], s[18:19], exec
	v_mov_b32_e32 v53, v64
	v_mov_b32_e32 v48, v18
.LBB46_71:
	s_or_b64 exec, exec, s[28:29]
	s_and_b64 s[8:9], s[30:31], exec
	s_waitcnt lgkmcnt(0)
	v_mov_b32_e32 v49, v1
.LBB46_72:
	s_or_b64 exec, exec, s[26:27]
	v_cndmask_b32_e64 v2, 0, 1, vcc
	s_and_b64 s[8:9], s[8:9], exec
	v_mov_b32_e32 v51, v2
.LBB46_73:
	s_or_b64 exec, exec, s[24:25]
	s_and_b64 vcc, exec, s[22:23]
	v_cmp_ne_u32_e64 s[2:3], 0, v0
	s_cbranch_vccnz .LBB46_75
	s_branch .LBB46_78
.LBB46_74:
	s_mov_b64 s[8:9], 0
                                        ; implicit-def: $sgpr20_sgpr21
                                        ; implicit-def: $vgpr20
                                        ; implicit-def: $vgpr54
                                        ; implicit-def: $vgpr55
                                        ; implicit-def: $vgpr64
                                        ; implicit-def: $vgpr21
                                        ; implicit-def: $vgpr62
                                        ; implicit-def: $vgpr56
                                        ; implicit-def: $vgpr60
                                        ; implicit-def: $vgpr59
                                        ; implicit-def: $vgpr2
                                        ; implicit-def: $vgpr17
                                        ; implicit-def: $vgpr58
                                        ; implicit-def: $vgpr23
                                        ; implicit-def: $vgpr1
                                        ; implicit-def: $vgpr57
                                        ; implicit-def: $vgpr61
                                        ; implicit-def: $vgpr25
                                        ; implicit-def: $vgpr66
                                        ; implicit-def: $vgpr63
                                        ; implicit-def: $vgpr44
                                        ; implicit-def: $vgpr45
                                        ; implicit-def: $vgpr53
                                        ; implicit-def: $vgpr52
                                        ; implicit-def: $vgpr50
                                        ; implicit-def: $vgpr46
                                        ; implicit-def: $vgpr47
                                        ; implicit-def: $vgpr42
                                        ; implicit-def: $vgpr38
                                        ; implicit-def: $vgpr34
                                        ; implicit-def: $vgpr37
                                        ; implicit-def: $vgpr35
                                        ; implicit-def: $vgpr51
                                        ; implicit-def: $vgpr30
                                        ; implicit-def: $vgpr31
                                        ; implicit-def: $vgpr49
                                        ; implicit-def: $vgpr32
                                        ; implicit-def: $vgpr33
                                        ; implicit-def: $vgpr48
                                        ; implicit-def: $vgpr36
                                        ; implicit-def: $vgpr39
                                        ; implicit-def: $vgpr43
                                        ; implicit-def: $vgpr40
                                        ; implicit-def: $vgpr41
	s_and_b64 vcc, exec, s[22:23]
	v_cmp_ne_u32_e64 s[2:3], 0, v0
	s_cbranch_vccz .LBB46_78
.LBB46_75:
	v_lshlrev_b32_e32 v5, 2, v0
	v_mov_b32_e32 v1, s51
	v_add_co_u32_e32 v3, vcc, s50, v5
	v_addc_co_u32_e32 v4, vcc, 0, v1, vcc
	v_add_co_u32_e32 v1, vcc, 0x1000, v3
	v_addc_co_u32_e32 v2, vcc, 0, v4, vcc
	global_load_dword v6, v5, s[50:51]
	global_load_dword v7, v5, s[50:51] offset:1024
	global_load_dword v8, v5, s[50:51] offset:2048
	;; [unrolled: 1-line block ×3, first 2 shown]
	global_load_dword v10, v[1:2], off
	global_load_dword v11, v[1:2], off offset:1024
	global_load_dword v12, v[1:2], off offset:2048
	;; [unrolled: 1-line block ×3, first 2 shown]
	v_add_co_u32_e32 v1, vcc, 0x2000, v3
	v_addc_co_u32_e32 v2, vcc, 0, v4, vcc
	v_add_co_u32_e32 v3, vcc, 0x3000, v3
	v_addc_co_u32_e32 v4, vcc, 0, v4, vcc
	global_load_dword v14, v[1:2], off
	global_load_dword v15, v[1:2], off offset:1024
	global_load_dword v16, v[1:2], off offset:2048
	;; [unrolled: 1-line block ×3, first 2 shown]
	global_load_dword v19, v[3:4], off
	global_load_dword v20, v[3:4], off offset:1024
	s_sub_u32 s8, 0, s6
	s_subb_u32 s9, 0, 0
	s_cmp_eq_u64 s[44:45], s[8:9]
	s_cselect_b32 s8, 0, -4
	s_cselect_b32 s9, 0, -1
	s_add_u32 s8, s50, s8
	s_addc_u32 s9, s51, s9
	s_movk_i32 s10, 0xffcc
	v_mad_u32_u24 v1, v0, 52, v5
	s_movk_i32 s7, 0x1000
	s_waitcnt lgkmcnt(0)
	v_mad_i32_i24 v17, v0, s10, v1
	s_waitcnt vmcnt(12)
	ds_write2st64_b32 v5, v6, v7 offset1:4
	s_waitcnt vmcnt(10)
	ds_write2st64_b32 v5, v8, v9 offset0:8 offset1:12
	s_waitcnt vmcnt(8)
	ds_write2st64_b32 v5, v10, v11 offset0:16 offset1:20
	;; [unrolled: 2-line block ×6, first 2 shown]
	s_waitcnt lgkmcnt(0)
	s_barrier
	s_load_dword s8, s[8:9], 0x0
	ds_read_b32 v18, v1 offset:52
	ds_read2_b32 v[13:14], v1 offset0:11 offset1:12
	ds_read2_b64 v[9:12], v1 offset0:4 offset1:5
	ds_read2_b32 v[15:16], v1 offset0:9 offset1:10
	ds_read2_b64 v[5:8], v1 offset0:2 offset1:3
	ds_read2_b64 v[1:4], v1 offset1:1
	s_waitcnt lgkmcnt(0)
	ds_write_b32 v17, v18 offset:14336
	s_waitcnt lgkmcnt(0)
	s_barrier
	v_mov_b32_e32 v19, s8
	s_and_saveexec_b64 s[8:9], s[2:3]
; %bb.76:
	ds_read_b32 v19, v17 offset:14332
; %bb.77:
	s_or_b64 exec, exec, s[8:9]
	v_lshlrev_b32_e32 v22, 1, v0
	v_mov_b32_e32 v20, s37
	v_add_co_u32_e32 v21, vcc, s36, v22
	v_addc_co_u32_e32 v23, vcc, 0, v20, vcc
	v_add_co_u32_e32 v20, vcc, s7, v21
	v_addc_co_u32_e32 v21, vcc, 0, v23, vcc
	s_waitcnt lgkmcnt(0)
	s_barrier
	global_load_ushort v24, v22, s[36:37]
	global_load_ushort v25, v22, s[36:37] offset:512
	global_load_ushort v26, v22, s[36:37] offset:1024
	;; [unrolled: 1-line block ×7, first 2 shown]
	global_load_ushort v23, v[20:21], off
	global_load_ushort v32, v[20:21], off offset:512
	global_load_ushort v33, v[20:21], off offset:1024
	;; [unrolled: 1-line block ×5, first 2 shown]
	v_cmp_ne_u32_e32 vcc, v10, v16
	v_cndmask_b32_e64 v10, 0, 1, vcc
	v_cmp_ne_u32_e32 vcc, v9, v15
	v_cndmask_b32_e64 v15, 0, 1, vcc
	;; [unrolled: 2-line block ×10, first 2 shown]
	v_cmp_ne_u32_e32 vcc, v2, v3
	v_lshlrev_b16_e32 v8, 8, v10
	v_lshlrev_b16_e32 v10, 8, v12
	;; [unrolled: 1-line block ×3, first 2 shown]
	v_cndmask_b32_e64 v3, 0, 1, vcc
	v_cmp_ne_u32_e32 vcc, v1, v2
	v_lshlrev_b16_e32 v12, 8, v13
	v_lshlrev_b16_e32 v5, 8, v5
	v_or_b32_e32 v37, v11, v10
	v_or_b32_e32 v60, v7, v9
	v_cndmask_b32_e64 v2, 0, 1, vcc
	v_lshlrev_b16_e32 v13, 8, v3
	v_or_b32_e32 v62, v6, v12
	v_or_b32_e32 v64, v4, v5
	v_lshlrev_b32_e32 v3, 16, v37
	v_lshlrev_b32_e32 v4, 16, v60
	v_cmp_ne_u32_e64 s[20:21], v14, v18
	v_sub_u32_e32 v14, v17, v22
	v_or_b32_e32 v54, v2, v13
	v_lshlrev_b32_e32 v2, 16, v64
	v_lshrrev_b32_e32 v35, 24, v3
	v_or_b32_e32 v5, v8, v3
	v_or_b32_sdwa v3, v62, v4 dst_sel:DWORD dst_unused:UNUSED_PAD src0_sel:WORD_0 src1_sel:DWORD
	v_lshrrev_b32_e32 v56, 8, v3
	v_lshrrev_b64 v[21:22], 24, v[2:3]
	v_mad_u32_u24 v3, v0, 26, v14
	v_lshrrev_b32_e32 v59, 24, v4
	v_or_b32_e32 v4, v13, v2
	v_cmp_ne_u32_e32 vcc, v19, v1
	v_lshrrev_b32_e32 v55, 8, v4
	v_cndmask_b32_e64 v2, 0, 1, vcc
	v_or_b32_e32 v38, v15, v8
	v_lshrrev_b32_e32 v34, 8, v5
	s_mov_b64 s[8:9], -1
	v_mov_b32_e32 v44, v54
	v_mov_b32_e32 v45, v55
	;; [unrolled: 1-line block ×9, first 2 shown]
	s_waitcnt vmcnt(13)
	ds_write_b16 v14, v24
	s_waitcnt vmcnt(12)
	ds_write_b16 v14, v25 offset:512
	s_waitcnt vmcnt(11)
	ds_write_b16 v14, v26 offset:1024
	;; [unrolled: 2-line block ×13, first 2 shown]
	s_waitcnt lgkmcnt(0)
	s_barrier
	ds_read2_b32 v[17:18], v3 offset1:1
	ds_read2_b32 v[24:25], v3 offset0:2 offset1:3
	ds_read2_b32 v[22:23], v3 offset0:4 offset1:5
	ds_read_b32 v20, v3 offset:24
	s_waitcnt lgkmcnt(2)
	v_lshrrev_b32_e32 v63, 16, v24
	v_lshrrev_b32_e32 v1, 16, v17
	;; [unrolled: 1-line block ×4, first 2 shown]
	s_waitcnt lgkmcnt(1)
	v_lshrrev_b32_e32 v57, 16, v22
	v_lshrrev_b32_e32 v58, 16, v23
	s_waitcnt lgkmcnt(0)
	v_mov_b32_e32 v30, v20
	v_mov_b32_e32 v31, v58
	;; [unrolled: 1-line block ×12, first 2 shown]
.LBB46_78:
	v_mov_b32_e32 v11, 0
	v_mov_b32_e32 v10, 0
	s_and_saveexec_b64 s[2:3], s[8:9]
	s_cbranch_execz .LBB46_80
; %bb.79:
	v_cndmask_b32_e64 v11, 0, 1, s[20:21]
	v_lshrrev_b32_e32 v10, 16, v20
	v_mov_b32_e32 v41, v24
	v_mov_b32_e32 v40, v63
	;; [unrolled: 1-line block ×20, first 2 shown]
.LBB46_80:
	s_or_b64 exec, exec, s[2:3]
	v_and_b32_e32 v12, 1, v11
	s_cmp_lg_u32 s6, 0
	v_cmp_eq_u16_e64 s[2:3], 0, v11
	v_cmp_eq_u32_e32 vcc, 1, v12
	v_mbcnt_lo_u32_b32 v13, -1, 0
	s_waitcnt lgkmcnt(0)
	s_barrier
	s_cbranch_scc0 .LBB46_154
; %bb.81:
	v_mov_b32_e32 v1, 0
	v_add_f16_e32 v2, v49, v17
	v_cmp_eq_u16_sdwa s[34:35], v44, v1 src0_sel:BYTE_0 src1_sel:DWORD
	v_cndmask_b32_e64 v2, v49, v2, s[34:35]
	v_add_f16_e32 v2, v2, v48
	v_cmp_eq_u16_sdwa s[8:9], v45, v1 src0_sel:BYTE_0 src1_sel:DWORD
	v_cndmask_b32_e64 v2, v48, v2, s[8:9]
	;; [unrolled: 3-line block ×8, first 2 shown]
	v_or_b32_e32 v3, v50, v52
	v_or_b32_e32 v3, v3, v46
	v_add_f16_e32 v2, v2, v32
	v_cmp_eq_u16_sdwa s[22:23], v38, v1 src0_sel:BYTE_0 src1_sel:DWORD
	v_or_b32_e32 v3, v3, v53
	v_cndmask_b32_e64 v2, v32, v2, s[22:23]
	v_or_b32_e32 v3, v3, v47
	v_add_f16_e32 v2, v2, v19
	v_cmp_eq_u16_sdwa s[24:25], v34, v1 src0_sel:BYTE_0 src1_sel:DWORD
	v_or_b32_e32 v3, v3, v42
	v_cndmask_b32_e64 v2, v19, v2, s[24:25]
	v_or_b32_e32 v4, v34, v38
	v_or_b32_e32 v3, v3, v45
	v_add_f16_e32 v2, v2, v31
	v_cmp_eq_u16_sdwa s[26:27], v37, v1 src0_sel:BYTE_0 src1_sel:DWORD
	v_or_b32_e32 v4, v4, v37
	v_or_b32_e32 v3, v3, v44
	v_cndmask_b32_e64 v2, v31, v2, s[26:27]
	v_or_b32_e32 v4, v4, v35
	v_add_f16_e32 v2, v2, v30
	v_cmp_eq_u16_sdwa s[28:29], v35, v1 src0_sel:BYTE_0 src1_sel:DWORD
	v_or_b32_e32 v3, v4, v3
	v_cndmask_b32_e64 v2, v30, v2, s[28:29]
	v_cmp_eq_u16_sdwa s[30:31], v3, v1 src0_sel:BYTE_0 src1_sel:DWORD
	v_cndmask_b32_e64 v3, 1, v51, s[30:31]
	v_add_f16_e32 v1, v2, v10
	v_cndmask_b32_e64 v1, v10, v1, s[2:3]
	v_cndmask_b32_e64 v2, v3, 1, vcc
	v_mbcnt_hi_u32_b32 v3, -1, v13
	v_and_b32_e32 v7, 0xff, v2
	v_and_b32_e32 v4, 0xffff, v1
	;; [unrolled: 1-line block ×3, first 2 shown]
	v_lshl_or_b32 v4, v7, 16, v4
	v_cmp_ne_u32_e32 vcc, 0, v6
	s_nop 0
	v_mov_b32_dpp v5, v4 row_shr:1 row_mask:0xf bank_mask:0xf
	s_and_saveexec_b64 s[30:31], vcc
	s_cbranch_execz .LBB46_83
; %bb.82:
	v_add_f16_e32 v4, v1, v5
	v_cmp_eq_u16_e32 vcc, 0, v7
	v_cndmask_b32_e32 v1, v1, v4, vcc
	v_and_b32_e32 v2, 1, v2
	v_mov_b32_e32 v4, 1
	v_and_b32_sdwa v4, v5, v4 dst_sel:DWORD dst_unused:UNUSED_PAD src0_sel:WORD_1 src1_sel:DWORD
	v_cmp_eq_u32_e32 vcc, 1, v2
	v_cndmask_b32_e64 v2, v4, 1, vcc
	v_lshlrev_b32_e32 v4, 16, v2
	v_or_b32_sdwa v4, v4, v1 dst_sel:DWORD dst_unused:UNUSED_PAD src0_sel:DWORD src1_sel:WORD_0
.LBB46_83:
	s_or_b64 exec, exec, s[30:31]
	v_lshrrev_b32_e32 v5, 16, v4
	v_mov_b32_dpp v7, v4 row_shr:2 row_mask:0xf bank_mask:0xf
	v_cmp_lt_u32_e32 vcc, 1, v6
	s_and_saveexec_b64 s[30:31], vcc
	s_cbranch_execz .LBB46_85
; %bb.84:
	s_mov_b32 s7, 0x10000
	v_add_f16_e32 v2, v1, v7
	v_cmp_gt_u32_e32 vcc, s7, v4
	v_cndmask_b32_e32 v1, v1, v2, vcc
	v_and_b32_e32 v2, 0x10000, v4
	v_mov_b32_e32 v4, 1
	v_and_b32_sdwa v4, v7, v4 dst_sel:DWORD dst_unused:UNUSED_PAD src0_sel:WORD_1 src1_sel:DWORD
	v_cmp_ne_u32_e32 vcc, 0, v2
	v_cndmask_b32_e64 v2, v4, 1, vcc
	v_lshlrev_b32_e32 v4, 16, v2
	v_or_b32_sdwa v4, v4, v1 dst_sel:DWORD dst_unused:UNUSED_PAD src0_sel:DWORD src1_sel:WORD_0
	v_mov_b32_e32 v5, v2
.LBB46_85:
	s_or_b64 exec, exec, s[30:31]
	v_mov_b32_dpp v7, v4 row_shr:4 row_mask:0xf bank_mask:0xf
	v_cmp_lt_u32_e32 vcc, 3, v6
	s_and_saveexec_b64 s[30:31], vcc
	s_cbranch_execz .LBB46_87
; %bb.86:
	v_add_f16_e32 v2, v1, v7
	v_cmp_eq_u16_e32 vcc, 0, v5
	v_cndmask_b32_e32 v1, v1, v2, vcc
	v_and_b32_e32 v2, 1, v5
	v_mov_b32_e32 v4, 1
	v_and_b32_sdwa v4, v7, v4 dst_sel:DWORD dst_unused:UNUSED_PAD src0_sel:WORD_1 src1_sel:DWORD
	v_cmp_eq_u32_e32 vcc, 1, v2
	v_cndmask_b32_e64 v2, v4, 1, vcc
	v_lshlrev_b32_e32 v4, 16, v2
	v_or_b32_sdwa v4, v4, v1 dst_sel:DWORD dst_unused:UNUSED_PAD src0_sel:DWORD src1_sel:WORD_0
	v_mov_b32_e32 v5, v2
.LBB46_87:
	s_or_b64 exec, exec, s[30:31]
	v_mov_b32_dpp v7, v4 row_shr:8 row_mask:0xf bank_mask:0xf
	v_cmp_lt_u32_e32 vcc, 7, v6
	s_and_saveexec_b64 s[30:31], vcc
	s_cbranch_execz .LBB46_89
; %bb.88:
	v_add_f16_e32 v2, v1, v7
	v_cmp_eq_u16_e32 vcc, 0, v5
	v_cndmask_b32_e32 v1, v1, v2, vcc
	v_and_b32_e32 v2, 1, v5
	v_mov_b32_e32 v4, 1
	v_and_b32_sdwa v4, v7, v4 dst_sel:DWORD dst_unused:UNUSED_PAD src0_sel:WORD_1 src1_sel:DWORD
	v_cmp_eq_u32_e32 vcc, 1, v2
	v_cndmask_b32_e64 v2, v4, 1, vcc
	v_lshlrev_b32_e32 v4, 16, v2
	v_or_b32_sdwa v4, v4, v1 dst_sel:DWORD dst_unused:UNUSED_PAD src0_sel:DWORD src1_sel:WORD_0
	v_mov_b32_e32 v5, v2
.LBB46_89:
	s_or_b64 exec, exec, s[30:31]
	v_and_b32_e32 v7, 16, v3
	v_mov_b32_dpp v6, v4 row_bcast:15 row_mask:0xf bank_mask:0xf
	v_cmp_ne_u32_e32 vcc, 0, v7
	s_and_saveexec_b64 s[30:31], vcc
	s_cbranch_execz .LBB46_91
; %bb.90:
	v_add_f16_e32 v2, v1, v6
	v_cmp_eq_u16_e32 vcc, 0, v5
	v_cndmask_b32_e32 v1, v1, v2, vcc
	v_and_b32_e32 v2, 1, v5
	v_mov_b32_e32 v4, 1
	v_and_b32_sdwa v4, v6, v4 dst_sel:DWORD dst_unused:UNUSED_PAD src0_sel:WORD_1 src1_sel:DWORD
	v_cmp_eq_u32_e32 vcc, 1, v2
	v_cndmask_b32_e64 v2, v4, 1, vcc
	v_lshlrev_b32_e32 v4, 16, v2
	v_or_b32_sdwa v4, v4, v1 dst_sel:DWORD dst_unused:UNUSED_PAD src0_sel:DWORD src1_sel:WORD_0
	v_mov_b32_e32 v5, v2
.LBB46_91:
	s_or_b64 exec, exec, s[30:31]
	v_mov_b32_dpp v4, v4 row_bcast:31 row_mask:0xf bank_mask:0xf
	v_cmp_lt_u32_e32 vcc, 31, v3
	s_and_saveexec_b64 s[30:31], vcc
; %bb.92:
	v_and_b32_e32 v2, 1, v5
	v_mov_b32_e32 v7, 1
	v_add_f16_e32 v6, v1, v4
	v_and_b32_sdwa v4, v4, v7 dst_sel:DWORD dst_unused:UNUSED_PAD src0_sel:WORD_1 src1_sel:DWORD
	v_cmp_eq_u32_e32 vcc, 1, v2
	v_cndmask_b32_e64 v2, v4, 1, vcc
	v_cmp_eq_u16_e32 vcc, 0, v5
	v_cndmask_b32_e32 v1, v1, v6, vcc
; %bb.93:
	s_or_b64 exec, exec, s[30:31]
	v_lshrrev_b32_e32 v4, 6, v0
	v_or_b32_e32 v5, 63, v0
	v_cmp_eq_u32_e32 vcc, v0, v5
	v_lshlrev_b32_e32 v4, 2, v4
	s_and_saveexec_b64 s[30:31], vcc
	s_cbranch_execz .LBB46_95
; %bb.94:
	ds_write_b16 v4, v1
	ds_write_b8 v4, v2 offset:2
.LBB46_95:
	s_or_b64 exec, exec, s[30:31]
	v_cmp_gt_u32_e32 vcc, 4, v0
	s_waitcnt lgkmcnt(0)
	s_barrier
	s_and_saveexec_b64 s[30:31], vcc
	s_cbranch_execz .LBB46_101
; %bb.96:
	v_lshlrev_b32_e32 v5, 2, v0
	ds_read_b32 v7, v5
	v_and_b32_e32 v9, 3, v3
	v_cmp_ne_u32_e32 vcc, 0, v9
	s_waitcnt lgkmcnt(0)
	v_lshrrev_b32_e32 v8, 16, v7
	v_mov_b32_dpp v14, v7 row_shr:1 row_mask:0xf bank_mask:0xf
	v_mov_b32_e32 v6, v7
	s_and_saveexec_b64 s[36:37], vcc
	s_cbranch_execz .LBB46_98
; %bb.97:
	v_mov_b32_e32 v6, 0
	v_add_f16_e32 v16, v7, v14
	v_cmp_eq_u16_sdwa vcc, v8, v6 src0_sel:BYTE_0 src1_sel:DWORD
	v_and_b32_e32 v15, 0xff000000, v7
	v_cndmask_b32_e32 v6, v7, v16, vcc
	v_and_b32_e32 v7, 0x10000, v7
	v_mov_b32_e32 v8, 1
	v_and_b32_sdwa v8, v14, v8 dst_sel:DWORD dst_unused:UNUSED_PAD src0_sel:WORD_1 src1_sel:DWORD
	v_cmp_ne_u32_e32 vcc, 0, v7
	v_cndmask_b32_e64 v8, v8, 1, vcc
	v_lshlrev_b32_e32 v7, 16, v8
	v_and_b32_e32 v14, 0xffff, v6
	v_or3_b32 v7, v7, v15, v14
.LBB46_98:
	s_or_b64 exec, exec, s[36:37]
	s_nop 0
	v_mov_b32_dpp v14, v7 row_shr:2 row_mask:0xf bank_mask:0xf
	v_cmp_lt_u32_e32 vcc, 1, v9
	s_and_saveexec_b64 s[36:37], vcc
; %bb.99:
	v_and_b32_e32 v8, 0xff0000, v7
	v_add_f16_e32 v9, v6, v14
	v_cmp_eq_u32_e32 vcc, 0, v8
	v_and_b32_e32 v7, 0x10000, v7
	v_mov_b32_e32 v8, 1
	v_cndmask_b32_e32 v6, v6, v9, vcc
	v_and_b32_sdwa v8, v14, v8 dst_sel:DWORD dst_unused:UNUSED_PAD src0_sel:WORD_1 src1_sel:DWORD
	v_cmp_eq_u32_e32 vcc, 0, v7
	v_cndmask_b32_e32 v8, 1, v8, vcc
; %bb.100:
	s_or_b64 exec, exec, s[36:37]
	ds_write_b16 v5, v6
	ds_write_b8 v5, v8 offset:2
.LBB46_101:
	s_or_b64 exec, exec, s[30:31]
	v_cmp_gt_u32_e32 vcc, 64, v0
	v_cmp_lt_u32_e64 s[30:31], 63, v0
	v_mov_b32_e32 v15, 0
	v_mov_b32_e32 v14, 0
	s_waitcnt lgkmcnt(0)
	s_barrier
	s_and_saveexec_b64 s[36:37], s[30:31]
	s_cbranch_execz .LBB46_103
; %bb.102:
	v_add_u32_e32 v5, -4, v4
	ds_read_u16 v14, v5
	v_add_u32_e32 v4, -2, v4
	ds_read_u8 v15, v4
	v_mov_b32_e32 v5, 0
	v_cmp_eq_u16_sdwa s[30:31], v2, v5 src0_sel:BYTE_0 src1_sel:DWORD
	s_waitcnt lgkmcnt(1)
	v_add_f16_e32 v4, v1, v14
	v_and_b32_e32 v2, 1, v2
	v_cndmask_b32_e64 v1, v1, v4, s[30:31]
	v_cmp_eq_u32_e64 s[30:31], 1, v2
	s_waitcnt lgkmcnt(0)
	v_cndmask_b32_e64 v2, v15, 1, s[30:31]
.LBB46_103:
	s_or_b64 exec, exec, s[36:37]
	v_and_b32_e32 v2, 0xff, v2
	v_and_b32_e32 v1, 0xffff, v1
	v_lshl_or_b32 v1, v2, 16, v1
	v_subrev_co_u32_e64 v2, s[30:31], 1, v3
	v_and_b32_e32 v4, 64, v3
	v_cmp_lt_i32_e64 s[36:37], v2, v4
	v_cndmask_b32_e64 v2, v2, v3, s[36:37]
	v_lshlrev_b32_e32 v2, 2, v2
	ds_bpermute_b32 v16, v2, v1
	s_and_saveexec_b64 s[36:37], vcc
	s_cbranch_execz .LBB46_159
; %bb.104:
	v_mov_b32_e32 v6, 0
	ds_read_b32 v1, v6 offset:12
	s_and_saveexec_b64 s[44:45], s[30:31]
	s_cbranch_execz .LBB46_106
; %bb.105:
	s_add_i32 s46, s6, 64
	s_mov_b32 s47, 0
	s_lshl_b64 s[46:47], s[46:47], 3
	s_add_u32 s46, s40, s46
	v_mov_b32_e32 v2, 1
	s_addc_u32 s47, s41, s47
	s_waitcnt lgkmcnt(0)
	global_store_dwordx2 v6, v[1:2], s[46:47]
.LBB46_106:
	s_or_b64 exec, exec, s[44:45]
	v_xad_u32 v2, v3, -1, s6
	v_add_u32_e32 v5, 64, v2
	v_lshlrev_b64 v[4:5], 3, v[5:6]
	v_mov_b32_e32 v8, s41
	v_add_co_u32_e32 v7, vcc, s40, v4
	v_addc_co_u32_e32 v8, vcc, v8, v5, vcc
	global_load_dwordx2 v[4:5], v[7:8], off glc
	s_waitcnt vmcnt(0)
	v_cmp_eq_u16_sdwa s[46:47], v5, v6 src0_sel:BYTE_0 src1_sel:DWORD
	s_and_saveexec_b64 s[44:45], s[46:47]
	s_cbranch_execz .LBB46_110
; %bb.107:
	s_mov_b64 s[46:47], 0
	v_mov_b32_e32 v6, 0
.LBB46_108:                             ; =>This Inner Loop Header: Depth=1
	global_load_dwordx2 v[4:5], v[7:8], off glc
	s_waitcnt vmcnt(0)
	v_cmp_ne_u16_sdwa s[50:51], v5, v6 src0_sel:BYTE_0 src1_sel:DWORD
	s_or_b64 s[46:47], s[50:51], s[46:47]
	s_andn2_b64 exec, exec, s[46:47]
	s_cbranch_execnz .LBB46_108
; %bb.109:
	s_or_b64 exec, exec, s[46:47]
.LBB46_110:
	s_or_b64 exec, exec, s[44:45]
	v_mov_b32_e32 v8, 2
	v_lshlrev_b64 v[6:7], v3, -1
	v_cmp_eq_u16_sdwa s[44:45], v5, v8 src0_sel:BYTE_0 src1_sel:DWORD
	v_and_b32_e32 v8, s45, v7
	v_or_b32_e32 v8, 0x80000000, v8
	v_and_b32_e32 v9, s44, v6
	v_ffbl_b32_e32 v8, v8
	v_and_b32_e32 v27, 63, v3
	v_add_u32_e32 v8, 32, v8
	v_ffbl_b32_e32 v9, v9
	v_cmp_ne_u32_e32 vcc, 63, v27
	v_min_u32_e32 v8, v9, v8
	v_addc_co_u32_e32 v9, vcc, 0, v3, vcc
	v_and_b32_e32 v54, 0xffffff, v4
	v_lshlrev_b32_e32 v18, 2, v9
	ds_bpermute_b32 v21, v18, v54
	v_add_u32_e32 v20, 1, v3
	v_lshrrev_b32_e32 v9, 16, v4
	v_cmp_le_u32_e32 vcc, v20, v8
	v_bfe_u32 v29, v4, 16, 8
	s_and_saveexec_b64 s[44:45], vcc
	s_cbranch_execz .LBB46_112
; %bb.111:
	v_and_b32_e32 v9, 0xff0000, v4
	s_waitcnt lgkmcnt(0)
	v_add_f16_e32 v22, v4, v21
	v_cmp_eq_u32_e32 vcc, 0, v9
	v_cndmask_b32_e32 v4, v4, v22, vcc
	v_and_b32_e32 v9, 0x10000, v9
	v_mov_b32_e32 v22, 1
	v_and_b32_sdwa v21, v21, v22 dst_sel:DWORD dst_unused:UNUSED_PAD src0_sel:WORD_1 src1_sel:DWORD
	v_cmp_ne_u32_e32 vcc, 0, v9
	v_cndmask_b32_e64 v9, v21, 1, vcc
	v_lshlrev_b32_e32 v21, 16, v9
	v_or_b32_sdwa v54, v21, v4 dst_sel:DWORD dst_unused:UNUSED_PAD src0_sel:DWORD src1_sel:WORD_0
	v_mov_b32_e32 v29, v9
.LBB46_112:
	s_or_b64 exec, exec, s[44:45]
	v_cmp_gt_u32_e32 vcc, 62, v27
	s_waitcnt lgkmcnt(0)
	v_cndmask_b32_e64 v21, 0, 2, vcc
	v_add_lshl_u32 v21, v21, v3, 2
	ds_bpermute_b32 v23, v21, v54
	v_add_u32_e32 v22, 2, v3
	v_cmp_le_u32_e32 vcc, v22, v8
	s_and_saveexec_b64 s[44:45], vcc
	s_cbranch_execz .LBB46_114
; %bb.113:
	s_waitcnt lgkmcnt(0)
	v_add_f16_e32 v9, v4, v23
	v_cmp_eq_u16_e32 vcc, 0, v29
	v_cndmask_b32_e32 v4, v4, v9, vcc
	v_and_b32_e32 v9, 1, v29
	v_mov_b32_e32 v24, 1
	v_and_b32_sdwa v23, v23, v24 dst_sel:DWORD dst_unused:UNUSED_PAD src0_sel:WORD_1 src1_sel:DWORD
	v_cmp_eq_u32_e32 vcc, 1, v9
	v_cndmask_b32_e64 v9, v23, 1, vcc
	v_lshlrev_b32_e32 v23, 16, v9
	v_or_b32_sdwa v54, v23, v4 dst_sel:DWORD dst_unused:UNUSED_PAD src0_sel:DWORD src1_sel:WORD_0
	v_mov_b32_e32 v29, v9
.LBB46_114:
	s_or_b64 exec, exec, s[44:45]
	v_cmp_gt_u32_e32 vcc, 60, v27
	s_waitcnt lgkmcnt(0)
	v_cndmask_b32_e64 v23, 0, 4, vcc
	v_add_lshl_u32 v23, v23, v3, 2
	ds_bpermute_b32 v25, v23, v54
	v_add_u32_e32 v24, 4, v3
	v_cmp_le_u32_e32 vcc, v24, v8
	s_and_saveexec_b64 s[44:45], vcc
	s_cbranch_execz .LBB46_116
; %bb.115:
	s_waitcnt lgkmcnt(0)
	v_add_f16_e32 v9, v4, v25
	v_cmp_eq_u16_e32 vcc, 0, v29
	v_cndmask_b32_e32 v4, v4, v9, vcc
	v_and_b32_e32 v9, 1, v29
	v_mov_b32_e32 v26, 1
	v_and_b32_sdwa v25, v25, v26 dst_sel:DWORD dst_unused:UNUSED_PAD src0_sel:WORD_1 src1_sel:DWORD
	v_cmp_eq_u32_e32 vcc, 1, v9
	v_cndmask_b32_e64 v9, v25, 1, vcc
	v_lshlrev_b32_e32 v25, 16, v9
	v_or_b32_sdwa v54, v25, v4 dst_sel:DWORD dst_unused:UNUSED_PAD src0_sel:DWORD src1_sel:WORD_0
	v_mov_b32_e32 v29, v9
.LBB46_116:
	;; [unrolled: 24-line block ×3, first 2 shown]
	s_or_b64 exec, exec, s[44:45]
	v_cmp_gt_u32_e32 vcc, 48, v27
	v_cndmask_b32_e64 v27, 0, 16, vcc
	v_add_lshl_u32 v27, v27, v3, 2
	ds_bpermute_b32 v55, v27, v54
	s_waitcnt lgkmcnt(1)
	v_add_u32_e32 v28, 16, v3
	v_cmp_le_u32_e32 vcc, v28, v8
	s_and_saveexec_b64 s[44:45], vcc
	s_cbranch_execz .LBB46_120
; %bb.119:
	s_waitcnt lgkmcnt(0)
	v_add_f16_e32 v9, v4, v55
	v_cmp_eq_u16_e32 vcc, 0, v29
	v_cndmask_b32_e32 v4, v4, v9, vcc
	v_and_b32_e32 v9, 1, v29
	v_mov_b32_e32 v29, 1
	v_and_b32_sdwa v29, v55, v29 dst_sel:DWORD dst_unused:UNUSED_PAD src0_sel:WORD_1 src1_sel:DWORD
	v_cmp_eq_u32_e32 vcc, 1, v9
	v_cndmask_b32_e64 v9, v29, 1, vcc
	v_lshlrev_b32_e32 v29, 16, v9
	v_or_b32_sdwa v54, v29, v4 dst_sel:DWORD dst_unused:UNUSED_PAD src0_sel:DWORD src1_sel:WORD_0
	v_mov_b32_e32 v29, v9
.LBB46_120:
	s_or_b64 exec, exec, s[44:45]
	s_waitcnt lgkmcnt(0)
	v_mov_b32_e32 v55, 0x80
	v_lshl_or_b32 v55, v3, 2, v55
	ds_bpermute_b32 v54, v55, v54
	v_add_u32_e32 v56, 32, v3
	v_cmp_le_u32_e32 vcc, v56, v8
	s_and_saveexec_b64 s[44:45], vcc
	s_cbranch_execz .LBB46_122
; %bb.121:
	s_waitcnt lgkmcnt(0)
	v_add_f16_e32 v3, v4, v54
	v_cmp_eq_u16_e32 vcc, 0, v29
	v_cndmask_b32_e32 v4, v4, v3, vcc
	v_and_b32_e32 v3, 1, v29
	v_mov_b32_e32 v8, 1
	v_and_b32_sdwa v8, v54, v8 dst_sel:DWORD dst_unused:UNUSED_PAD src0_sel:WORD_1 src1_sel:DWORD
	v_cmp_eq_u32_e32 vcc, 1, v3
	v_cndmask_b32_e64 v9, v8, 1, vcc
.LBB46_122:
	s_or_b64 exec, exec, s[44:45]
	v_mov_b32_e32 v3, 0
	v_mov_b32_e32 v57, 2
	;; [unrolled: 1-line block ×3, first 2 shown]
	s_branch .LBB46_125
.LBB46_123:                             ;   in Loop: Header=BB46_125 Depth=1
	s_or_b64 exec, exec, s[44:45]
	v_add_f16_e32 v4, v54, v4
	v_cmp_eq_u16_sdwa vcc, v29, v3 src0_sel:BYTE_0 src1_sel:DWORD
	v_and_b32_e32 v8, 1, v29
	v_cndmask_b32_e32 v4, v54, v4, vcc
	v_and_b32_e32 v9, 1, v9
	v_cmp_eq_u32_e32 vcc, 1, v8
	v_subrev_u32_e32 v2, 64, v2
	v_cndmask_b32_e64 v9, v9, 1, vcc
	s_mov_b64 s[44:45], 0
.LBB46_124:                             ;   in Loop: Header=BB46_125 Depth=1
	s_and_b64 vcc, exec, s[44:45]
	s_cbranch_vccnz .LBB46_155
.LBB46_125:                             ; =>This Loop Header: Depth=1
                                        ;     Child Loop BB46_128 Depth 2
	v_cmp_ne_u16_sdwa s[44:45], v5, v57 src0_sel:BYTE_0 src1_sel:DWORD
	v_mov_b32_e32 v29, v9
	s_waitcnt lgkmcnt(0)
	v_mov_b32_e32 v54, v4
	s_cmp_lg_u64 s[44:45], exec
	s_mov_b64 s[44:45], -1
                                        ; implicit-def: $vgpr9
                                        ; implicit-def: $vgpr4
	s_cbranch_scc1 .LBB46_124
; %bb.126:                              ;   in Loop: Header=BB46_125 Depth=1
	v_lshlrev_b64 v[4:5], 3, v[2:3]
	v_mov_b32_e32 v9, s41
	v_add_co_u32_e32 v8, vcc, s40, v4
	v_addc_co_u32_e32 v9, vcc, v9, v5, vcc
	global_load_dwordx2 v[4:5], v[8:9], off glc
	s_waitcnt vmcnt(0)
	v_cmp_eq_u16_sdwa s[46:47], v5, v3 src0_sel:BYTE_0 src1_sel:DWORD
	s_and_saveexec_b64 s[44:45], s[46:47]
	s_cbranch_execz .LBB46_130
; %bb.127:                              ;   in Loop: Header=BB46_125 Depth=1
	s_mov_b64 s[46:47], 0
.LBB46_128:                             ;   Parent Loop BB46_125 Depth=1
                                        ; =>  This Inner Loop Header: Depth=2
	global_load_dwordx2 v[4:5], v[8:9], off glc
	s_waitcnt vmcnt(0)
	v_cmp_ne_u16_sdwa s[50:51], v5, v3 src0_sel:BYTE_0 src1_sel:DWORD
	s_or_b64 s[46:47], s[50:51], s[46:47]
	s_andn2_b64 exec, exec, s[46:47]
	s_cbranch_execnz .LBB46_128
; %bb.129:                              ;   in Loop: Header=BB46_125 Depth=1
	s_or_b64 exec, exec, s[46:47]
.LBB46_130:                             ;   in Loop: Header=BB46_125 Depth=1
	s_or_b64 exec, exec, s[44:45]
	v_cmp_eq_u16_sdwa s[44:45], v5, v57 src0_sel:BYTE_0 src1_sel:DWORD
	v_and_b32_e32 v8, s45, v7
	v_and_b32_e32 v60, 0xffffff, v4
	v_or_b32_e32 v8, 0x80000000, v8
	ds_bpermute_b32 v61, v18, v60
	v_and_b32_e32 v9, s44, v6
	v_ffbl_b32_e32 v8, v8
	v_add_u32_e32 v8, 32, v8
	v_ffbl_b32_e32 v9, v9
	v_min_u32_e32 v8, v9, v8
	v_lshrrev_b32_e32 v9, 16, v4
	v_cmp_le_u32_e32 vcc, v20, v8
	v_bfe_u32 v59, v4, 16, 8
	s_and_saveexec_b64 s[44:45], vcc
	s_cbranch_execz .LBB46_132
; %bb.131:                              ;   in Loop: Header=BB46_125 Depth=1
	v_and_b32_e32 v9, 0xff0000, v4
	s_waitcnt lgkmcnt(0)
	v_add_f16_e32 v59, v4, v61
	v_cmp_eq_u32_e32 vcc, 0, v9
	v_and_b32_e32 v9, 0x10000, v9
	v_cndmask_b32_e32 v4, v4, v59, vcc
	v_and_b32_sdwa v59, v61, v58 dst_sel:DWORD dst_unused:UNUSED_PAD src0_sel:WORD_1 src1_sel:DWORD
	v_cmp_ne_u32_e32 vcc, 0, v9
	v_cndmask_b32_e64 v9, v59, 1, vcc
	v_lshlrev_b32_e32 v59, 16, v9
	v_or_b32_sdwa v60, v59, v4 dst_sel:DWORD dst_unused:UNUSED_PAD src0_sel:DWORD src1_sel:WORD_0
	v_mov_b32_e32 v59, v9
.LBB46_132:                             ;   in Loop: Header=BB46_125 Depth=1
	s_or_b64 exec, exec, s[44:45]
	s_waitcnt lgkmcnt(0)
	ds_bpermute_b32 v61, v21, v60
	v_cmp_le_u32_e32 vcc, v22, v8
	s_and_saveexec_b64 s[44:45], vcc
	s_cbranch_execz .LBB46_134
; %bb.133:                              ;   in Loop: Header=BB46_125 Depth=1
	s_waitcnt lgkmcnt(0)
	v_add_f16_e32 v9, v4, v61
	v_cmp_eq_u16_e32 vcc, 0, v59
	v_cndmask_b32_e32 v4, v4, v9, vcc
	v_and_b32_e32 v9, 1, v59
	v_and_b32_sdwa v59, v61, v58 dst_sel:DWORD dst_unused:UNUSED_PAD src0_sel:WORD_1 src1_sel:DWORD
	v_cmp_eq_u32_e32 vcc, 1, v9
	v_cndmask_b32_e64 v9, v59, 1, vcc
	v_lshlrev_b32_e32 v59, 16, v9
	v_or_b32_sdwa v60, v59, v4 dst_sel:DWORD dst_unused:UNUSED_PAD src0_sel:DWORD src1_sel:WORD_0
	v_mov_b32_e32 v59, v9
.LBB46_134:                             ;   in Loop: Header=BB46_125 Depth=1
	s_or_b64 exec, exec, s[44:45]
	s_waitcnt lgkmcnt(0)
	ds_bpermute_b32 v61, v23, v60
	v_cmp_le_u32_e32 vcc, v24, v8
	s_and_saveexec_b64 s[44:45], vcc
	s_cbranch_execz .LBB46_136
; %bb.135:                              ;   in Loop: Header=BB46_125 Depth=1
	s_waitcnt lgkmcnt(0)
	v_add_f16_e32 v9, v4, v61
	v_cmp_eq_u16_e32 vcc, 0, v59
	v_cndmask_b32_e32 v4, v4, v9, vcc
	v_and_b32_e32 v9, 1, v59
	v_and_b32_sdwa v59, v61, v58 dst_sel:DWORD dst_unused:UNUSED_PAD src0_sel:WORD_1 src1_sel:DWORD
	v_cmp_eq_u32_e32 vcc, 1, v9
	v_cndmask_b32_e64 v9, v59, 1, vcc
	v_lshlrev_b32_e32 v59, 16, v9
	v_or_b32_sdwa v60, v59, v4 dst_sel:DWORD dst_unused:UNUSED_PAD src0_sel:DWORD src1_sel:WORD_0
	v_mov_b32_e32 v59, v9
.LBB46_136:                             ;   in Loop: Header=BB46_125 Depth=1
	;; [unrolled: 19-line block ×4, first 2 shown]
	s_or_b64 exec, exec, s[44:45]
	ds_bpermute_b32 v60, v55, v60
	v_cmp_le_u32_e32 vcc, v56, v8
	s_and_saveexec_b64 s[44:45], vcc
	s_cbranch_execz .LBB46_123
; %bb.141:                              ;   in Loop: Header=BB46_125 Depth=1
	s_waitcnt lgkmcnt(0)
	v_add_f16_e32 v8, v4, v60
	v_cmp_eq_u16_e32 vcc, 0, v59
	v_cndmask_b32_e32 v4, v4, v8, vcc
	v_and_b32_e32 v8, 1, v59
	v_lshrrev_b32_e32 v9, 16, v60
	v_cmp_eq_u32_e32 vcc, 1, v8
	v_cndmask_b32_e64 v9, v9, 1, vcc
	s_branch .LBB46_123
.LBB46_142:
	s_or_b64 exec, exec, s[46:47]
                                        ; implicit-def: $vgpr19
	s_and_saveexec_b64 s[2:3], s[34:35]
	s_cbranch_execz .LBB46_33
.LBB46_143:
	global_load_ushort v19, v[1:2], off offset:512
	s_or_b64 exec, exec, s[2:3]
                                        ; implicit-def: $vgpr20
	s_and_saveexec_b64 s[2:3], s[8:9]
	s_cbranch_execnz .LBB46_34
.LBB46_144:
	s_or_b64 exec, exec, s[2:3]
                                        ; implicit-def: $vgpr21
	s_and_saveexec_b64 s[2:3], s[10:11]
	s_cbranch_execz .LBB46_35
.LBB46_145:
	global_load_ushort v21, v[1:2], off offset:1536
	s_or_b64 exec, exec, s[2:3]
                                        ; implicit-def: $vgpr22
	s_and_saveexec_b64 s[2:3], s[12:13]
	s_cbranch_execnz .LBB46_36
.LBB46_146:
	s_or_b64 exec, exec, s[2:3]
                                        ; implicit-def: $vgpr23
	s_and_saveexec_b64 s[2:3], s[14:15]
	s_cbranch_execz .LBB46_37
.LBB46_147:
	global_load_ushort v23, v[1:2], off offset:2560
	s_or_b64 exec, exec, s[2:3]
                                        ; implicit-def: $vgpr24
	s_and_saveexec_b64 s[2:3], s[16:17]
	s_cbranch_execnz .LBB46_38
.LBB46_148:
	s_or_b64 exec, exec, s[2:3]
                                        ; implicit-def: $vgpr25
	s_and_saveexec_b64 s[2:3], s[18:19]
	s_cbranch_execz .LBB46_39
.LBB46_149:
	global_load_ushort v25, v[1:2], off offset:3584
	s_or_b64 exec, exec, s[2:3]
                                        ; implicit-def: $vgpr30
	s_and_saveexec_b64 s[2:3], s[20:21]
	s_cbranch_execnz .LBB46_40
.LBB46_150:
	s_or_b64 exec, exec, s[2:3]
                                        ; implicit-def: $vgpr31
	s_and_saveexec_b64 s[2:3], s[22:23]
	s_cbranch_execz .LBB46_41
.LBB46_151:
	v_add_co_u32_e32 v31, vcc, 0x1000, v1
	v_addc_co_u32_e32 v32, vcc, 0, v2, vcc
	global_load_ushort v31, v[31:32], off offset:512
	s_or_b64 exec, exec, s[2:3]
                                        ; implicit-def: $vgpr32
	s_and_saveexec_b64 s[2:3], s[24:25]
	s_cbranch_execnz .LBB46_42
.LBB46_152:
	s_or_b64 exec, exec, s[2:3]
                                        ; implicit-def: $vgpr33
	s_and_saveexec_b64 s[2:3], s[26:27]
	s_cbranch_execz .LBB46_43
.LBB46_153:
	v_add_co_u32_e32 v33, vcc, 0x1000, v1
	v_addc_co_u32_e32 v34, vcc, 0, v2, vcc
	global_load_ushort v33, v[33:34], off offset:1536
	s_or_b64 exec, exec, s[2:3]
                                        ; implicit-def: $vgpr34
	s_and_saveexec_b64 s[2:3], s[28:29]
	s_cbranch_execz .LBB46_45
	s_branch .LBB46_44
.LBB46_154:
                                        ; implicit-def: $vgpr22
                                        ; implicit-def: $vgpr20
                                        ; implicit-def: $vgpr21
                                        ; implicit-def: $vgpr18
                                        ; implicit-def: $vgpr16
                                        ; implicit-def: $vgpr3
                                        ; implicit-def: $vgpr15
                                        ; implicit-def: $vgpr14
                                        ; implicit-def: $vgpr4
                                        ; implicit-def: $vgpr9
                                        ; implicit-def: $vgpr8
                                        ; implicit-def: $vgpr5
                                        ; implicit-def: $vgpr7
                                        ; implicit-def: $vgpr6
	s_cbranch_execnz .LBB46_162
	s_branch .LBB46_193
.LBB46_155:
	s_and_saveexec_b64 s[44:45], s[30:31]
	s_cbranch_execz .LBB46_157
; %bb.156:
	v_and_b32_e32 v2, 0xff0000, v1
	v_add_f16_e32 v3, v1, v54
	v_cmp_eq_u32_e32 vcc, 0, v2
	s_mov_b32 s7, 0
	v_cndmask_b32_e32 v2, v1, v3, vcc
	v_and_b32_e32 v1, 0x10000, v1
	v_mov_b32_e32 v3, 1
	s_add_i32 s6, s6, 64
	v_and_b32_sdwa v3, v29, v3 dst_sel:WORD_1 dst_unused:UNUSED_PAD src0_sel:DWORD src1_sel:DWORD
	v_mov_b32_e32 v4, 0x10000
	v_cmp_eq_u32_e32 vcc, 0, v1
	s_lshl_b64 s[6:7], s[6:7], 3
	v_cndmask_b32_e32 v1, v4, v3, vcc
	s_add_u32 s6, s40, s6
	s_addc_u32 s7, s41, s7
	v_mov_b32_e32 v3, 0
	v_or_b32_sdwa v1, v1, v2 dst_sel:DWORD dst_unused:UNUSED_PAD src0_sel:DWORD src1_sel:WORD_0
	v_mov_b32_e32 v2, 2
	global_store_dwordx2 v3, v[1:2], s[6:7]
.LBB46_157:
	s_or_b64 exec, exec, s[44:45]
	v_cmp_eq_u32_e32 vcc, 0, v0
	s_and_b64 exec, exec, vcc
	s_cbranch_execz .LBB46_159
; %bb.158:
	v_mov_b32_e32 v1, 0
	ds_write_b16 v1, v54 offset:12
	ds_write_b8 v1, v29 offset:14
.LBB46_159:
	s_or_b64 exec, exec, s[36:37]
	v_mov_b32_e32 v1, 0
	s_waitcnt vmcnt(0) lgkmcnt(0)
	s_barrier
	ds_read_b32 v2, v1 offset:12
	v_cmp_ne_u32_e32 vcc, 0, v0
	v_mov_b32_e32 v3, v17
	v_mov_b32_e32 v4, v17
	;; [unrolled: 1-line block ×3, first 2 shown]
	s_and_saveexec_b64 s[6:7], vcc
	s_cbranch_execz .LBB46_161
; %bb.160:
	s_mov_b64 vcc, s[30:31]
	v_cndmask_b32_e64 v3, v16, v14, s[30:31]
	v_cndmask_b32_sdwa v4, v16, v15, vcc dst_sel:DWORD dst_unused:UNUSED_PAD src0_sel:WORD_1 src1_sel:DWORD
	v_add_f16_e32 v3, v3, v17
	v_cmp_eq_u16_sdwa vcc, v51, v1 src0_sel:BYTE_0 src1_sel:DWORD
	v_and_b32_e32 v5, 1, v51
	v_cndmask_b32_e32 v3, v17, v3, vcc
	v_and_b32_e32 v4, 1, v4
	v_cmp_eq_u32_e32 vcc, 1, v5
	v_cndmask_b32_e64 v5, v4, 1, vcc
	v_mov_b32_e32 v4, v3
.LBB46_161:
	s_or_b64 exec, exec, s[6:7]
	s_waitcnt lgkmcnt(0)
	v_add_f16_e32 v2, v3, v2
	v_cmp_eq_u16_sdwa vcc, v5, v1 src0_sel:BYTE_0 src1_sel:DWORD
	v_cndmask_b32_e32 v21, v4, v2, vcc
	v_add_f16_e32 v1, v49, v21
	v_cndmask_b32_e64 v3, v49, v1, s[34:35]
	v_add_f16_e32 v1, v3, v48
	v_cndmask_b32_e64 v4, v48, v1, s[8:9]
	;; [unrolled: 2-line block ×13, first 2 shown]
	s_branch .LBB46_193
.LBB46_162:
	s_cmp_lg_u64 s[48:49], 0
	s_cselect_b64 s[6:7], -1, 0
	v_cmp_eq_u32_e32 vcc, 0, v0
	v_cmp_ne_u32_e64 s[2:3], 0, v0
	s_and_b64 s[6:7], vcc, s[6:7]
	s_and_saveexec_b64 s[8:9], s[6:7]
	s_cbranch_execz .LBB46_166
; %bb.163:
	v_mov_b32_e32 v2, 0
	global_load_ubyte v1, v2, s[48:49] offset:2
	v_cmp_eq_u16_sdwa s[10:11], v51, v2 src0_sel:BYTE_0 src1_sel:DWORD
	s_and_saveexec_b64 s[6:7], s[10:11]
	s_cbranch_execz .LBB46_165
; %bb.164:
	global_load_ushort v2, v2, s[48:49]
	s_waitcnt vmcnt(0)
	v_add_f16_e32 v17, v2, v17
.LBB46_165:
	s_or_b64 exec, exec, s[6:7]
	v_and_b32_e32 v2, 1, v51
	s_waitcnt vmcnt(0)
	v_and_b32_e32 v1, 1, v1
	v_cmp_eq_u32_e64 s[6:7], 1, v2
	v_cndmask_b32_e64 v51, v1, 1, s[6:7]
.LBB46_166:
	s_or_b64 exec, exec, s[8:9]
	v_mov_b32_e32 v1, 0
	v_add_f16_e32 v2, v49, v17
	v_cmp_eq_u16_sdwa s[8:9], v44, v1 src0_sel:BYTE_0 src1_sel:DWORD
	v_cndmask_b32_e64 v3, v49, v2, s[8:9]
	v_add_f16_e32 v2, v3, v48
	v_cmp_eq_u16_sdwa s[10:11], v45, v1 src0_sel:BYTE_0 src1_sel:DWORD
	v_cndmask_b32_e64 v4, v48, v2, s[10:11]
	v_add_f16_e32 v2, v4, v43
	v_cmp_eq_u16_sdwa s[12:13], v53, v1 src0_sel:BYTE_0 src1_sel:DWORD
	v_cndmask_b32_e64 v5, v43, v2, s[12:13]
	v_add_f16_e32 v2, v5, v41
	v_cmp_eq_u16_sdwa s[14:15], v52, v1 src0_sel:BYTE_0 src1_sel:DWORD
	v_cndmask_b32_e64 v6, v41, v2, s[14:15]
	v_add_f16_e32 v2, v6, v40
	v_cmp_eq_u16_sdwa s[16:17], v50, v1 src0_sel:BYTE_0 src1_sel:DWORD
	v_cndmask_b32_e64 v7, v40, v2, s[16:17]
	v_add_f16_e32 v2, v7, v39
	v_cmp_eq_u16_sdwa s[18:19], v46, v1 src0_sel:BYTE_0 src1_sel:DWORD
	v_cndmask_b32_e64 v8, v39, v2, s[18:19]
	v_add_f16_e32 v2, v8, v36
	v_cmp_eq_u16_sdwa s[20:21], v47, v1 src0_sel:BYTE_0 src1_sel:DWORD
	v_cndmask_b32_e64 v9, v36, v2, s[20:21]
	v_add_f16_e32 v2, v9, v33
	v_cmp_eq_u16_sdwa s[22:23], v42, v1 src0_sel:BYTE_0 src1_sel:DWORD
	v_cndmask_b32_e64 v14, v33, v2, s[22:23]
	v_or_b32_e32 v2, v45, v46
	v_or_b32_e32 v15, v52, v42
	;; [unrolled: 1-line block ×5, first 2 shown]
	v_add_f16_e32 v15, v14, v32
	v_cmp_eq_u16_sdwa s[24:25], v38, v1 src0_sel:BYTE_0 src1_sel:DWORD
	v_or_b32_e32 v16, v16, v18
	v_cndmask_b32_e64 v15, v32, v15, s[24:25]
	v_or_b32_e32 v2, v16, v2
	v_add_f16_e32 v16, v15, v19
	v_cmp_eq_u16_sdwa s[26:27], v34, v1 src0_sel:BYTE_0 src1_sel:DWORD
	v_cndmask_b32_e64 v16, v19, v16, s[26:27]
	v_add_f16_e32 v18, v16, v31
	v_cmp_eq_u16_sdwa s[28:29], v37, v1 src0_sel:BYTE_0 src1_sel:DWORD
	v_or_b32_e32 v21, v38, v37
	v_or_b32_e32 v22, v34, v35
	v_cndmask_b32_e64 v18, v31, v18, s[28:29]
	v_or_b32_e32 v21, v21, v22
	v_add_f16_e32 v20, v18, v30
	v_cmp_eq_u16_sdwa s[30:31], v35, v1 src0_sel:BYTE_0 src1_sel:DWORD
	v_or_b32_e32 v2, v21, v2
	v_cndmask_b32_e64 v20, v30, v20, s[30:31]
	v_cmp_eq_u16_sdwa s[6:7], v2, v1 src0_sel:BYTE_0 src1_sel:DWORD
	v_cndmask_b32_e64 v2, 1, v51, s[6:7]
	v_add_f16_e32 v1, v20, v10
	v_cmp_eq_u16_e64 s[6:7], 0, v11
	v_cmp_eq_u32_e64 s[34:35], 1, v12
	v_cndmask_b32_e64 v11, v10, v1, s[6:7]
	v_cndmask_b32_e64 v12, v2, 1, s[34:35]
	v_mbcnt_hi_u32_b32 v2, -1, v13
	v_and_b32_e32 v23, 0xff, v12
	v_and_b32_e32 v13, 0xffff, v11
	;; [unrolled: 1-line block ×3, first 2 shown]
	v_lshl_or_b32 v13, v23, 16, v13
	v_cmp_ne_u32_e64 s[34:35], 0, v22
	s_nop 0
	v_mov_b32_dpp v21, v13 row_shr:1 row_mask:0xf bank_mask:0xf
	s_and_saveexec_b64 s[36:37], s[34:35]
	s_cbranch_execz .LBB46_168
; %bb.167:
	v_add_f16_e32 v13, v11, v21
	v_cmp_eq_u16_e64 s[34:35], 0, v23
	v_cndmask_b32_e64 v11, v11, v13, s[34:35]
	v_and_b32_e32 v12, 1, v12
	v_mov_b32_e32 v13, 1
	v_and_b32_sdwa v13, v21, v13 dst_sel:DWORD dst_unused:UNUSED_PAD src0_sel:WORD_1 src1_sel:DWORD
	v_cmp_eq_u32_e64 s[34:35], 1, v12
	v_cndmask_b32_e64 v12, v13, 1, s[34:35]
	v_lshlrev_b32_e32 v13, 16, v12
	v_or_b32_sdwa v13, v13, v11 dst_sel:DWORD dst_unused:UNUSED_PAD src0_sel:DWORD src1_sel:WORD_0
.LBB46_168:
	s_or_b64 exec, exec, s[36:37]
	v_lshrrev_b32_e32 v21, 16, v13
	v_mov_b32_dpp v23, v13 row_shr:2 row_mask:0xf bank_mask:0xf
	v_cmp_lt_u32_e64 s[34:35], 1, v22
	s_and_saveexec_b64 s[36:37], s[34:35]
	s_cbranch_execz .LBB46_170
; %bb.169:
	s_mov_b32 s34, 0x10000
	v_add_f16_e32 v12, v11, v23
	v_cmp_gt_u32_e64 s[34:35], s34, v13
	v_cndmask_b32_e64 v11, v11, v12, s[34:35]
	v_and_b32_e32 v12, 0x10000, v13
	v_mov_b32_e32 v13, 1
	v_and_b32_sdwa v13, v23, v13 dst_sel:DWORD dst_unused:UNUSED_PAD src0_sel:WORD_1 src1_sel:DWORD
	v_cmp_ne_u32_e64 s[34:35], 0, v12
	v_cndmask_b32_e64 v12, v13, 1, s[34:35]
	v_lshlrev_b32_e32 v13, 16, v12
	v_or_b32_sdwa v13, v13, v11 dst_sel:DWORD dst_unused:UNUSED_PAD src0_sel:DWORD src1_sel:WORD_0
	v_mov_b32_e32 v21, v12
.LBB46_170:
	s_or_b64 exec, exec, s[36:37]
	v_mov_b32_dpp v23, v13 row_shr:4 row_mask:0xf bank_mask:0xf
	v_cmp_lt_u32_e64 s[34:35], 3, v22
	s_and_saveexec_b64 s[36:37], s[34:35]
	s_cbranch_execz .LBB46_172
; %bb.171:
	v_add_f16_e32 v12, v11, v23
	v_cmp_eq_u16_e64 s[34:35], 0, v21
	v_cndmask_b32_e64 v11, v11, v12, s[34:35]
	v_and_b32_e32 v12, 1, v21
	v_mov_b32_e32 v13, 1
	v_and_b32_sdwa v13, v23, v13 dst_sel:DWORD dst_unused:UNUSED_PAD src0_sel:WORD_1 src1_sel:DWORD
	v_cmp_eq_u32_e64 s[34:35], 1, v12
	v_cndmask_b32_e64 v12, v13, 1, s[34:35]
	v_lshlrev_b32_e32 v13, 16, v12
	v_or_b32_sdwa v13, v13, v11 dst_sel:DWORD dst_unused:UNUSED_PAD src0_sel:DWORD src1_sel:WORD_0
	v_mov_b32_e32 v21, v12
.LBB46_172:
	s_or_b64 exec, exec, s[36:37]
	v_mov_b32_dpp v23, v13 row_shr:8 row_mask:0xf bank_mask:0xf
	v_cmp_lt_u32_e64 s[34:35], 7, v22
	s_and_saveexec_b64 s[36:37], s[34:35]
	s_cbranch_execz .LBB46_174
; %bb.173:
	v_add_f16_e32 v12, v11, v23
	v_cmp_eq_u16_e64 s[34:35], 0, v21
	v_cndmask_b32_e64 v11, v11, v12, s[34:35]
	v_and_b32_e32 v12, 1, v21
	v_mov_b32_e32 v13, 1
	v_and_b32_sdwa v13, v23, v13 dst_sel:DWORD dst_unused:UNUSED_PAD src0_sel:WORD_1 src1_sel:DWORD
	v_cmp_eq_u32_e64 s[34:35], 1, v12
	v_cndmask_b32_e64 v12, v13, 1, s[34:35]
	v_lshlrev_b32_e32 v13, 16, v12
	v_or_b32_sdwa v13, v13, v11 dst_sel:DWORD dst_unused:UNUSED_PAD src0_sel:DWORD src1_sel:WORD_0
	v_mov_b32_e32 v21, v12
.LBB46_174:
	s_or_b64 exec, exec, s[36:37]
	v_and_b32_e32 v23, 16, v2
	v_mov_b32_dpp v22, v13 row_bcast:15 row_mask:0xf bank_mask:0xf
	v_cmp_ne_u32_e64 s[34:35], 0, v23
	s_and_saveexec_b64 s[36:37], s[34:35]
	s_cbranch_execz .LBB46_176
; %bb.175:
	v_add_f16_e32 v12, v11, v22
	v_cmp_eq_u16_e64 s[34:35], 0, v21
	v_cndmask_b32_e64 v11, v11, v12, s[34:35]
	v_and_b32_e32 v12, 1, v21
	v_mov_b32_e32 v13, 1
	v_and_b32_sdwa v13, v22, v13 dst_sel:DWORD dst_unused:UNUSED_PAD src0_sel:WORD_1 src1_sel:DWORD
	v_cmp_eq_u32_e64 s[34:35], 1, v12
	v_cndmask_b32_e64 v12, v13, 1, s[34:35]
	v_lshlrev_b32_e32 v13, 16, v12
	v_or_b32_sdwa v13, v13, v11 dst_sel:DWORD dst_unused:UNUSED_PAD src0_sel:DWORD src1_sel:WORD_0
	v_mov_b32_e32 v21, v12
.LBB46_176:
	s_or_b64 exec, exec, s[36:37]
	v_mov_b32_dpp v13, v13 row_bcast:31 row_mask:0xf bank_mask:0xf
	v_cmp_lt_u32_e64 s[34:35], 31, v2
	s_and_saveexec_b64 s[36:37], s[34:35]
; %bb.177:
	v_and_b32_e32 v12, 1, v21
	v_mov_b32_e32 v23, 1
	v_add_f16_e32 v22, v11, v13
	v_and_b32_sdwa v13, v13, v23 dst_sel:DWORD dst_unused:UNUSED_PAD src0_sel:WORD_1 src1_sel:DWORD
	v_cmp_eq_u32_e64 s[34:35], 1, v12
	v_cndmask_b32_e64 v12, v13, 1, s[34:35]
	v_cmp_eq_u16_e64 s[34:35], 0, v21
	v_cndmask_b32_e64 v11, v11, v22, s[34:35]
; %bb.178:
	s_or_b64 exec, exec, s[36:37]
	v_lshrrev_b32_e32 v13, 6, v0
	v_or_b32_e32 v21, 63, v0
	v_cmp_eq_u32_e64 s[34:35], v0, v21
	v_lshlrev_b32_e32 v13, 2, v13
	s_and_saveexec_b64 s[36:37], s[34:35]
	s_cbranch_execz .LBB46_180
; %bb.179:
	ds_write_b16 v13, v11
	ds_write_b8 v13, v12 offset:2
.LBB46_180:
	s_or_b64 exec, exec, s[36:37]
	v_cmp_gt_u32_e64 s[34:35], 4, v0
	s_waitcnt lgkmcnt(0)
	s_barrier
	s_and_saveexec_b64 s[36:37], s[34:35]
	s_cbranch_execz .LBB46_186
; %bb.181:
	v_lshlrev_b32_e32 v21, 2, v0
	ds_read_b32 v23, v21
	v_and_b32_e32 v25, 3, v2
	v_cmp_ne_u32_e64 s[34:35], 0, v25
	s_waitcnt lgkmcnt(0)
	v_lshrrev_b32_e32 v24, 16, v23
	v_mov_b32_dpp v26, v23 row_shr:1 row_mask:0xf bank_mask:0xf
	v_mov_b32_e32 v22, v23
	s_and_saveexec_b64 s[44:45], s[34:35]
	s_cbranch_execz .LBB46_183
; %bb.182:
	v_mov_b32_e32 v22, 0
	v_add_f16_e32 v28, v23, v26
	v_cmp_eq_u16_sdwa s[34:35], v24, v22 src0_sel:BYTE_0 src1_sel:DWORD
	v_and_b32_e32 v27, 0xff000000, v23
	v_cndmask_b32_e64 v22, v23, v28, s[34:35]
	v_and_b32_e32 v23, 0x10000, v23
	v_mov_b32_e32 v24, 1
	v_and_b32_sdwa v24, v26, v24 dst_sel:DWORD dst_unused:UNUSED_PAD src0_sel:WORD_1 src1_sel:DWORD
	v_cmp_ne_u32_e64 s[34:35], 0, v23
	v_cndmask_b32_e64 v24, v24, 1, s[34:35]
	v_lshlrev_b32_e32 v23, 16, v24
	v_and_b32_e32 v26, 0xffff, v22
	v_or3_b32 v23, v23, v27, v26
.LBB46_183:
	s_or_b64 exec, exec, s[44:45]
	s_nop 0
	v_mov_b32_dpp v26, v23 row_shr:2 row_mask:0xf bank_mask:0xf
	v_cmp_lt_u32_e64 s[34:35], 1, v25
	s_and_saveexec_b64 s[44:45], s[34:35]
; %bb.184:
	v_and_b32_e32 v24, 0xff0000, v23
	v_add_f16_e32 v25, v22, v26
	v_cmp_eq_u32_e64 s[34:35], 0, v24
	v_and_b32_e32 v23, 0x10000, v23
	v_mov_b32_e32 v24, 1
	v_cndmask_b32_e64 v22, v22, v25, s[34:35]
	v_and_b32_sdwa v24, v26, v24 dst_sel:DWORD dst_unused:UNUSED_PAD src0_sel:WORD_1 src1_sel:DWORD
	v_cmp_eq_u32_e64 s[34:35], 0, v23
	v_cndmask_b32_e64 v24, 1, v24, s[34:35]
; %bb.185:
	s_or_b64 exec, exec, s[44:45]
	ds_write_b16 v21, v22
	ds_write_b8 v21, v24 offset:2
.LBB46_186:
	s_or_b64 exec, exec, s[36:37]
	v_cmp_lt_u32_e64 s[34:35], 63, v0
	v_mov_b32_e32 v21, 0
	s_waitcnt lgkmcnt(0)
	s_barrier
	s_and_saveexec_b64 s[36:37], s[34:35]
	s_cbranch_execz .LBB46_188
; %bb.187:
	v_add_u32_e32 v21, -4, v13
	ds_read_u16 v21, v21
	v_add_u32_e32 v13, -2, v13
	ds_read_u8 v13, v13
	v_mov_b32_e32 v22, 0
	v_cmp_eq_u16_sdwa s[34:35], v12, v22 src0_sel:BYTE_0 src1_sel:DWORD
	s_waitcnt lgkmcnt(1)
	v_add_f16_e32 v23, v11, v21
	v_and_b32_e32 v12, 1, v12
	v_cndmask_b32_e64 v11, v11, v23, s[34:35]
	v_cmp_eq_u32_e64 s[34:35], 1, v12
	s_waitcnt lgkmcnt(0)
	v_cndmask_b32_e64 v12, v13, 1, s[34:35]
.LBB46_188:
	s_or_b64 exec, exec, s[36:37]
	v_and_b32_e32 v12, 0xff, v12
	v_and_b32_e32 v11, 0xffff, v11
	v_lshl_or_b32 v11, v12, 16, v11
	v_add_u32_e32 v12, -1, v2
	v_and_b32_e32 v13, 64, v2
	v_cmp_lt_i32_e64 s[34:35], v12, v13
	v_cndmask_b32_e64 v12, v12, v2, s[34:35]
	v_lshlrev_b32_e32 v12, 2, v12
	ds_bpermute_b32 v11, v12, v11
	s_and_saveexec_b64 s[34:35], s[2:3]
	s_cbranch_execz .LBB46_190
; %bb.189:
	v_cmp_eq_u32_e64 s[2:3], 0, v2
	s_waitcnt lgkmcnt(0)
	v_cndmask_b32_e64 v1, v11, v21, s[2:3]
	v_mov_b32_e32 v2, 0
	v_add_f16_e32 v1, v1, v17
	v_cmp_eq_u16_sdwa s[2:3], v51, v2 src0_sel:BYTE_0 src1_sel:DWORD
	v_cndmask_b32_e64 v17, v17, v1, s[2:3]
	v_add_f16_e32 v1, v49, v17
	v_cndmask_b32_e64 v3, v49, v1, s[8:9]
	v_add_f16_e32 v1, v3, v48
	;; [unrolled: 2-line block ×13, first 2 shown]
.LBB46_190:
	s_or_b64 exec, exec, s[34:35]
	s_and_saveexec_b64 s[2:3], vcc
	s_cbranch_execz .LBB46_192
; %bb.191:
	v_mov_b32_e32 v2, 0
	s_waitcnt lgkmcnt(0)
	ds_read_u8 v11, v2 offset:14
	ds_read_u16 v12, v2 offset:12
	s_waitcnt lgkmcnt(1)
	v_lshlrev_b32_e32 v11, 16, v11
	s_waitcnt lgkmcnt(0)
	v_or_b32_e32 v11, v11, v12
	v_mov_b32_e32 v12, 2
	global_store_dwordx2 v2, v[11:12], s[40:41] offset:512
.LBB46_192:
	s_or_b64 exec, exec, s[2:3]
	v_cndmask_b32_e64 v22, v10, v1, s[6:7]
	v_mov_b32_e32 v21, v17
.LBB46_193:
	s_load_dwordx2 s[2:3], s[4:5], 0x18
	s_waitcnt lgkmcnt(0)
	s_add_u32 s2, s2, s38
	s_addc_u32 s3, s3, s39
	s_and_b64 vcc, exec, s[0:1]
	s_cbranch_vccz .LBB46_243
; %bb.194:
	s_add_i32 s33, s33, s42
	v_mul_u32_u24_e32 v1, 14, v0
	v_cmp_gt_u32_e32 vcc, s33, v1
	s_and_saveexec_b64 s[0:1], vcc
	s_cbranch_execz .LBB46_216
; %bb.195:
	v_or_b32_e32 v2, 1, v1
	v_cmp_gt_u32_e32 vcc, s33, v2
	s_and_saveexec_b64 s[4:5], vcc
	s_cbranch_execz .LBB46_215
; %bb.196:
	v_add_u32_e32 v2, 2, v1
	v_cmp_gt_u32_e32 vcc, s33, v2
	s_and_saveexec_b64 s[6:7], vcc
	s_cbranch_execz .LBB46_214
; %bb.197:
	v_add_u32_e32 v2, 3, v1
	;; [unrolled: 5-line block ×9, first 2 shown]
	v_cmp_gt_u32_e32 vcc, s33, v2
	s_and_saveexec_b64 s[22:23], vcc
; %bb.205:
	v_add_u32_e32 v2, 11, v1
	v_cmp_gt_u32_e32 vcc, s33, v2
	s_and_saveexec_b64 s[24:25], vcc
	s_or_b64 exec, exec, s[24:25]
; %bb.206:
	s_or_b64 exec, exec, s[22:23]
.LBB46_207:
	s_or_b64 exec, exec, s[20:21]
.LBB46_208:
	s_or_b64 exec, exec, s[18:19]
.LBB46_209:
	s_or_b64 exec, exec, s[16:17]
.LBB46_210:
	s_or_b64 exec, exec, s[14:15]
.LBB46_211:
	s_or_b64 exec, exec, s[12:13]
.LBB46_212:
	s_or_b64 exec, exec, s[10:11]
.LBB46_213:
	s_or_b64 exec, exec, s[8:9]
.LBB46_214:
	s_or_b64 exec, exec, s[6:7]
.LBB46_215:
	s_or_b64 exec, exec, s[4:5]
.LBB46_216:
	s_or_b64 exec, exec, s[0:1]
	s_mov_b32 s0, 0x5040100
	v_lshlrev_b32_e32 v29, 1, v1
	v_perm_b32 v1, v5, v4, s0
	v_perm_b32 v2, v3, v21, s0
	s_waitcnt vmcnt(0)
	s_barrier
	ds_write2_b32 v29, v2, v1 offset1:1
	v_perm_b32 v1, v9, v8, s0
	v_perm_b32 v2, v7, v6, s0
	ds_write2_b32 v29, v2, v1 offset0:2 offset1:3
	v_perm_b32 v1, v18, v16, s0
	v_perm_b32 v2, v15, v14, s0
	ds_write2_b32 v29, v2, v1 offset0:4 offset1:5
	v_perm_b32 v1, v22, v20, s0
	s_movk_i32 s0, 0xffe6
	ds_write_b32 v29, v1 offset:24
	v_mad_i32_i24 v1, v0, s0, v29
	s_waitcnt lgkmcnt(0)
	s_barrier
	ds_read_u16 v30, v1 offset:512
	ds_read_u16 v28, v1 offset:1024
	;; [unrolled: 1-line block ×13, first 2 shown]
	v_lshlrev_b32_e32 v1, 1, v0
	v_mov_b32_e32 v2, s3
	v_add_co_u32_e32 v1, vcc, s2, v1
	v_addc_co_u32_e32 v2, vcc, 0, v2, vcc
	v_cmp_gt_u32_e32 vcc, s33, v0
	s_and_saveexec_b64 s[0:1], vcc
	s_cbranch_execz .LBB46_218
; %bb.217:
	v_mul_i32_i24_e32 v31, 0xffffffe6, v0
	v_add_u32_e32 v29, v29, v31
	ds_read_u16 v29, v29
	s_waitcnt lgkmcnt(0)
	global_store_short v[1:2], v29, off
.LBB46_218:
	s_or_b64 exec, exec, s[0:1]
	v_or_b32_e32 v29, 0x100, v0
	v_cmp_gt_u32_e32 vcc, s33, v29
	s_and_saveexec_b64 s[0:1], vcc
	s_cbranch_execz .LBB46_220
; %bb.219:
	s_waitcnt lgkmcnt(12)
	global_store_short v[1:2], v30, off offset:512
.LBB46_220:
	s_or_b64 exec, exec, s[0:1]
	v_or_b32_e32 v29, 0x200, v0
	v_cmp_gt_u32_e32 vcc, s33, v29
	s_and_saveexec_b64 s[0:1], vcc
	s_cbranch_execz .LBB46_222
; %bb.221:
	s_waitcnt lgkmcnt(11)
	global_store_short v[1:2], v28, off offset:1024
.LBB46_222:
	s_or_b64 exec, exec, s[0:1]
	s_waitcnt lgkmcnt(11)
	v_or_b32_e32 v28, 0x300, v0
	v_cmp_gt_u32_e32 vcc, s33, v28
	s_and_saveexec_b64 s[0:1], vcc
	s_cbranch_execz .LBB46_224
; %bb.223:
	s_waitcnt lgkmcnt(10)
	global_store_short v[1:2], v27, off offset:1536
.LBB46_224:
	s_or_b64 exec, exec, s[0:1]
	s_waitcnt lgkmcnt(10)
	;; [unrolled: 10-line block ×6, first 2 shown]
	v_or_b32_e32 v23, 0x800, v0
	v_cmp_gt_u32_e32 vcc, s33, v23
	s_and_saveexec_b64 s[0:1], vcc
	s_cbranch_execz .LBB46_234
; %bb.233:
	v_add_co_u32_e32 v23, vcc, 0x1000, v1
	v_addc_co_u32_e32 v24, vcc, 0, v2, vcc
	s_waitcnt lgkmcnt(5)
	global_store_short v[23:24], v19, off
.LBB46_234:
	s_or_b64 exec, exec, s[0:1]
	s_waitcnt lgkmcnt(5)
	v_or_b32_e32 v19, 0x900, v0
	v_cmp_gt_u32_e32 vcc, s33, v19
	s_and_saveexec_b64 s[0:1], vcc
	s_cbranch_execz .LBB46_236
; %bb.235:
	v_add_co_u32_e32 v23, vcc, 0x1000, v1
	v_addc_co_u32_e32 v24, vcc, 0, v2, vcc
	s_waitcnt lgkmcnt(4)
	global_store_short v[23:24], v17, off offset:512
.LBB46_236:
	s_or_b64 exec, exec, s[0:1]
	s_waitcnt lgkmcnt(4)
	v_or_b32_e32 v17, 0xa00, v0
	v_cmp_gt_u32_e32 vcc, s33, v17
	s_and_saveexec_b64 s[0:1], vcc
	s_cbranch_execz .LBB46_238
; %bb.237:
	v_add_co_u32_e32 v23, vcc, 0x1000, v1
	v_addc_co_u32_e32 v24, vcc, 0, v2, vcc
	s_waitcnt lgkmcnt(3)
	global_store_short v[23:24], v13, off offset:1024
.LBB46_238:
	;; [unrolled: 12-line block ×4, first 2 shown]
	s_or_b64 exec, exec, s[0:1]
	v_or_b32_e32 v1, 0xd00, v0
	v_cmp_gt_u32_e64 s[0:1], s33, v1
	s_branch .LBB46_245
.LBB46_243:
	s_mov_b64 s[0:1], 0
                                        ; implicit-def: $vgpr10
	s_cbranch_execz .LBB46_245
; %bb.244:
	s_mov_b32 s4, 0x5040100
	v_mul_u32_u24_e32 v1, 28, v0
	v_perm_b32 v2, v5, v4, s4
	v_perm_b32 v3, v3, v21, s4
	s_waitcnt vmcnt(0) lgkmcnt(0)
	s_barrier
	ds_write2_b32 v1, v3, v2 offset1:1
	v_perm_b32 v2, v9, v8, s4
	v_perm_b32 v3, v7, v6, s4
	ds_write2_b32 v1, v3, v2 offset0:2 offset1:3
	v_perm_b32 v2, v18, v16, s4
	v_perm_b32 v3, v15, v14, s4
	ds_write2_b32 v1, v3, v2 offset0:4 offset1:5
	v_perm_b32 v2, v22, v20, s4
	ds_write_b32 v1, v2 offset:24
	v_mul_i32_i24_e32 v1, 0xffffffe6, v0
	v_mad_u32_u24 v1, v0, 28, v1
	s_waitcnt lgkmcnt(0)
	s_barrier
	ds_read_u16 v2, v1
	ds_read_u16 v3, v1 offset:512
	ds_read_u16 v4, v1 offset:1024
	;; [unrolled: 1-line block ×13, first 2 shown]
	v_lshlrev_b32_e32 v1, 1, v0
	v_mov_b32_e32 v16, s3
	v_add_co_u32_e32 v17, vcc, s2, v1
	v_addc_co_u32_e32 v16, vcc, 0, v16, vcc
	s_waitcnt lgkmcnt(13)
	global_store_short v1, v2, s[2:3]
	s_waitcnt lgkmcnt(12)
	global_store_short v1, v3, s[2:3] offset:512
	s_waitcnt lgkmcnt(11)
	global_store_short v1, v4, s[2:3] offset:1024
	;; [unrolled: 2-line block ×7, first 2 shown]
	v_add_co_u32_e32 v1, vcc, 0x1000, v17
	v_addc_co_u32_e32 v2, vcc, 0, v16, vcc
	s_or_b64 s[0:1], s[0:1], exec
	s_waitcnt lgkmcnt(5)
	global_store_short v[1:2], v11, off
	s_waitcnt lgkmcnt(4)
	global_store_short v[1:2], v12, off offset:512
	s_waitcnt lgkmcnt(3)
	global_store_short v[1:2], v13, off offset:1024
	;; [unrolled: 2-line block ×4, first 2 shown]
.LBB46_245:
	s_and_saveexec_b64 s[4:5], s[0:1]
	s_cbranch_execz .LBB46_247
; %bb.246:
	v_lshlrev_b32_e32 v0, 1, v0
	v_mov_b32_e32 v1, s3
	v_add_co_u32_e32 v0, vcc, s2, v0
	v_addc_co_u32_e32 v1, vcc, 0, v1, vcc
	v_add_co_u32_e32 v0, vcc, 0x1000, v0
	v_addc_co_u32_e32 v1, vcc, 0, v1, vcc
	s_waitcnt lgkmcnt(0)
	global_store_short v[0:1], v10, off offset:2560
	s_endpgm
.LBB46_247:
	s_endpgm
	.section	.rodata,"a",@progbits
	.p2align	6, 0x0
	.amdhsa_kernel _ZN7rocprim6detail25device_scan_by_key_kernelILNS0_25lookback_scan_determinismE0ELb0ENS0_26wrapped_scan_by_key_configINS_14default_configEi6__halfEEPiN6hipcub22TransformInputIteratorIS5_NS8_6CastOpIS5_EEPS5_lEESC_S5_NS8_8EqualityENS8_3SumENS0_19lookback_scan_stateINS_5tupleIJS5_bEEELb0ELb1EEES5_EEvT2_T3_T4_T5_T6_T7_T8_mmmPKNSH_IJT9_bEEE
		.amdhsa_group_segment_fixed_size 16384
		.amdhsa_private_segment_fixed_size 0
		.amdhsa_kernarg_size 80
		.amdhsa_user_sgpr_count 6
		.amdhsa_user_sgpr_private_segment_buffer 1
		.amdhsa_user_sgpr_dispatch_ptr 0
		.amdhsa_user_sgpr_queue_ptr 0
		.amdhsa_user_sgpr_kernarg_segment_ptr 1
		.amdhsa_user_sgpr_dispatch_id 0
		.amdhsa_user_sgpr_flat_scratch_init 0
		.amdhsa_user_sgpr_private_segment_size 0
		.amdhsa_uses_dynamic_stack 0
		.amdhsa_system_sgpr_private_segment_wavefront_offset 0
		.amdhsa_system_sgpr_workgroup_id_x 1
		.amdhsa_system_sgpr_workgroup_id_y 0
		.amdhsa_system_sgpr_workgroup_id_z 0
		.amdhsa_system_sgpr_workgroup_info 0
		.amdhsa_system_vgpr_workitem_id 0
		.amdhsa_next_free_vgpr 68
		.amdhsa_next_free_sgpr 98
		.amdhsa_reserve_vcc 1
		.amdhsa_reserve_flat_scratch 0
		.amdhsa_float_round_mode_32 0
		.amdhsa_float_round_mode_16_64 0
		.amdhsa_float_denorm_mode_32 3
		.amdhsa_float_denorm_mode_16_64 3
		.amdhsa_dx10_clamp 1
		.amdhsa_ieee_mode 1
		.amdhsa_fp16_overflow 0
		.amdhsa_exception_fp_ieee_invalid_op 0
		.amdhsa_exception_fp_denorm_src 0
		.amdhsa_exception_fp_ieee_div_zero 0
		.amdhsa_exception_fp_ieee_overflow 0
		.amdhsa_exception_fp_ieee_underflow 0
		.amdhsa_exception_fp_ieee_inexact 0
		.amdhsa_exception_int_div_zero 0
	.end_amdhsa_kernel
	.section	.text._ZN7rocprim6detail25device_scan_by_key_kernelILNS0_25lookback_scan_determinismE0ELb0ENS0_26wrapped_scan_by_key_configINS_14default_configEi6__halfEEPiN6hipcub22TransformInputIteratorIS5_NS8_6CastOpIS5_EEPS5_lEESC_S5_NS8_8EqualityENS8_3SumENS0_19lookback_scan_stateINS_5tupleIJS5_bEEELb0ELb1EEES5_EEvT2_T3_T4_T5_T6_T7_T8_mmmPKNSH_IJT9_bEEE,"axG",@progbits,_ZN7rocprim6detail25device_scan_by_key_kernelILNS0_25lookback_scan_determinismE0ELb0ENS0_26wrapped_scan_by_key_configINS_14default_configEi6__halfEEPiN6hipcub22TransformInputIteratorIS5_NS8_6CastOpIS5_EEPS5_lEESC_S5_NS8_8EqualityENS8_3SumENS0_19lookback_scan_stateINS_5tupleIJS5_bEEELb0ELb1EEES5_EEvT2_T3_T4_T5_T6_T7_T8_mmmPKNSH_IJT9_bEEE,comdat
.Lfunc_end46:
	.size	_ZN7rocprim6detail25device_scan_by_key_kernelILNS0_25lookback_scan_determinismE0ELb0ENS0_26wrapped_scan_by_key_configINS_14default_configEi6__halfEEPiN6hipcub22TransformInputIteratorIS5_NS8_6CastOpIS5_EEPS5_lEESC_S5_NS8_8EqualityENS8_3SumENS0_19lookback_scan_stateINS_5tupleIJS5_bEEELb0ELb1EEES5_EEvT2_T3_T4_T5_T6_T7_T8_mmmPKNSH_IJT9_bEEE, .Lfunc_end46-_ZN7rocprim6detail25device_scan_by_key_kernelILNS0_25lookback_scan_determinismE0ELb0ENS0_26wrapped_scan_by_key_configINS_14default_configEi6__halfEEPiN6hipcub22TransformInputIteratorIS5_NS8_6CastOpIS5_EEPS5_lEESC_S5_NS8_8EqualityENS8_3SumENS0_19lookback_scan_stateINS_5tupleIJS5_bEEELb0ELb1EEES5_EEvT2_T3_T4_T5_T6_T7_T8_mmmPKNSH_IJT9_bEEE
                                        ; -- End function
	.set _ZN7rocprim6detail25device_scan_by_key_kernelILNS0_25lookback_scan_determinismE0ELb0ENS0_26wrapped_scan_by_key_configINS_14default_configEi6__halfEEPiN6hipcub22TransformInputIteratorIS5_NS8_6CastOpIS5_EEPS5_lEESC_S5_NS8_8EqualityENS8_3SumENS0_19lookback_scan_stateINS_5tupleIJS5_bEEELb0ELb1EEES5_EEvT2_T3_T4_T5_T6_T7_T8_mmmPKNSH_IJT9_bEEE.num_vgpr, 68
	.set _ZN7rocprim6detail25device_scan_by_key_kernelILNS0_25lookback_scan_determinismE0ELb0ENS0_26wrapped_scan_by_key_configINS_14default_configEi6__halfEEPiN6hipcub22TransformInputIteratorIS5_NS8_6CastOpIS5_EEPS5_lEESC_S5_NS8_8EqualityENS8_3SumENS0_19lookback_scan_stateINS_5tupleIJS5_bEEELb0ELb1EEES5_EEvT2_T3_T4_T5_T6_T7_T8_mmmPKNSH_IJT9_bEEE.num_agpr, 0
	.set _ZN7rocprim6detail25device_scan_by_key_kernelILNS0_25lookback_scan_determinismE0ELb0ENS0_26wrapped_scan_by_key_configINS_14default_configEi6__halfEEPiN6hipcub22TransformInputIteratorIS5_NS8_6CastOpIS5_EEPS5_lEESC_S5_NS8_8EqualityENS8_3SumENS0_19lookback_scan_stateINS_5tupleIJS5_bEEELb0ELb1EEES5_EEvT2_T3_T4_T5_T6_T7_T8_mmmPKNSH_IJT9_bEEE.numbered_sgpr, 56
	.set _ZN7rocprim6detail25device_scan_by_key_kernelILNS0_25lookback_scan_determinismE0ELb0ENS0_26wrapped_scan_by_key_configINS_14default_configEi6__halfEEPiN6hipcub22TransformInputIteratorIS5_NS8_6CastOpIS5_EEPS5_lEESC_S5_NS8_8EqualityENS8_3SumENS0_19lookback_scan_stateINS_5tupleIJS5_bEEELb0ELb1EEES5_EEvT2_T3_T4_T5_T6_T7_T8_mmmPKNSH_IJT9_bEEE.num_named_barrier, 0
	.set _ZN7rocprim6detail25device_scan_by_key_kernelILNS0_25lookback_scan_determinismE0ELb0ENS0_26wrapped_scan_by_key_configINS_14default_configEi6__halfEEPiN6hipcub22TransformInputIteratorIS5_NS8_6CastOpIS5_EEPS5_lEESC_S5_NS8_8EqualityENS8_3SumENS0_19lookback_scan_stateINS_5tupleIJS5_bEEELb0ELb1EEES5_EEvT2_T3_T4_T5_T6_T7_T8_mmmPKNSH_IJT9_bEEE.private_seg_size, 0
	.set _ZN7rocprim6detail25device_scan_by_key_kernelILNS0_25lookback_scan_determinismE0ELb0ENS0_26wrapped_scan_by_key_configINS_14default_configEi6__halfEEPiN6hipcub22TransformInputIteratorIS5_NS8_6CastOpIS5_EEPS5_lEESC_S5_NS8_8EqualityENS8_3SumENS0_19lookback_scan_stateINS_5tupleIJS5_bEEELb0ELb1EEES5_EEvT2_T3_T4_T5_T6_T7_T8_mmmPKNSH_IJT9_bEEE.uses_vcc, 1
	.set _ZN7rocprim6detail25device_scan_by_key_kernelILNS0_25lookback_scan_determinismE0ELb0ENS0_26wrapped_scan_by_key_configINS_14default_configEi6__halfEEPiN6hipcub22TransformInputIteratorIS5_NS8_6CastOpIS5_EEPS5_lEESC_S5_NS8_8EqualityENS8_3SumENS0_19lookback_scan_stateINS_5tupleIJS5_bEEELb0ELb1EEES5_EEvT2_T3_T4_T5_T6_T7_T8_mmmPKNSH_IJT9_bEEE.uses_flat_scratch, 0
	.set _ZN7rocprim6detail25device_scan_by_key_kernelILNS0_25lookback_scan_determinismE0ELb0ENS0_26wrapped_scan_by_key_configINS_14default_configEi6__halfEEPiN6hipcub22TransformInputIteratorIS5_NS8_6CastOpIS5_EEPS5_lEESC_S5_NS8_8EqualityENS8_3SumENS0_19lookback_scan_stateINS_5tupleIJS5_bEEELb0ELb1EEES5_EEvT2_T3_T4_T5_T6_T7_T8_mmmPKNSH_IJT9_bEEE.has_dyn_sized_stack, 0
	.set _ZN7rocprim6detail25device_scan_by_key_kernelILNS0_25lookback_scan_determinismE0ELb0ENS0_26wrapped_scan_by_key_configINS_14default_configEi6__halfEEPiN6hipcub22TransformInputIteratorIS5_NS8_6CastOpIS5_EEPS5_lEESC_S5_NS8_8EqualityENS8_3SumENS0_19lookback_scan_stateINS_5tupleIJS5_bEEELb0ELb1EEES5_EEvT2_T3_T4_T5_T6_T7_T8_mmmPKNSH_IJT9_bEEE.has_recursion, 0
	.set _ZN7rocprim6detail25device_scan_by_key_kernelILNS0_25lookback_scan_determinismE0ELb0ENS0_26wrapped_scan_by_key_configINS_14default_configEi6__halfEEPiN6hipcub22TransformInputIteratorIS5_NS8_6CastOpIS5_EEPS5_lEESC_S5_NS8_8EqualityENS8_3SumENS0_19lookback_scan_stateINS_5tupleIJS5_bEEELb0ELb1EEES5_EEvT2_T3_T4_T5_T6_T7_T8_mmmPKNSH_IJT9_bEEE.has_indirect_call, 0
	.section	.AMDGPU.csdata,"",@progbits
; Kernel info:
; codeLenInByte = 12060
; TotalNumSgprs: 60
; NumVgprs: 68
; ScratchSize: 0
; MemoryBound: 0
; FloatMode: 240
; IeeeMode: 1
; LDSByteSize: 16384 bytes/workgroup (compile time only)
; SGPRBlocks: 12
; VGPRBlocks: 16
; NumSGPRsForWavesPerEU: 102
; NumVGPRsForWavesPerEU: 68
; Occupancy: 3
; WaveLimiterHint : 1
; COMPUTE_PGM_RSRC2:SCRATCH_EN: 0
; COMPUTE_PGM_RSRC2:USER_SGPR: 6
; COMPUTE_PGM_RSRC2:TRAP_HANDLER: 0
; COMPUTE_PGM_RSRC2:TGID_X_EN: 1
; COMPUTE_PGM_RSRC2:TGID_Y_EN: 0
; COMPUTE_PGM_RSRC2:TGID_Z_EN: 0
; COMPUTE_PGM_RSRC2:TIDIG_COMP_CNT: 0
	.section	.text._ZN7rocprim6detail25device_scan_by_key_kernelILNS0_25lookback_scan_determinismE0ELb0ENS0_26wrapped_scan_by_key_configINS_14default_configEi6__halfEEPiN6hipcub22TransformInputIteratorIS5_NS8_6CastOpIS5_EEPS5_lEESC_S5_NS8_8EqualityENS8_3MaxENS0_19lookback_scan_stateINS_5tupleIJS5_bEEELb1ELb1EEES5_EEvT2_T3_T4_T5_T6_T7_T8_mmmPKNSH_IJT9_bEEE,"axG",@progbits,_ZN7rocprim6detail25device_scan_by_key_kernelILNS0_25lookback_scan_determinismE0ELb0ENS0_26wrapped_scan_by_key_configINS_14default_configEi6__halfEEPiN6hipcub22TransformInputIteratorIS5_NS8_6CastOpIS5_EEPS5_lEESC_S5_NS8_8EqualityENS8_3MaxENS0_19lookback_scan_stateINS_5tupleIJS5_bEEELb1ELb1EEES5_EEvT2_T3_T4_T5_T6_T7_T8_mmmPKNSH_IJT9_bEEE,comdat
	.protected	_ZN7rocprim6detail25device_scan_by_key_kernelILNS0_25lookback_scan_determinismE0ELb0ENS0_26wrapped_scan_by_key_configINS_14default_configEi6__halfEEPiN6hipcub22TransformInputIteratorIS5_NS8_6CastOpIS5_EEPS5_lEESC_S5_NS8_8EqualityENS8_3MaxENS0_19lookback_scan_stateINS_5tupleIJS5_bEEELb1ELb1EEES5_EEvT2_T3_T4_T5_T6_T7_T8_mmmPKNSH_IJT9_bEEE ; -- Begin function _ZN7rocprim6detail25device_scan_by_key_kernelILNS0_25lookback_scan_determinismE0ELb0ENS0_26wrapped_scan_by_key_configINS_14default_configEi6__halfEEPiN6hipcub22TransformInputIteratorIS5_NS8_6CastOpIS5_EEPS5_lEESC_S5_NS8_8EqualityENS8_3MaxENS0_19lookback_scan_stateINS_5tupleIJS5_bEEELb1ELb1EEES5_EEvT2_T3_T4_T5_T6_T7_T8_mmmPKNSH_IJT9_bEEE
	.globl	_ZN7rocprim6detail25device_scan_by_key_kernelILNS0_25lookback_scan_determinismE0ELb0ENS0_26wrapped_scan_by_key_configINS_14default_configEi6__halfEEPiN6hipcub22TransformInputIteratorIS5_NS8_6CastOpIS5_EEPS5_lEESC_S5_NS8_8EqualityENS8_3MaxENS0_19lookback_scan_stateINS_5tupleIJS5_bEEELb1ELb1EEES5_EEvT2_T3_T4_T5_T6_T7_T8_mmmPKNSH_IJT9_bEEE
	.p2align	8
	.type	_ZN7rocprim6detail25device_scan_by_key_kernelILNS0_25lookback_scan_determinismE0ELb0ENS0_26wrapped_scan_by_key_configINS_14default_configEi6__halfEEPiN6hipcub22TransformInputIteratorIS5_NS8_6CastOpIS5_EEPS5_lEESC_S5_NS8_8EqualityENS8_3MaxENS0_19lookback_scan_stateINS_5tupleIJS5_bEEELb1ELb1EEES5_EEvT2_T3_T4_T5_T6_T7_T8_mmmPKNSH_IJT9_bEEE,@function
_ZN7rocprim6detail25device_scan_by_key_kernelILNS0_25lookback_scan_determinismE0ELb0ENS0_26wrapped_scan_by_key_configINS_14default_configEi6__halfEEPiN6hipcub22TransformInputIteratorIS5_NS8_6CastOpIS5_EEPS5_lEESC_S5_NS8_8EqualityENS8_3MaxENS0_19lookback_scan_stateINS_5tupleIJS5_bEEELb1ELb1EEES5_EEvT2_T3_T4_T5_T6_T7_T8_mmmPKNSH_IJT9_bEEE: ; @_ZN7rocprim6detail25device_scan_by_key_kernelILNS0_25lookback_scan_determinismE0ELb0ENS0_26wrapped_scan_by_key_configINS_14default_configEi6__halfEEPiN6hipcub22TransformInputIteratorIS5_NS8_6CastOpIS5_EEPS5_lEESC_S5_NS8_8EqualityENS8_3MaxENS0_19lookback_scan_stateINS_5tupleIJS5_bEEELb1ELb1EEES5_EEvT2_T3_T4_T5_T6_T7_T8_mmmPKNSH_IJT9_bEEE
; %bb.0:
	s_endpgm
	.section	.rodata,"a",@progbits
	.p2align	6, 0x0
	.amdhsa_kernel _ZN7rocprim6detail25device_scan_by_key_kernelILNS0_25lookback_scan_determinismE0ELb0ENS0_26wrapped_scan_by_key_configINS_14default_configEi6__halfEEPiN6hipcub22TransformInputIteratorIS5_NS8_6CastOpIS5_EEPS5_lEESC_S5_NS8_8EqualityENS8_3MaxENS0_19lookback_scan_stateINS_5tupleIJS5_bEEELb1ELb1EEES5_EEvT2_T3_T4_T5_T6_T7_T8_mmmPKNSH_IJT9_bEEE
		.amdhsa_group_segment_fixed_size 0
		.amdhsa_private_segment_fixed_size 0
		.amdhsa_kernarg_size 80
		.amdhsa_user_sgpr_count 6
		.amdhsa_user_sgpr_private_segment_buffer 1
		.amdhsa_user_sgpr_dispatch_ptr 0
		.amdhsa_user_sgpr_queue_ptr 0
		.amdhsa_user_sgpr_kernarg_segment_ptr 1
		.amdhsa_user_sgpr_dispatch_id 0
		.amdhsa_user_sgpr_flat_scratch_init 0
		.amdhsa_user_sgpr_private_segment_size 0
		.amdhsa_uses_dynamic_stack 0
		.amdhsa_system_sgpr_private_segment_wavefront_offset 0
		.amdhsa_system_sgpr_workgroup_id_x 1
		.amdhsa_system_sgpr_workgroup_id_y 0
		.amdhsa_system_sgpr_workgroup_id_z 0
		.amdhsa_system_sgpr_workgroup_info 0
		.amdhsa_system_vgpr_workitem_id 0
		.amdhsa_next_free_vgpr 1
		.amdhsa_next_free_sgpr 0
		.amdhsa_reserve_vcc 0
		.amdhsa_reserve_flat_scratch 0
		.amdhsa_float_round_mode_32 0
		.amdhsa_float_round_mode_16_64 0
		.amdhsa_float_denorm_mode_32 3
		.amdhsa_float_denorm_mode_16_64 3
		.amdhsa_dx10_clamp 1
		.amdhsa_ieee_mode 1
		.amdhsa_fp16_overflow 0
		.amdhsa_exception_fp_ieee_invalid_op 0
		.amdhsa_exception_fp_denorm_src 0
		.amdhsa_exception_fp_ieee_div_zero 0
		.amdhsa_exception_fp_ieee_overflow 0
		.amdhsa_exception_fp_ieee_underflow 0
		.amdhsa_exception_fp_ieee_inexact 0
		.amdhsa_exception_int_div_zero 0
	.end_amdhsa_kernel
	.section	.text._ZN7rocprim6detail25device_scan_by_key_kernelILNS0_25lookback_scan_determinismE0ELb0ENS0_26wrapped_scan_by_key_configINS_14default_configEi6__halfEEPiN6hipcub22TransformInputIteratorIS5_NS8_6CastOpIS5_EEPS5_lEESC_S5_NS8_8EqualityENS8_3MaxENS0_19lookback_scan_stateINS_5tupleIJS5_bEEELb1ELb1EEES5_EEvT2_T3_T4_T5_T6_T7_T8_mmmPKNSH_IJT9_bEEE,"axG",@progbits,_ZN7rocprim6detail25device_scan_by_key_kernelILNS0_25lookback_scan_determinismE0ELb0ENS0_26wrapped_scan_by_key_configINS_14default_configEi6__halfEEPiN6hipcub22TransformInputIteratorIS5_NS8_6CastOpIS5_EEPS5_lEESC_S5_NS8_8EqualityENS8_3MaxENS0_19lookback_scan_stateINS_5tupleIJS5_bEEELb1ELb1EEES5_EEvT2_T3_T4_T5_T6_T7_T8_mmmPKNSH_IJT9_bEEE,comdat
.Lfunc_end47:
	.size	_ZN7rocprim6detail25device_scan_by_key_kernelILNS0_25lookback_scan_determinismE0ELb0ENS0_26wrapped_scan_by_key_configINS_14default_configEi6__halfEEPiN6hipcub22TransformInputIteratorIS5_NS8_6CastOpIS5_EEPS5_lEESC_S5_NS8_8EqualityENS8_3MaxENS0_19lookback_scan_stateINS_5tupleIJS5_bEEELb1ELb1EEES5_EEvT2_T3_T4_T5_T6_T7_T8_mmmPKNSH_IJT9_bEEE, .Lfunc_end47-_ZN7rocprim6detail25device_scan_by_key_kernelILNS0_25lookback_scan_determinismE0ELb0ENS0_26wrapped_scan_by_key_configINS_14default_configEi6__halfEEPiN6hipcub22TransformInputIteratorIS5_NS8_6CastOpIS5_EEPS5_lEESC_S5_NS8_8EqualityENS8_3MaxENS0_19lookback_scan_stateINS_5tupleIJS5_bEEELb1ELb1EEES5_EEvT2_T3_T4_T5_T6_T7_T8_mmmPKNSH_IJT9_bEEE
                                        ; -- End function
	.set _ZN7rocprim6detail25device_scan_by_key_kernelILNS0_25lookback_scan_determinismE0ELb0ENS0_26wrapped_scan_by_key_configINS_14default_configEi6__halfEEPiN6hipcub22TransformInputIteratorIS5_NS8_6CastOpIS5_EEPS5_lEESC_S5_NS8_8EqualityENS8_3MaxENS0_19lookback_scan_stateINS_5tupleIJS5_bEEELb1ELb1EEES5_EEvT2_T3_T4_T5_T6_T7_T8_mmmPKNSH_IJT9_bEEE.num_vgpr, 0
	.set _ZN7rocprim6detail25device_scan_by_key_kernelILNS0_25lookback_scan_determinismE0ELb0ENS0_26wrapped_scan_by_key_configINS_14default_configEi6__halfEEPiN6hipcub22TransformInputIteratorIS5_NS8_6CastOpIS5_EEPS5_lEESC_S5_NS8_8EqualityENS8_3MaxENS0_19lookback_scan_stateINS_5tupleIJS5_bEEELb1ELb1EEES5_EEvT2_T3_T4_T5_T6_T7_T8_mmmPKNSH_IJT9_bEEE.num_agpr, 0
	.set _ZN7rocprim6detail25device_scan_by_key_kernelILNS0_25lookback_scan_determinismE0ELb0ENS0_26wrapped_scan_by_key_configINS_14default_configEi6__halfEEPiN6hipcub22TransformInputIteratorIS5_NS8_6CastOpIS5_EEPS5_lEESC_S5_NS8_8EqualityENS8_3MaxENS0_19lookback_scan_stateINS_5tupleIJS5_bEEELb1ELb1EEES5_EEvT2_T3_T4_T5_T6_T7_T8_mmmPKNSH_IJT9_bEEE.numbered_sgpr, 0
	.set _ZN7rocprim6detail25device_scan_by_key_kernelILNS0_25lookback_scan_determinismE0ELb0ENS0_26wrapped_scan_by_key_configINS_14default_configEi6__halfEEPiN6hipcub22TransformInputIteratorIS5_NS8_6CastOpIS5_EEPS5_lEESC_S5_NS8_8EqualityENS8_3MaxENS0_19lookback_scan_stateINS_5tupleIJS5_bEEELb1ELb1EEES5_EEvT2_T3_T4_T5_T6_T7_T8_mmmPKNSH_IJT9_bEEE.num_named_barrier, 0
	.set _ZN7rocprim6detail25device_scan_by_key_kernelILNS0_25lookback_scan_determinismE0ELb0ENS0_26wrapped_scan_by_key_configINS_14default_configEi6__halfEEPiN6hipcub22TransformInputIteratorIS5_NS8_6CastOpIS5_EEPS5_lEESC_S5_NS8_8EqualityENS8_3MaxENS0_19lookback_scan_stateINS_5tupleIJS5_bEEELb1ELb1EEES5_EEvT2_T3_T4_T5_T6_T7_T8_mmmPKNSH_IJT9_bEEE.private_seg_size, 0
	.set _ZN7rocprim6detail25device_scan_by_key_kernelILNS0_25lookback_scan_determinismE0ELb0ENS0_26wrapped_scan_by_key_configINS_14default_configEi6__halfEEPiN6hipcub22TransformInputIteratorIS5_NS8_6CastOpIS5_EEPS5_lEESC_S5_NS8_8EqualityENS8_3MaxENS0_19lookback_scan_stateINS_5tupleIJS5_bEEELb1ELb1EEES5_EEvT2_T3_T4_T5_T6_T7_T8_mmmPKNSH_IJT9_bEEE.uses_vcc, 0
	.set _ZN7rocprim6detail25device_scan_by_key_kernelILNS0_25lookback_scan_determinismE0ELb0ENS0_26wrapped_scan_by_key_configINS_14default_configEi6__halfEEPiN6hipcub22TransformInputIteratorIS5_NS8_6CastOpIS5_EEPS5_lEESC_S5_NS8_8EqualityENS8_3MaxENS0_19lookback_scan_stateINS_5tupleIJS5_bEEELb1ELb1EEES5_EEvT2_T3_T4_T5_T6_T7_T8_mmmPKNSH_IJT9_bEEE.uses_flat_scratch, 0
	.set _ZN7rocprim6detail25device_scan_by_key_kernelILNS0_25lookback_scan_determinismE0ELb0ENS0_26wrapped_scan_by_key_configINS_14default_configEi6__halfEEPiN6hipcub22TransformInputIteratorIS5_NS8_6CastOpIS5_EEPS5_lEESC_S5_NS8_8EqualityENS8_3MaxENS0_19lookback_scan_stateINS_5tupleIJS5_bEEELb1ELb1EEES5_EEvT2_T3_T4_T5_T6_T7_T8_mmmPKNSH_IJT9_bEEE.has_dyn_sized_stack, 0
	.set _ZN7rocprim6detail25device_scan_by_key_kernelILNS0_25lookback_scan_determinismE0ELb0ENS0_26wrapped_scan_by_key_configINS_14default_configEi6__halfEEPiN6hipcub22TransformInputIteratorIS5_NS8_6CastOpIS5_EEPS5_lEESC_S5_NS8_8EqualityENS8_3MaxENS0_19lookback_scan_stateINS_5tupleIJS5_bEEELb1ELb1EEES5_EEvT2_T3_T4_T5_T6_T7_T8_mmmPKNSH_IJT9_bEEE.has_recursion, 0
	.set _ZN7rocprim6detail25device_scan_by_key_kernelILNS0_25lookback_scan_determinismE0ELb0ENS0_26wrapped_scan_by_key_configINS_14default_configEi6__halfEEPiN6hipcub22TransformInputIteratorIS5_NS8_6CastOpIS5_EEPS5_lEESC_S5_NS8_8EqualityENS8_3MaxENS0_19lookback_scan_stateINS_5tupleIJS5_bEEELb1ELb1EEES5_EEvT2_T3_T4_T5_T6_T7_T8_mmmPKNSH_IJT9_bEEE.has_indirect_call, 0
	.section	.AMDGPU.csdata,"",@progbits
; Kernel info:
; codeLenInByte = 4
; TotalNumSgprs: 4
; NumVgprs: 0
; ScratchSize: 0
; MemoryBound: 0
; FloatMode: 240
; IeeeMode: 1
; LDSByteSize: 0 bytes/workgroup (compile time only)
; SGPRBlocks: 0
; VGPRBlocks: 0
; NumSGPRsForWavesPerEU: 4
; NumVGPRsForWavesPerEU: 1
; Occupancy: 10
; WaveLimiterHint : 0
; COMPUTE_PGM_RSRC2:SCRATCH_EN: 0
; COMPUTE_PGM_RSRC2:USER_SGPR: 6
; COMPUTE_PGM_RSRC2:TRAP_HANDLER: 0
; COMPUTE_PGM_RSRC2:TGID_X_EN: 1
; COMPUTE_PGM_RSRC2:TGID_Y_EN: 0
; COMPUTE_PGM_RSRC2:TGID_Z_EN: 0
; COMPUTE_PGM_RSRC2:TIDIG_COMP_CNT: 0
	.section	.text._ZN7rocprim6detail25device_scan_by_key_kernelILNS0_25lookback_scan_determinismE0ELb0ENS0_26wrapped_scan_by_key_configINS_14default_configEi6__halfEEPiN6hipcub22TransformInputIteratorIS5_NS8_6CastOpIS5_EEPS5_lEESC_S5_NS8_8EqualityENS8_3MaxENS0_19lookback_scan_stateINS_5tupleIJS5_bEEELb0ELb1EEES5_EEvT2_T3_T4_T5_T6_T7_T8_mmmPKNSH_IJT9_bEEE,"axG",@progbits,_ZN7rocprim6detail25device_scan_by_key_kernelILNS0_25lookback_scan_determinismE0ELb0ENS0_26wrapped_scan_by_key_configINS_14default_configEi6__halfEEPiN6hipcub22TransformInputIteratorIS5_NS8_6CastOpIS5_EEPS5_lEESC_S5_NS8_8EqualityENS8_3MaxENS0_19lookback_scan_stateINS_5tupleIJS5_bEEELb0ELb1EEES5_EEvT2_T3_T4_T5_T6_T7_T8_mmmPKNSH_IJT9_bEEE,comdat
	.protected	_ZN7rocprim6detail25device_scan_by_key_kernelILNS0_25lookback_scan_determinismE0ELb0ENS0_26wrapped_scan_by_key_configINS_14default_configEi6__halfEEPiN6hipcub22TransformInputIteratorIS5_NS8_6CastOpIS5_EEPS5_lEESC_S5_NS8_8EqualityENS8_3MaxENS0_19lookback_scan_stateINS_5tupleIJS5_bEEELb0ELb1EEES5_EEvT2_T3_T4_T5_T6_T7_T8_mmmPKNSH_IJT9_bEEE ; -- Begin function _ZN7rocprim6detail25device_scan_by_key_kernelILNS0_25lookback_scan_determinismE0ELb0ENS0_26wrapped_scan_by_key_configINS_14default_configEi6__halfEEPiN6hipcub22TransformInputIteratorIS5_NS8_6CastOpIS5_EEPS5_lEESC_S5_NS8_8EqualityENS8_3MaxENS0_19lookback_scan_stateINS_5tupleIJS5_bEEELb0ELb1EEES5_EEvT2_T3_T4_T5_T6_T7_T8_mmmPKNSH_IJT9_bEEE
	.globl	_ZN7rocprim6detail25device_scan_by_key_kernelILNS0_25lookback_scan_determinismE0ELb0ENS0_26wrapped_scan_by_key_configINS_14default_configEi6__halfEEPiN6hipcub22TransformInputIteratorIS5_NS8_6CastOpIS5_EEPS5_lEESC_S5_NS8_8EqualityENS8_3MaxENS0_19lookback_scan_stateINS_5tupleIJS5_bEEELb0ELb1EEES5_EEvT2_T3_T4_T5_T6_T7_T8_mmmPKNSH_IJT9_bEEE
	.p2align	8
	.type	_ZN7rocprim6detail25device_scan_by_key_kernelILNS0_25lookback_scan_determinismE0ELb0ENS0_26wrapped_scan_by_key_configINS_14default_configEi6__halfEEPiN6hipcub22TransformInputIteratorIS5_NS8_6CastOpIS5_EEPS5_lEESC_S5_NS8_8EqualityENS8_3MaxENS0_19lookback_scan_stateINS_5tupleIJS5_bEEELb0ELb1EEES5_EEvT2_T3_T4_T5_T6_T7_T8_mmmPKNSH_IJT9_bEEE,@function
_ZN7rocprim6detail25device_scan_by_key_kernelILNS0_25lookback_scan_determinismE0ELb0ENS0_26wrapped_scan_by_key_configINS_14default_configEi6__halfEEPiN6hipcub22TransformInputIteratorIS5_NS8_6CastOpIS5_EEPS5_lEESC_S5_NS8_8EqualityENS8_3MaxENS0_19lookback_scan_stateINS_5tupleIJS5_bEEELb0ELb1EEES5_EEvT2_T3_T4_T5_T6_T7_T8_mmmPKNSH_IJT9_bEEE: ; @_ZN7rocprim6detail25device_scan_by_key_kernelILNS0_25lookback_scan_determinismE0ELb0ENS0_26wrapped_scan_by_key_configINS_14default_configEi6__halfEEPiN6hipcub22TransformInputIteratorIS5_NS8_6CastOpIS5_EEPS5_lEESC_S5_NS8_8EqualityENS8_3MaxENS0_19lookback_scan_stateINS_5tupleIJS5_bEEELb0ELb1EEES5_EEvT2_T3_T4_T5_T6_T7_T8_mmmPKNSH_IJT9_bEEE
; %bb.0:
	s_load_dwordx4 s[0:3], s[4:5], 0x0
	s_load_dwordx8 s[40:47], s[4:5], 0x28
	s_load_dwordx2 s[36:37], s[4:5], 0x48
	s_mul_i32 s8, s6, 0xe00
	s_mov_b32 s9, 0
	s_lshl_b64 s[10:11], s[8:9], 2
	s_waitcnt lgkmcnt(0)
	s_add_u32 s50, s0, s10
	s_addc_u32 s51, s1, s11
	s_lshl_b64 s[38:39], s[8:9], 1
	s_add_u32 s48, s2, s38
	s_addc_u32 s49, s3, s39
	s_add_u32 s0, s44, s6
	s_addc_u32 s1, s45, 0
	s_add_u32 s2, s46, -1
	s_addc_u32 s3, s47, -1
	v_mov_b32_e32 v1, s2
	v_mov_b32_e32 v2, s3
	v_cmp_ge_u64_e64 s[0:1], s[0:1], v[1:2]
	s_mov_b64 s[22:23], -1
	s_and_b64 vcc, exec, s[0:1]
	s_mul_i32 s33, s2, 0xfffff200
	s_cbranch_vccz .LBB48_74
; %bb.1:
	s_load_dword s43, s[50:51], 0x0
	v_lshlrev_b32_e32 v3, 2, v0
	s_add_i32 s7, s33, s42
	v_mov_b32_e32 v2, s51
	v_add_co_u32_e32 v1, vcc, s50, v3
	v_addc_co_u32_e32 v2, vcc, 0, v2, vcc
	v_cmp_gt_u32_e64 s[2:3], s7, v0
	s_waitcnt lgkmcnt(0)
	v_mov_b32_e32 v4, s43
	s_and_saveexec_b64 s[8:9], s[2:3]
	s_cbranch_execz .LBB48_3
; %bb.2:
	global_load_dword v4, v[1:2], off
.LBB48_3:
	s_or_b64 exec, exec, s[8:9]
	v_or_b32_e32 v5, 0x100, v0
	v_cmp_gt_u32_e64 s[34:35], s7, v5
	v_mov_b32_e32 v5, s43
	s_and_saveexec_b64 s[8:9], s[34:35]
	s_cbranch_execz .LBB48_5
; %bb.4:
	global_load_dword v5, v[1:2], off offset:1024
.LBB48_5:
	s_or_b64 exec, exec, s[8:9]
	v_or_b32_e32 v6, 0x200, v0
	v_cmp_gt_u32_e64 s[8:9], s7, v6
	v_mov_b32_e32 v6, s43
	s_and_saveexec_b64 s[10:11], s[8:9]
	s_cbranch_execz .LBB48_7
; %bb.6:
	global_load_dword v6, v[1:2], off offset:2048
.LBB48_7:
	s_or_b64 exec, exec, s[10:11]
	v_or_b32_e32 v7, 0x300, v0
	v_cmp_gt_u32_e64 s[10:11], s7, v7
	v_mov_b32_e32 v7, s43
	s_and_saveexec_b64 s[12:13], s[10:11]
	s_cbranch_execz .LBB48_9
; %bb.8:
	global_load_dword v7, v[1:2], off offset:3072
.LBB48_9:
	s_or_b64 exec, exec, s[12:13]
	v_or_b32_e32 v8, 0x400, v0
	v_cmp_gt_u32_e64 s[12:13], s7, v8
	v_mov_b32_e32 v8, s43
	s_and_saveexec_b64 s[14:15], s[12:13]
	s_cbranch_execz .LBB48_11
; %bb.10:
	v_add_co_u32_e32 v8, vcc, 0x1000, v1
	v_addc_co_u32_e32 v9, vcc, 0, v2, vcc
	global_load_dword v8, v[8:9], off
.LBB48_11:
	s_or_b64 exec, exec, s[14:15]
	v_or_b32_e32 v9, 0x500, v0
	v_cmp_gt_u32_e64 s[14:15], s7, v9
	v_mov_b32_e32 v9, s43
	s_and_saveexec_b64 s[16:17], s[14:15]
	s_cbranch_execz .LBB48_13
; %bb.12:
	v_add_co_u32_e32 v9, vcc, 0x1000, v1
	v_addc_co_u32_e32 v10, vcc, 0, v2, vcc
	global_load_dword v9, v[9:10], off offset:1024
.LBB48_13:
	s_or_b64 exec, exec, s[16:17]
	v_or_b32_e32 v10, 0x600, v0
	v_cmp_gt_u32_e64 s[16:17], s7, v10
	v_mov_b32_e32 v10, s43
	s_and_saveexec_b64 s[18:19], s[16:17]
	s_cbranch_execz .LBB48_15
; %bb.14:
	v_add_co_u32_e32 v10, vcc, 0x1000, v1
	v_addc_co_u32_e32 v11, vcc, 0, v2, vcc
	global_load_dword v10, v[10:11], off offset:2048
.LBB48_15:
	;; [unrolled: 11-line block ×3, first 2 shown]
	s_or_b64 exec, exec, s[20:21]
	v_or_b32_e32 v12, 0x800, v0
	v_cmp_gt_u32_e64 s[20:21], s7, v12
	v_mov_b32_e32 v12, s43
	s_and_saveexec_b64 s[22:23], s[20:21]
	s_cbranch_execz .LBB48_19
; %bb.18:
	v_add_co_u32_e32 v12, vcc, 0x2000, v1
	v_addc_co_u32_e32 v13, vcc, 0, v2, vcc
	global_load_dword v12, v[12:13], off
.LBB48_19:
	s_or_b64 exec, exec, s[22:23]
	v_or_b32_e32 v13, 0x900, v0
	v_cmp_gt_u32_e64 s[22:23], s7, v13
	v_mov_b32_e32 v13, s43
	s_and_saveexec_b64 s[24:25], s[22:23]
	s_cbranch_execz .LBB48_21
; %bb.20:
	v_add_co_u32_e32 v13, vcc, 0x2000, v1
	v_addc_co_u32_e32 v14, vcc, 0, v2, vcc
	global_load_dword v13, v[13:14], off offset:1024
.LBB48_21:
	s_or_b64 exec, exec, s[24:25]
	v_or_b32_e32 v14, 0xa00, v0
	v_cmp_gt_u32_e64 s[24:25], s7, v14
	v_mov_b32_e32 v14, s43
	s_and_saveexec_b64 s[26:27], s[24:25]
	s_cbranch_execz .LBB48_23
; %bb.22:
	v_add_co_u32_e32 v14, vcc, 0x2000, v1
	v_addc_co_u32_e32 v15, vcc, 0, v2, vcc
	global_load_dword v14, v[14:15], off offset:2048
.LBB48_23:
	;; [unrolled: 11-line block ×3, first 2 shown]
	s_or_b64 exec, exec, s[28:29]
	v_or_b32_e32 v16, 0xc00, v0
	v_cmp_gt_u32_e64 s[28:29], s7, v16
	v_mov_b32_e32 v16, s43
	s_and_saveexec_b64 s[30:31], s[28:29]
	s_cbranch_execz .LBB48_27
; %bb.26:
	v_add_co_u32_e32 v16, vcc, 0x3000, v1
	v_addc_co_u32_e32 v17, vcc, 0, v2, vcc
	global_load_dword v16, v[16:17], off
.LBB48_27:
	s_or_b64 exec, exec, s[30:31]
	v_or_b32_e32 v17, 0xd00, v0
	v_cmp_gt_u32_e64 s[30:31], s7, v17
	v_mov_b32_e32 v17, s43
	s_and_saveexec_b64 s[46:47], s[30:31]
	s_cbranch_execz .LBB48_29
; %bb.28:
	v_add_co_u32_e32 v1, vcc, 0x3000, v1
	v_addc_co_u32_e32 v2, vcc, 0, v2, vcc
	global_load_dword v17, v[1:2], off offset:1024
.LBB48_29:
	s_or_b64 exec, exec, s[46:47]
	s_sub_u32 s46, 0, s6
	s_subb_u32 s47, 0, 0
	s_cmp_eq_u64 s[44:45], s[46:47]
	s_cselect_b32 s46, 0, -4
	s_cselect_b32 s43, 0, -1
	s_add_u32 s46, s50, s46
	s_addc_u32 s47, s51, s43
	s_waitcnt vmcnt(0)
	ds_write2st64_b32 v3, v4, v5 offset1:4
	ds_write2st64_b32 v3, v6, v7 offset0:8 offset1:12
	ds_write2st64_b32 v3, v8, v9 offset0:16 offset1:20
	;; [unrolled: 1-line block ×6, first 2 shown]
	s_waitcnt lgkmcnt(0)
	s_barrier
	s_load_dword s43, s[46:47], 0x0
	v_mad_u32_u24 v1, v0, 52, v3
	s_movk_i32 s46, 0xffcc
	v_mad_i32_i24 v4, v0, s46, v1
	v_cmp_ne_u32_e32 vcc, 0, v0
	s_waitcnt lgkmcnt(0)
	v_mov_b32_e32 v3, s43
	ds_read_b32 v65, v1 offset:52
	ds_read2_b32 v[26:27], v1 offset0:11 offset1:12
	ds_read2_b64 v[5:8], v1 offset0:4 offset1:5
	ds_read2_b32 v[28:29], v1 offset0:9 offset1:10
	ds_read2_b64 v[13:16], v1 offset0:2 offset1:3
	ds_read2_b64 v[9:12], v1 offset1:1
	s_waitcnt lgkmcnt(5)
	ds_write_b32 v4, v65 offset:14336
	s_waitcnt lgkmcnt(0)
	s_barrier
	s_and_saveexec_b64 s[46:47], vcc
; %bb.30:
	ds_read_b32 v3, v4 offset:14332
; %bb.31:
	s_or_b64 exec, exec, s[46:47]
	v_lshlrev_b32_e32 v17, 1, v0
	v_mov_b32_e32 v2, s49
	v_add_co_u32_e32 v1, vcc, s48, v17
	v_addc_co_u32_e32 v2, vcc, 0, v2, vcc
	s_waitcnt lgkmcnt(0)
	s_barrier
                                        ; implicit-def: $vgpr18
	s_and_saveexec_b64 s[46:47], s[2:3]
	s_cbranch_execz .LBB48_146
; %bb.32:
	global_load_ushort v18, v[1:2], off
	s_or_b64 exec, exec, s[46:47]
                                        ; implicit-def: $vgpr19
	s_and_saveexec_b64 s[2:3], s[34:35]
	s_cbranch_execnz .LBB48_147
.LBB48_33:
	s_or_b64 exec, exec, s[2:3]
                                        ; implicit-def: $vgpr20
	s_and_saveexec_b64 s[2:3], s[8:9]
	s_cbranch_execz .LBB48_148
.LBB48_34:
	global_load_ushort v20, v[1:2], off offset:1024
	s_or_b64 exec, exec, s[2:3]
                                        ; implicit-def: $vgpr21
	s_and_saveexec_b64 s[2:3], s[10:11]
	s_cbranch_execnz .LBB48_149
.LBB48_35:
	s_or_b64 exec, exec, s[2:3]
                                        ; implicit-def: $vgpr22
	s_and_saveexec_b64 s[2:3], s[12:13]
	s_cbranch_execz .LBB48_150
.LBB48_36:
	global_load_ushort v22, v[1:2], off offset:2048
	s_or_b64 exec, exec, s[2:3]
                                        ; implicit-def: $vgpr23
	s_and_saveexec_b64 s[2:3], s[14:15]
	s_cbranch_execnz .LBB48_151
.LBB48_37:
	s_or_b64 exec, exec, s[2:3]
                                        ; implicit-def: $vgpr24
	s_and_saveexec_b64 s[2:3], s[16:17]
	s_cbranch_execz .LBB48_152
.LBB48_38:
	global_load_ushort v24, v[1:2], off offset:3072
	s_or_b64 exec, exec, s[2:3]
                                        ; implicit-def: $vgpr25
	s_and_saveexec_b64 s[2:3], s[18:19]
	s_cbranch_execnz .LBB48_153
.LBB48_39:
	s_or_b64 exec, exec, s[2:3]
                                        ; implicit-def: $vgpr30
	s_and_saveexec_b64 s[2:3], s[20:21]
	s_cbranch_execz .LBB48_154
.LBB48_40:
	v_add_co_u32_e32 v30, vcc, 0x1000, v1
	v_addc_co_u32_e32 v31, vcc, 0, v2, vcc
	global_load_ushort v30, v[30:31], off
	s_or_b64 exec, exec, s[2:3]
                                        ; implicit-def: $vgpr31
	s_and_saveexec_b64 s[2:3], s[22:23]
	s_cbranch_execnz .LBB48_155
.LBB48_41:
	s_or_b64 exec, exec, s[2:3]
                                        ; implicit-def: $vgpr32
	s_and_saveexec_b64 s[2:3], s[24:25]
	s_cbranch_execz .LBB48_156
.LBB48_42:
	v_add_co_u32_e32 v32, vcc, 0x1000, v1
	v_addc_co_u32_e32 v33, vcc, 0, v2, vcc
	global_load_ushort v32, v[32:33], off offset:1024
	s_or_b64 exec, exec, s[2:3]
                                        ; implicit-def: $vgpr33
	s_and_saveexec_b64 s[2:3], s[26:27]
	s_cbranch_execnz .LBB48_157
.LBB48_43:
	s_or_b64 exec, exec, s[2:3]
                                        ; implicit-def: $vgpr34
	s_and_saveexec_b64 s[2:3], s[28:29]
	s_cbranch_execz .LBB48_45
.LBB48_44:
	v_add_co_u32_e32 v34, vcc, 0x1000, v1
	v_addc_co_u32_e32 v35, vcc, 0, v2, vcc
	global_load_ushort v34, v[34:35], off offset:2048
.LBB48_45:
	s_or_b64 exec, exec, s[2:3]
	v_mul_u32_u24_e32 v67, 14, v0
                                        ; implicit-def: $vgpr35
	s_and_saveexec_b64 s[2:3], s[30:31]
	s_cbranch_execz .LBB48_47
; %bb.46:
	v_add_co_u32_e32 v1, vcc, 0x1000, v1
	v_addc_co_u32_e32 v2, vcc, 0, v2, vcc
	global_load_ushort v35, v[1:2], off offset:2560
.LBB48_47:
	s_or_b64 exec, exec, s[2:3]
	v_sub_u32_e32 v4, v4, v17
	s_waitcnt vmcnt(0)
	ds_write_b16 v4, v18
	ds_write_b16 v4, v19 offset:512
	ds_write_b16 v4, v20 offset:1024
	;; [unrolled: 1-line block ×13, first 2 shown]
	v_cmp_gt_u32_e32 vcc, s7, v67
	v_mov_b32_e32 v54, 0
	s_mov_b64 s[22:23], 0
	s_mov_b64 s[8:9], 0
	v_mov_b32_e32 v55, 0
	v_mov_b32_e32 v64, 0
	;; [unrolled: 1-line block ×45, first 2 shown]
	s_waitcnt lgkmcnt(0)
	s_barrier
                                        ; implicit-def: $sgpr20_sgpr21
	s_and_saveexec_b64 s[24:25], vcc
	s_cbranch_execz .LBB48_73
; %bb.48:
	v_mad_u32_u24 v1, v0, 26, v4
	ds_read_u16 v17, v1
	v_or_b32_e32 v1, 1, v67
	v_cmp_ne_u32_e32 vcc, v3, v9
	v_cmp_gt_u32_e64 s[2:3], s7, v1
	v_mov_b32_e32 v54, 0
	v_mov_b32_e32 v55, 0
	;; [unrolled: 1-line block ×43, first 2 shown]
                                        ; implicit-def: $sgpr20_sgpr21
	s_and_saveexec_b64 s[26:27], s[2:3]
	s_cbranch_execz .LBB48_72
; %bb.49:
	v_mul_u32_u24_e32 v1, 26, v0
	v_add_u32_e32 v20, v4, v1
	ds_read_b128 v[1:4], v20 offset:2
	v_cmp_ne_u32_e64 s[18:19], v10, v11
	v_cmp_ne_u32_e64 s[12:13], v11, v12
	v_cndmask_b32_e64 v11, 0, 1, s[18:19]
	v_cmp_ne_u32_e64 s[18:19], v9, v10
	v_cmp_ne_u32_e64 s[14:15], v12, v13
	v_lshlrev_b16_e32 v12, 8, v11
	v_cndmask_b32_e64 v9, 0, 1, s[18:19]
	v_or_b32_e32 v54, v9, v12
	v_add_u32_e32 v9, 2, v67
	v_cmp_ne_u32_e64 s[2:3], v15, v16
	v_cmp_ne_u32_e64 s[16:17], v16, v5
	;; [unrolled: 1-line block ×4, first 2 shown]
	v_cmp_gt_u32_e64 s[18:19], s7, v9
	v_mov_b32_e32 v55, 0
	s_mov_b64 s[30:31], 0
	v_mov_b32_e32 v64, 0
	v_mov_b32_e32 v21, 0
	;; [unrolled: 1-line block ×39, first 2 shown]
                                        ; implicit-def: $sgpr20_sgpr21
	s_and_saveexec_b64 s[28:29], s[18:19]
	s_cbranch_execz .LBB48_71
; %bb.50:
	v_cndmask_b32_e64 v9, 0, 1, s[14:15]
	v_lshlrev_b16_e32 v9, 8, v9
	v_cndmask_b32_e64 v10, 0, 1, s[12:13]
	v_or_b32_e32 v11, v10, v9
	v_lshlrev_b32_e32 v9, 16, v11
	v_or_b32_e32 v10, v12, v9
	v_lshrrev_b32_e32 v55, 8, v10
	v_add_u32_e32 v10, 3, v67
	v_cmp_gt_u32_e64 s[12:13], s7, v10
	v_mov_b32_e32 v64, 0
	s_mov_b64 s[18:19], 0
	v_mov_b32_e32 v21, 0
	v_mov_b32_e32 v62, 0
	v_mov_b32_e32 v56, 0
	v_mov_b32_e32 v60, 0
	v_mov_b32_e32 v59, 0
	v_mov_b32_e32 v58, 0
	v_mov_b32_e32 v23, 0
	v_mov_b32_e32 v57, 0
	v_mov_b32_e32 v22, 0
	v_mov_b32_e32 v61, 0
	v_mov_b32_e32 v25, 0
	v_mov_b32_e32 v66, 0
	v_mov_b32_e32 v63, 0
	v_mov_b32_e32 v24, 0
	v_mov_b32_e32 v44, v54
	v_mov_b32_e32 v45, v55
	v_mov_b32_e32 v52, 0
	v_mov_b32_e32 v50, 0
	v_mov_b32_e32 v46, 0
	v_mov_b32_e32 v47, 0
	v_mov_b32_e32 v43, 0
	v_mov_b32_e32 v38, 0
	v_mov_b32_e32 v34, 0
	v_mov_b32_e32 v37, 0
	v_mov_b32_e32 v36, 0
	v_mov_b32_e32 v30, 0
	v_mov_b32_e32 v31, 0
	v_mov_b32_e32 v19, 0
	v_mov_b32_e32 v32, 0
	v_mov_b32_e32 v33, 0
	v_mov_b32_e32 v35, 0
	v_mov_b32_e32 v39, 0
	v_mov_b32_e32 v42, 0
	v_mov_b32_e32 v40, 0
	v_mov_b32_e32 v41, 0
                                        ; implicit-def: $sgpr20_sgpr21
	s_and_saveexec_b64 s[14:15], s[12:13]
	s_cbranch_execz .LBB48_70
; %bb.51:
	v_add_u32_e32 v10, 4, v67
	v_cmp_gt_u32_e64 s[12:13], s7, v10
	v_mov_b32_e32 v21, 0
	v_mov_b32_e32 v62, 0
	;; [unrolled: 1-line block ×32, first 2 shown]
                                        ; implicit-def: $sgpr20_sgpr21
	s_and_saveexec_b64 s[18:19], s[12:13]
	s_cbranch_execz .LBB48_69
; %bb.52:
	v_cndmask_b32_e64 v10, 0, 1, s[10:11]
	v_lshlrev_b16_e32 v10, 8, v10
	v_cndmask_b32_e64 v12, 0, 1, s[8:9]
	v_or_b32_e32 v12, v12, v10
	v_cndmask_b32_e64 v10, 0, 1, s[16:17]
	v_lshlrev_b16_e32 v10, 8, v10
	v_cndmask_b32_e64 v13, 0, 1, s[2:3]
	v_or_b32_e32 v13, v13, v10
	v_lshlrev_b32_e32 v14, 16, v13
	v_or_b32_sdwa v10, v12, v14 dst_sel:DWORD dst_unused:UNUSED_PAD src0_sel:WORD_0 src1_sel:DWORD
	v_lshrrev_b64 v[21:22], 24, v[9:10]
	v_add_u32_e32 v9, 5, v67
	v_cmp_gt_u32_e64 s[2:3], s7, v9
	v_mov_b32_e32 v62, 0
	s_mov_b64 s[8:9], 0
	v_mov_b32_e32 v56, 0
	v_mov_b32_e32 v60, 0
	;; [unrolled: 1-line block ×27, first 2 shown]
                                        ; implicit-def: $sgpr20_sgpr21
	s_and_saveexec_b64 s[12:13], s[2:3]
	s_cbranch_execz .LBB48_68
; %bb.53:
	v_add_u32_e32 v9, 6, v67
	v_cmp_gt_u32_e64 s[2:3], s7, v9
	v_mov_b32_e32 v56, 0
	v_mov_b32_e32 v60, 0
	;; [unrolled: 1-line block ×25, first 2 shown]
                                        ; implicit-def: $sgpr20_sgpr21
	s_and_saveexec_b64 s[16:17], s[2:3]
	s_cbranch_execz .LBB48_67
; %bb.54:
	v_add_u32_e32 v9, 7, v67
	v_lshrrev_b32_e32 v56, 8, v10
	v_cmp_gt_u32_e64 s[2:3], s7, v9
	v_mov_b32_e32 v60, 0
	v_mov_b32_e32 v59, 0
	;; [unrolled: 1-line block ×18, first 2 shown]
                                        ; implicit-def: $sgpr20_sgpr21
	s_and_saveexec_b64 s[30:31], s[2:3]
	s_cbranch_execz .LBB48_66
; %bb.55:
	v_add_u32_e32 v9, 8, v67
	v_cmp_gt_u32_e64 s[2:3], s7, v9
	v_mov_b32_e32 v59, 0
	v_mov_b32_e32 v58, 0
	;; [unrolled: 1-line block ×14, first 2 shown]
                                        ; implicit-def: $sgpr20_sgpr21
	s_and_saveexec_b64 s[34:35], s[2:3]
	s_cbranch_execz .LBB48_65
; %bb.56:
	v_add_u32_e32 v9, 9, v67
	v_cmp_gt_u32_e64 s[2:3], s7, v9
	v_mov_b32_e32 v58, 0
	v_mov_b32_e32 v23, 0
	;; [unrolled: 1-line block ×10, first 2 shown]
                                        ; implicit-def: $sgpr20_sgpr21
	s_and_saveexec_b64 s[46:47], s[2:3]
	s_cbranch_execz .LBB48_64
; %bb.57:
	ds_read_u16 v57, v20 offset:18
	v_cmp_ne_u32_e64 s[10:11], v6, v29
	v_cmp_ne_u32_e64 s[2:3], v7, v26
	v_cndmask_b32_e64 v6, 0, 1, s[10:11]
	v_cmp_ne_u32_e64 s[10:11], v5, v28
	v_add_u32_e32 v7, 10, v67
	v_cmp_ne_u32_e64 s[8:9], v8, v27
	v_lshlrev_b16_e32 v6, 8, v6
	v_cndmask_b32_e64 v5, 0, 1, s[10:11]
	v_cmp_gt_u32_e64 s[10:11], s7, v7
	v_mov_b32_e32 v58, 0
	s_mov_b64 s[54:55], 0
	v_mov_b32_e32 v23, 0
	v_mov_b32_e32 v34, 0
	;; [unrolled: 1-line block ×6, first 2 shown]
                                        ; implicit-def: $sgpr20_sgpr21
	s_and_saveexec_b64 s[52:53], s[10:11]
	s_cbranch_execz .LBB48_63
; %bb.58:
	v_cndmask_b32_e64 v7, 0, 1, s[8:9]
	v_lshlrev_b16_e32 v7, 8, v7
	v_cndmask_b32_e64 v8, 0, 1, s[2:3]
	v_or_b32_e32 v7, v8, v7
	ds_read2_b32 v[19:20], v20 offset0:5 offset1:6
	v_lshlrev_b32_e32 v8, 16, v7
	v_or_b32_e32 v9, v6, v8
	v_lshrrev_b32_e32 v34, 8, v9
	v_add_u32_e32 v9, 11, v67
	v_cmp_gt_u32_e64 s[2:3], s7, v9
	v_mov_b32_e32 v58, 0
	s_mov_b64 s[10:11], 0
	v_mov_b32_e32 v37, 0
	v_mov_b32_e32 v36, 0
	;; [unrolled: 1-line block ×3, first 2 shown]
                                        ; implicit-def: $sgpr20_sgpr21
	s_and_saveexec_b64 s[8:9], s[2:3]
	s_cbranch_execz .LBB48_62
; %bb.59:
	v_add_u32_e32 v9, 12, v67
	v_cmp_gt_u32_e64 s[2:3], s7, v9
	v_mov_b32_e32 v36, 0
	v_mov_b32_e32 v30, 0
                                        ; implicit-def: $sgpr20_sgpr21
	s_and_saveexec_b64 s[54:55], s[2:3]
	s_xor_b64 s[54:55], exec, s[54:55]
	s_cbranch_execz .LBB48_61
; %bb.60:
	v_lshrrev_b32_e32 v36, 24, v8
	v_add_u32_e32 v8, 13, v67
	v_cmp_gt_u32_e64 s[2:3], s7, v8
	v_cmp_ne_u32_e64 s[20:21], v27, v65
	s_and_b64 s[10:11], s[2:3], exec
	s_waitcnt lgkmcnt(0)
	v_mov_b32_e32 v30, v20
.LBB48_61:
	s_or_b64 exec, exec, s[54:55]
	s_waitcnt lgkmcnt(0)
	v_lshrrev_b32_e32 v58, 16, v19
	s_and_b64 s[10:11], s[10:11], exec
	v_mov_b32_e32 v37, v7
.LBB48_62:
	s_or_b64 exec, exec, s[8:9]
	s_and_b64 s[54:55], s[10:11], exec
	s_waitcnt lgkmcnt(0)
	v_mov_b32_e32 v23, v19
.LBB48_63:
	s_or_b64 exec, exec, s[52:53]
	v_or_b32_e32 v38, v5, v6
	s_and_b64 s[8:9], s[54:55], exec
	v_mov_b32_e32 v31, v58
.LBB48_64:
	s_or_b64 exec, exec, s[46:47]
	s_waitcnt lgkmcnt(0)
	v_lshrrev_b32_e32 v22, 16, v4
	v_lshrrev_b32_e32 v59, 24, v14
	s_and_b64 s[8:9], s[8:9], exec
	v_mov_b32_e32 v32, v57
	v_mov_b32_e32 v33, v22
.LBB48_65:
	s_or_b64 exec, exec, s[34:35]
	s_and_b64 s[8:9], s[8:9], exec
	v_mov_b32_e32 v60, v13
	s_waitcnt lgkmcnt(0)
	v_mov_b32_e32 v61, v4
	v_mov_b32_e32 v43, v59
	;; [unrolled: 1-line block ×3, first 2 shown]
.LBB48_66:
	s_or_b64 exec, exec, s[30:31]
	s_waitcnt lgkmcnt(0)
	v_lshrrev_b32_e32 v25, 16, v3
	s_and_b64 s[8:9], s[8:9], exec
	v_mov_b32_e32 v44, v54
	v_mov_b32_e32 v45, v55
	;; [unrolled: 1-line block ×5, first 2 shown]
.LBB48_67:
	s_or_b64 exec, exec, s[16:17]
	s_and_b64 s[8:9], s[8:9], exec
	v_mov_b32_e32 v62, v12
	s_waitcnt lgkmcnt(0)
	v_mov_b32_e32 v63, v3
	v_mov_b32_e32 v40, v3
.LBB48_68:
	s_or_b64 exec, exec, s[12:13]
	s_waitcnt lgkmcnt(0)
	v_lshrrev_b32_e32 v24, 16, v2
	s_and_b64 s[30:31], s[8:9], exec
	v_mov_b32_e32 v50, v62
	v_mov_b32_e32 v41, v24
.LBB48_69:
	s_or_b64 exec, exec, s[18:19]
	s_and_b64 s[18:19], s[30:31], exec
	v_mov_b32_e32 v64, v11
	s_waitcnt lgkmcnt(0)
	v_mov_b32_e32 v66, v2
	v_mov_b32_e32 v52, v21
	;; [unrolled: 1-line block ×3, first 2 shown]
.LBB48_70:
	s_or_b64 exec, exec, s[14:15]
	s_waitcnt lgkmcnt(0)
	v_lshrrev_b32_e32 v18, 16, v1
	s_and_b64 s[30:31], s[18:19], exec
	v_mov_b32_e32 v53, v64
	v_mov_b32_e32 v48, v18
.LBB48_71:
	s_or_b64 exec, exec, s[28:29]
	s_and_b64 s[8:9], s[30:31], exec
	s_waitcnt lgkmcnt(0)
	v_mov_b32_e32 v49, v1
.LBB48_72:
	s_or_b64 exec, exec, s[26:27]
	v_cndmask_b32_e64 v2, 0, 1, vcc
	s_and_b64 s[8:9], s[8:9], exec
	v_mov_b32_e32 v51, v2
.LBB48_73:
	s_or_b64 exec, exec, s[24:25]
	s_and_b64 vcc, exec, s[22:23]
	v_cmp_ne_u32_e64 s[2:3], 0, v0
	s_cbranch_vccnz .LBB48_75
	s_branch .LBB48_78
.LBB48_74:
	s_mov_b64 s[8:9], 0
                                        ; implicit-def: $sgpr20_sgpr21
                                        ; implicit-def: $vgpr20
                                        ; implicit-def: $vgpr54
                                        ; implicit-def: $vgpr55
                                        ; implicit-def: $vgpr64
                                        ; implicit-def: $vgpr21
                                        ; implicit-def: $vgpr62
                                        ; implicit-def: $vgpr56
                                        ; implicit-def: $vgpr60
                                        ; implicit-def: $vgpr59
                                        ; implicit-def: $vgpr2
                                        ; implicit-def: $vgpr17
                                        ; implicit-def: $vgpr58
                                        ; implicit-def: $vgpr23
                                        ; implicit-def: $vgpr1
                                        ; implicit-def: $vgpr57
                                        ; implicit-def: $vgpr61
                                        ; implicit-def: $vgpr25
                                        ; implicit-def: $vgpr66
                                        ; implicit-def: $vgpr63
                                        ; implicit-def: $vgpr44
                                        ; implicit-def: $vgpr45
                                        ; implicit-def: $vgpr53
                                        ; implicit-def: $vgpr52
                                        ; implicit-def: $vgpr50
                                        ; implicit-def: $vgpr46
                                        ; implicit-def: $vgpr47
                                        ; implicit-def: $vgpr43
                                        ; implicit-def: $vgpr38
                                        ; implicit-def: $vgpr34
                                        ; implicit-def: $vgpr37
                                        ; implicit-def: $vgpr36
                                        ; implicit-def: $vgpr51
                                        ; implicit-def: $vgpr30
                                        ; implicit-def: $vgpr31
                                        ; implicit-def: $vgpr49
                                        ; implicit-def: $vgpr32
                                        ; implicit-def: $vgpr33
                                        ; implicit-def: $vgpr48
                                        ; implicit-def: $vgpr35
                                        ; implicit-def: $vgpr39
                                        ; implicit-def: $vgpr42
                                        ; implicit-def: $vgpr40
                                        ; implicit-def: $vgpr41
	s_and_b64 vcc, exec, s[22:23]
	v_cmp_ne_u32_e64 s[2:3], 0, v0
	s_cbranch_vccz .LBB48_78
.LBB48_75:
	v_lshlrev_b32_e32 v5, 2, v0
	v_mov_b32_e32 v1, s51
	v_add_co_u32_e32 v3, vcc, s50, v5
	v_addc_co_u32_e32 v4, vcc, 0, v1, vcc
	v_add_co_u32_e32 v1, vcc, 0x1000, v3
	v_addc_co_u32_e32 v2, vcc, 0, v4, vcc
	global_load_dword v6, v5, s[50:51]
	global_load_dword v7, v5, s[50:51] offset:1024
	global_load_dword v8, v5, s[50:51] offset:2048
	global_load_dword v9, v5, s[50:51] offset:3072
	global_load_dword v10, v[1:2], off
	global_load_dword v11, v[1:2], off offset:1024
	global_load_dword v12, v[1:2], off offset:2048
	;; [unrolled: 1-line block ×3, first 2 shown]
	v_add_co_u32_e32 v1, vcc, 0x2000, v3
	v_addc_co_u32_e32 v2, vcc, 0, v4, vcc
	v_add_co_u32_e32 v3, vcc, 0x3000, v3
	v_addc_co_u32_e32 v4, vcc, 0, v4, vcc
	global_load_dword v14, v[1:2], off
	global_load_dword v15, v[1:2], off offset:1024
	global_load_dword v16, v[1:2], off offset:2048
	;; [unrolled: 1-line block ×3, first 2 shown]
	global_load_dword v19, v[3:4], off
	global_load_dword v20, v[3:4], off offset:1024
	s_sub_u32 s8, 0, s6
	s_subb_u32 s9, 0, 0
	s_cmp_eq_u64 s[44:45], s[8:9]
	s_cselect_b32 s8, 0, -4
	s_cselect_b32 s9, 0, -1
	s_add_u32 s8, s50, s8
	s_addc_u32 s9, s51, s9
	s_movk_i32 s10, 0xffcc
	v_mad_u32_u24 v1, v0, 52, v5
	s_movk_i32 s7, 0x1000
	s_waitcnt lgkmcnt(0)
	v_mad_i32_i24 v17, v0, s10, v1
	s_waitcnt vmcnt(12)
	ds_write2st64_b32 v5, v6, v7 offset1:4
	s_waitcnt vmcnt(10)
	ds_write2st64_b32 v5, v8, v9 offset0:8 offset1:12
	s_waitcnt vmcnt(8)
	ds_write2st64_b32 v5, v10, v11 offset0:16 offset1:20
	;; [unrolled: 2-line block ×6, first 2 shown]
	s_waitcnt lgkmcnt(0)
	s_barrier
	s_load_dword s8, s[8:9], 0x0
	ds_read_b32 v18, v1 offset:52
	ds_read2_b32 v[13:14], v1 offset0:11 offset1:12
	ds_read2_b64 v[9:12], v1 offset0:4 offset1:5
	ds_read2_b32 v[15:16], v1 offset0:9 offset1:10
	ds_read2_b64 v[5:8], v1 offset0:2 offset1:3
	ds_read2_b64 v[1:4], v1 offset1:1
	s_waitcnt lgkmcnt(0)
	ds_write_b32 v17, v18 offset:14336
	s_waitcnt lgkmcnt(0)
	s_barrier
	v_mov_b32_e32 v19, s8
	s_and_saveexec_b64 s[8:9], s[2:3]
; %bb.76:
	ds_read_b32 v19, v17 offset:14332
; %bb.77:
	s_or_b64 exec, exec, s[8:9]
	v_lshlrev_b32_e32 v22, 1, v0
	v_mov_b32_e32 v20, s49
	v_add_co_u32_e32 v21, vcc, s48, v22
	v_addc_co_u32_e32 v23, vcc, 0, v20, vcc
	v_add_co_u32_e32 v20, vcc, s7, v21
	v_addc_co_u32_e32 v21, vcc, 0, v23, vcc
	s_waitcnt lgkmcnt(0)
	s_barrier
	global_load_ushort v24, v22, s[48:49]
	global_load_ushort v25, v22, s[48:49] offset:512
	global_load_ushort v26, v22, s[48:49] offset:1024
	;; [unrolled: 1-line block ×7, first 2 shown]
	global_load_ushort v23, v[20:21], off
	global_load_ushort v32, v[20:21], off offset:512
	global_load_ushort v33, v[20:21], off offset:1024
	;; [unrolled: 1-line block ×5, first 2 shown]
	v_cmp_ne_u32_e32 vcc, v10, v16
	v_cndmask_b32_e64 v10, 0, 1, vcc
	v_cmp_ne_u32_e32 vcc, v9, v15
	v_cndmask_b32_e64 v15, 0, 1, vcc
	;; [unrolled: 2-line block ×10, first 2 shown]
	v_cmp_ne_u32_e32 vcc, v2, v3
	v_lshlrev_b16_e32 v8, 8, v10
	v_lshlrev_b16_e32 v10, 8, v12
	;; [unrolled: 1-line block ×3, first 2 shown]
	v_cndmask_b32_e64 v3, 0, 1, vcc
	v_cmp_ne_u32_e32 vcc, v1, v2
	v_lshlrev_b16_e32 v12, 8, v13
	v_lshlrev_b16_e32 v5, 8, v5
	v_or_b32_e32 v37, v11, v10
	v_or_b32_e32 v60, v7, v9
	v_cndmask_b32_e64 v2, 0, 1, vcc
	v_lshlrev_b16_e32 v13, 8, v3
	v_or_b32_e32 v62, v6, v12
	v_or_b32_e32 v64, v4, v5
	v_lshlrev_b32_e32 v3, 16, v37
	v_lshlrev_b32_e32 v4, 16, v60
	v_cmp_ne_u32_e64 s[20:21], v14, v18
	v_sub_u32_e32 v14, v17, v22
	v_or_b32_e32 v54, v2, v13
	v_lshlrev_b32_e32 v2, 16, v64
	v_lshrrev_b32_e32 v36, 24, v3
	v_or_b32_e32 v5, v8, v3
	v_or_b32_sdwa v3, v62, v4 dst_sel:DWORD dst_unused:UNUSED_PAD src0_sel:WORD_0 src1_sel:DWORD
	v_lshrrev_b32_e32 v56, 8, v3
	v_lshrrev_b64 v[21:22], 24, v[2:3]
	v_mad_u32_u24 v3, v0, 26, v14
	v_lshrrev_b32_e32 v59, 24, v4
	v_or_b32_e32 v4, v13, v2
	v_cmp_ne_u32_e32 vcc, v19, v1
	v_lshrrev_b32_e32 v55, 8, v4
	v_cndmask_b32_e64 v2, 0, 1, vcc
	v_or_b32_e32 v38, v15, v8
	v_lshrrev_b32_e32 v34, 8, v5
	s_mov_b64 s[8:9], -1
	v_mov_b32_e32 v44, v54
	v_mov_b32_e32 v45, v55
	;; [unrolled: 1-line block ×9, first 2 shown]
	s_waitcnt vmcnt(13)
	ds_write_b16 v14, v24
	s_waitcnt vmcnt(12)
	ds_write_b16 v14, v25 offset:512
	s_waitcnt vmcnt(11)
	ds_write_b16 v14, v26 offset:1024
	;; [unrolled: 2-line block ×13, first 2 shown]
	s_waitcnt lgkmcnt(0)
	s_barrier
	ds_read2_b32 v[17:18], v3 offset1:1
	ds_read2_b32 v[24:25], v3 offset0:2 offset1:3
	ds_read2_b32 v[22:23], v3 offset0:4 offset1:5
	ds_read_b32 v20, v3 offset:24
	s_waitcnt lgkmcnt(2)
	v_lshrrev_b32_e32 v63, 16, v24
	v_lshrrev_b32_e32 v1, 16, v17
	;; [unrolled: 1-line block ×4, first 2 shown]
	s_waitcnt lgkmcnt(1)
	v_lshrrev_b32_e32 v57, 16, v22
	v_lshrrev_b32_e32 v58, 16, v23
	s_waitcnt lgkmcnt(0)
	v_mov_b32_e32 v30, v20
	v_mov_b32_e32 v31, v58
	;; [unrolled: 1-line block ×12, first 2 shown]
.LBB48_78:
	v_mov_b32_e32 v11, 0
	v_mov_b32_e32 v10, 0
	s_and_saveexec_b64 s[2:3], s[8:9]
	s_cbranch_execz .LBB48_80
; %bb.79:
	v_cndmask_b32_e64 v11, 0, 1, s[20:21]
	v_lshrrev_b32_e32 v10, 16, v20
	v_mov_b32_e32 v41, v24
	v_mov_b32_e32 v40, v63
	;; [unrolled: 1-line block ×20, first 2 shown]
.LBB48_80:
	s_or_b64 exec, exec, s[2:3]
	s_cmp_lg_u32 s6, 0
	s_waitcnt lgkmcnt(0)
	s_barrier
	s_cbranch_scc0 .LBB48_158
; %bb.81:
	v_mov_b32_e32 v1, 0
	v_cmp_ne_u16_sdwa s[44:45], v44, v1 src0_sel:BYTE_0 src1_sel:DWORD
	s_and_saveexec_b64 s[2:3], s[44:45]
	s_xor_b64 s[2:3], exec, s[2:3]
	s_or_saveexec_b64 s[2:3], s[2:3]
	v_mov_b32_e32 v1, v49
	s_xor_b64 exec, exec, s[2:3]
; %bb.82:
	v_cmp_lt_f16_e32 vcc, v17, v49
	v_cndmask_b32_e32 v1, v17, v49, vcc
; %bb.83:
	s_or_b64 exec, exec, s[2:3]
	v_mov_b32_e32 v2, 0
	v_cmp_lt_f16_e32 vcc, v1, v48
	v_cndmask_b32_e32 v1, v1, v48, vcc
	v_cmp_eq_u16_sdwa s[2:3], v45, v2 src0_sel:BYTE_0 src1_sel:DWORD
	v_cndmask_b32_e64 v1, v48, v1, s[2:3]
	v_cmp_lt_f16_e32 vcc, v1, v42
	v_cndmask_b32_e32 v1, v1, v42, vcc
	v_cmp_eq_u16_sdwa s[30:31], v53, v2 src0_sel:BYTE_0 src1_sel:DWORD
	v_cndmask_b32_e64 v1, v42, v1, s[30:31]
	;; [unrolled: 4-line block ×8, first 2 shown]
	v_or_b32_e32 v3, v50, v52
	v_cmp_lt_f16_e32 vcc, v1, v19
	v_or_b32_e32 v3, v3, v46
	v_cndmask_b32_e32 v1, v1, v19, vcc
	v_cmp_eq_u16_sdwa s[20:21], v34, v2 src0_sel:BYTE_0 src1_sel:DWORD
	v_or_b32_e32 v3, v3, v53
	v_cndmask_b32_e64 v1, v19, v1, s[20:21]
	v_or_b32_e32 v3, v3, v47
	v_cmp_lt_f16_e32 vcc, v1, v31
	v_or_b32_e32 v3, v3, v43
	v_or_b32_e32 v4, v34, v38
	v_cndmask_b32_e32 v1, v1, v31, vcc
	v_cmp_eq_u16_sdwa s[22:23], v37, v2 src0_sel:BYTE_0 src1_sel:DWORD
	v_or_b32_e32 v3, v3, v45
	v_cndmask_b32_e64 v1, v31, v1, s[22:23]
	v_or_b32_e32 v4, v4, v37
	v_or_b32_e32 v3, v3, v44
	v_cmp_lt_f16_e32 vcc, v1, v30
	v_or_b32_e32 v4, v4, v36
	v_cndmask_b32_e32 v1, v1, v30, vcc
	v_cmp_eq_u16_sdwa s[24:25], v36, v2 src0_sel:BYTE_0 src1_sel:DWORD
	v_or_b32_e32 v3, v4, v3
	v_cndmask_b32_e64 v1, v30, v1, s[24:25]
	v_cmp_eq_u16_sdwa vcc, v3, v2 src0_sel:BYTE_0 src1_sel:DWORD
	v_cndmask_b32_e32 v2, 1, v51, vcc
	v_cmp_lt_f16_e32 vcc, v1, v10
	v_and_b32_e32 v3, 1, v11
	v_cndmask_b32_e32 v1, v1, v10, vcc
	v_cmp_eq_u16_e64 s[26:27], 0, v11
	v_cmp_eq_u32_e32 vcc, 1, v3
	v_cndmask_b32_e64 v1, v10, v1, s[26:27]
	v_cndmask_b32_e64 v2, v2, 1, vcc
	v_mbcnt_lo_u32_b32 v3, -1, 0
	v_mbcnt_hi_u32_b32 v3, -1, v3
	v_and_b32_e32 v7, 0xff, v2
	v_and_b32_e32 v4, 0xffff, v1
	;; [unrolled: 1-line block ×3, first 2 shown]
	v_lshl_or_b32 v4, v7, 16, v4
	v_cmp_ne_u32_e32 vcc, 0, v6
	s_nop 0
	v_mov_b32_dpp v5, v4 row_shr:1 row_mask:0xf bank_mask:0xf
	s_and_saveexec_b64 s[28:29], vcc
	s_xor_b64 s[28:29], exec, s[28:29]
	s_cbranch_execz .LBB48_85
; %bb.84:
	v_cmp_gt_f16_e32 vcc, v1, v5
	v_cndmask_b32_e32 v4, v5, v1, vcc
	v_cmp_eq_u16_e32 vcc, 0, v7
	v_cndmask_b32_e32 v1, v1, v4, vcc
	v_and_b32_e32 v2, 1, v2
	v_mov_b32_e32 v4, 1
	v_and_b32_sdwa v4, v5, v4 dst_sel:DWORD dst_unused:UNUSED_PAD src0_sel:WORD_1 src1_sel:DWORD
	v_cmp_eq_u32_e32 vcc, 1, v2
	v_cndmask_b32_e64 v2, v4, 1, vcc
	v_lshlrev_b32_e32 v4, 16, v2
	v_or_b32_sdwa v4, v4, v1 dst_sel:DWORD dst_unused:UNUSED_PAD src0_sel:DWORD src1_sel:WORD_0
.LBB48_85:
	s_or_b64 exec, exec, s[28:29]
	v_lshrrev_b32_e32 v5, 16, v4
	v_mov_b32_dpp v7, v4 row_shr:2 row_mask:0xf bank_mask:0xf
	v_cmp_lt_u32_e32 vcc, 1, v6
	s_and_saveexec_b64 s[28:29], vcc
	s_cbranch_execz .LBB48_87
; %bb.86:
	s_mov_b32 s7, 0x10000
	v_cmp_gt_f16_e32 vcc, v1, v7
	v_cndmask_b32_e32 v2, v7, v1, vcc
	v_cmp_gt_u32_e32 vcc, s7, v4
	v_cndmask_b32_e32 v1, v1, v2, vcc
	v_and_b32_e32 v2, 0x10000, v4
	v_mov_b32_e32 v4, 1
	v_and_b32_sdwa v4, v7, v4 dst_sel:DWORD dst_unused:UNUSED_PAD src0_sel:WORD_1 src1_sel:DWORD
	v_cmp_ne_u32_e32 vcc, 0, v2
	v_cndmask_b32_e64 v2, v4, 1, vcc
	v_lshlrev_b32_e32 v4, 16, v2
	v_or_b32_sdwa v4, v4, v1 dst_sel:DWORD dst_unused:UNUSED_PAD src0_sel:DWORD src1_sel:WORD_0
	v_mov_b32_e32 v5, v2
.LBB48_87:
	s_or_b64 exec, exec, s[28:29]
	v_mov_b32_dpp v7, v4 row_shr:4 row_mask:0xf bank_mask:0xf
	v_cmp_lt_u32_e32 vcc, 3, v6
	s_and_saveexec_b64 s[28:29], vcc
	s_cbranch_execz .LBB48_89
; %bb.88:
	v_cmp_gt_f16_e32 vcc, v1, v7
	v_cndmask_b32_e32 v2, v7, v1, vcc
	v_cmp_eq_u16_e32 vcc, 0, v5
	v_cndmask_b32_e32 v1, v1, v2, vcc
	v_and_b32_e32 v2, 1, v5
	v_mov_b32_e32 v4, 1
	v_and_b32_sdwa v4, v7, v4 dst_sel:DWORD dst_unused:UNUSED_PAD src0_sel:WORD_1 src1_sel:DWORD
	v_cmp_eq_u32_e32 vcc, 1, v2
	v_cndmask_b32_e64 v2, v4, 1, vcc
	v_lshlrev_b32_e32 v4, 16, v2
	v_or_b32_sdwa v4, v4, v1 dst_sel:DWORD dst_unused:UNUSED_PAD src0_sel:DWORD src1_sel:WORD_0
	v_mov_b32_e32 v5, v2
.LBB48_89:
	s_or_b64 exec, exec, s[28:29]
	v_mov_b32_dpp v7, v4 row_shr:8 row_mask:0xf bank_mask:0xf
	v_cmp_lt_u32_e32 vcc, 7, v6
	s_and_saveexec_b64 s[28:29], vcc
	s_cbranch_execz .LBB48_91
; %bb.90:
	v_cmp_gt_f16_e32 vcc, v1, v7
	v_cndmask_b32_e32 v2, v7, v1, vcc
	v_cmp_eq_u16_e32 vcc, 0, v5
	v_cndmask_b32_e32 v1, v1, v2, vcc
	v_and_b32_e32 v2, 1, v5
	v_mov_b32_e32 v4, 1
	v_and_b32_sdwa v4, v7, v4 dst_sel:DWORD dst_unused:UNUSED_PAD src0_sel:WORD_1 src1_sel:DWORD
	v_cmp_eq_u32_e32 vcc, 1, v2
	v_cndmask_b32_e64 v2, v4, 1, vcc
	v_lshlrev_b32_e32 v4, 16, v2
	v_or_b32_sdwa v4, v4, v1 dst_sel:DWORD dst_unused:UNUSED_PAD src0_sel:DWORD src1_sel:WORD_0
	v_mov_b32_e32 v5, v2
.LBB48_91:
	s_or_b64 exec, exec, s[28:29]
	v_and_b32_e32 v7, 16, v3
	v_mov_b32_dpp v6, v4 row_bcast:15 row_mask:0xf bank_mask:0xf
	v_cmp_ne_u32_e32 vcc, 0, v7
	s_and_saveexec_b64 s[28:29], vcc
	s_cbranch_execz .LBB48_93
; %bb.92:
	v_cmp_gt_f16_e32 vcc, v1, v6
	v_cndmask_b32_e32 v2, v6, v1, vcc
	v_cmp_eq_u16_e32 vcc, 0, v5
	v_cndmask_b32_e32 v1, v1, v2, vcc
	v_and_b32_e32 v2, 1, v5
	v_mov_b32_e32 v4, 1
	v_and_b32_sdwa v4, v6, v4 dst_sel:DWORD dst_unused:UNUSED_PAD src0_sel:WORD_1 src1_sel:DWORD
	v_cmp_eq_u32_e32 vcc, 1, v2
	v_cndmask_b32_e64 v2, v4, 1, vcc
	v_lshlrev_b32_e32 v4, 16, v2
	v_or_b32_sdwa v4, v4, v1 dst_sel:DWORD dst_unused:UNUSED_PAD src0_sel:DWORD src1_sel:WORD_0
	v_mov_b32_e32 v5, v2
.LBB48_93:
	s_or_b64 exec, exec, s[28:29]
	v_mov_b32_dpp v4, v4 row_bcast:31 row_mask:0xf bank_mask:0xf
	v_cmp_lt_u32_e32 vcc, 31, v3
	s_and_saveexec_b64 s[28:29], vcc
; %bb.94:
	v_and_b32_e32 v2, 1, v5
	v_mov_b32_e32 v6, 1
	v_and_b32_sdwa v6, v4, v6 dst_sel:DWORD dst_unused:UNUSED_PAD src0_sel:WORD_1 src1_sel:DWORD
	v_cmp_eq_u32_e32 vcc, 1, v2
	v_cndmask_b32_e64 v2, v6, 1, vcc
	v_cmp_gt_f16_e32 vcc, v1, v4
	v_cndmask_b32_e32 v4, v4, v1, vcc
	v_cmp_eq_u16_e32 vcc, 0, v5
	v_cndmask_b32_e32 v1, v1, v4, vcc
; %bb.95:
	s_or_b64 exec, exec, s[28:29]
	v_lshrrev_b32_e32 v4, 6, v0
	v_or_b32_e32 v5, 63, v0
	v_cmp_eq_u32_e32 vcc, v0, v5
	v_lshlrev_b32_e32 v4, 2, v4
	s_and_saveexec_b64 s[28:29], vcc
	s_cbranch_execz .LBB48_97
; %bb.96:
	ds_write_b16 v4, v1
	ds_write_b8 v4, v2 offset:2
.LBB48_97:
	s_or_b64 exec, exec, s[28:29]
	v_cmp_gt_u32_e32 vcc, 4, v0
	s_waitcnt lgkmcnt(0)
	s_barrier
	s_and_saveexec_b64 s[34:35], vcc
	s_cbranch_execz .LBB48_101
; %bb.98:
	v_lshlrev_b32_e32 v5, 2, v0
	ds_read_b32 v9, v5
	v_and_b32_e32 v6, 3, v3
	v_cmp_ne_u32_e32 vcc, 0, v6
	s_waitcnt lgkmcnt(0)
	v_lshrrev_b32_e32 v8, 16, v9
	v_mov_b32_dpp v12, v9 row_shr:1 row_mask:0xf bank_mask:0xf
	v_mov_b32_e32 v7, v9
	s_and_saveexec_b64 s[28:29], vcc
	s_cbranch_execz .LBB48_100
; %bb.99:
	v_mov_b32_e32 v7, 0
	v_cmp_gt_f16_e32 vcc, v9, v12
	v_cndmask_b32_e32 v13, v12, v9, vcc
	v_cmp_eq_u16_sdwa vcc, v8, v7 src0_sel:BYTE_0 src1_sel:DWORD
	v_cndmask_b32_e32 v7, v9, v13, vcc
	v_and_b32_e32 v13, 0xff000000, v9
	v_and_b32_e32 v8, 0x10000, v9
	v_mov_b32_e32 v9, 1
	v_and_b32_sdwa v9, v12, v9 dst_sel:DWORD dst_unused:UNUSED_PAD src0_sel:WORD_1 src1_sel:DWORD
	v_cmp_ne_u32_e32 vcc, 0, v8
	v_cndmask_b32_e64 v8, v9, 1, vcc
	v_lshlrev_b32_e32 v9, 16, v8
	v_and_b32_e32 v12, 0xffff, v7
	v_or3_b32 v9, v9, v13, v12
.LBB48_100:
	s_or_b64 exec, exec, s[28:29]
	s_nop 0
	v_mov_b32_dpp v12, v9 row_shr:2 row_mask:0xf bank_mask:0xf
	v_and_b32_e32 v13, 0xff0000, v9
	v_cmp_gt_f16_e64 s[28:29], v7, v12
	v_and_b32_e32 v9, 0x10000, v9
	v_mov_b32_e32 v14, 1
	v_cmp_eq_u32_e32 vcc, 0, v13
	v_cndmask_b32_e64 v13, v12, v7, s[28:29]
	v_and_b32_sdwa v12, v12, v14 dst_sel:DWORD dst_unused:UNUSED_PAD src0_sel:WORD_1 src1_sel:DWORD
	v_cmp_eq_u32_e64 s[28:29], 0, v9
	v_cndmask_b32_e64 v9, 1, v12, s[28:29]
	v_cmp_lt_u32_e64 s[28:29], 1, v6
	s_and_b64 vcc, s[28:29], vcc
	v_cndmask_b32_e32 v7, v7, v13, vcc
	v_cndmask_b32_e64 v6, v8, v9, s[28:29]
	ds_write_b16 v5, v7
	ds_write_b8 v5, v6 offset:2
.LBB48_101:
	s_or_b64 exec, exec, s[34:35]
	v_cmp_gt_u32_e32 vcc, 64, v0
	v_cmp_lt_u32_e64 s[28:29], 63, v0
	v_mov_b32_e32 v13, 0
	v_mov_b32_e32 v12, 0
	s_waitcnt lgkmcnt(0)
	s_barrier
	s_and_saveexec_b64 s[34:35], s[28:29]
	s_cbranch_execz .LBB48_103
; %bb.102:
	v_add_u32_e32 v5, -4, v4
	ds_read_u16 v12, v5
	v_add_u32_e32 v4, -2, v4
	ds_read_u8 v13, v4
	v_mov_b32_e32 v5, 0
	s_waitcnt lgkmcnt(1)
	v_cmp_lt_f16_e64 s[28:29], v12, v1
	v_cndmask_b32_e64 v4, v12, v1, s[28:29]
	v_cmp_eq_u16_sdwa s[28:29], v2, v5 src0_sel:BYTE_0 src1_sel:DWORD
	v_and_b32_e32 v2, 1, v2
	v_cndmask_b32_e64 v1, v1, v4, s[28:29]
	v_cmp_eq_u32_e64 s[28:29], 1, v2
	s_waitcnt lgkmcnt(0)
	v_cndmask_b32_e64 v2, v13, 1, s[28:29]
.LBB48_103:
	s_or_b64 exec, exec, s[34:35]
	v_and_b32_e32 v2, 0xff, v2
	v_and_b32_e32 v1, 0xffff, v1
	v_lshl_or_b32 v1, v2, 16, v1
	v_subrev_co_u32_e64 v2, s[28:29], 1, v3
	v_and_b32_e32 v4, 64, v3
	v_cmp_lt_i32_e64 s[34:35], v2, v4
	v_cndmask_b32_e64 v2, v2, v3, s[34:35]
	v_lshlrev_b32_e32 v2, 2, v2
	ds_bpermute_b32 v14, v2, v1
	s_and_saveexec_b64 s[34:35], vcc
	s_cbranch_execz .LBB48_163
; %bb.104:
	v_mov_b32_e32 v6, 0
	ds_read_b32 v1, v6 offset:12
	s_and_saveexec_b64 s[46:47], s[28:29]
	s_cbranch_execz .LBB48_106
; %bb.105:
	s_add_i32 s48, s6, 64
	s_mov_b32 s49, 0
	s_lshl_b64 s[48:49], s[48:49], 3
	s_add_u32 s48, s40, s48
	v_mov_b32_e32 v2, 1
	s_addc_u32 s49, s41, s49
	s_waitcnt lgkmcnt(0)
	global_store_dwordx2 v6, v[1:2], s[48:49]
.LBB48_106:
	s_or_b64 exec, exec, s[46:47]
	v_xad_u32 v2, v3, -1, s6
	v_add_u32_e32 v5, 64, v2
	v_lshlrev_b64 v[4:5], 3, v[5:6]
	v_mov_b32_e32 v8, s41
	v_add_co_u32_e32 v7, vcc, s40, v4
	v_addc_co_u32_e32 v8, vcc, v8, v5, vcc
	global_load_dwordx2 v[4:5], v[7:8], off glc
	s_waitcnt vmcnt(0)
	v_cmp_eq_u16_sdwa s[48:49], v5, v6 src0_sel:BYTE_0 src1_sel:DWORD
	s_and_saveexec_b64 s[46:47], s[48:49]
	s_cbranch_execz .LBB48_110
; %bb.107:
	s_mov_b64 s[48:49], 0
	v_mov_b32_e32 v6, 0
.LBB48_108:                             ; =>This Inner Loop Header: Depth=1
	global_load_dwordx2 v[4:5], v[7:8], off glc
	s_waitcnt vmcnt(0)
	v_cmp_ne_u16_sdwa s[50:51], v5, v6 src0_sel:BYTE_0 src1_sel:DWORD
	s_or_b64 s[48:49], s[50:51], s[48:49]
	s_andn2_b64 exec, exec, s[48:49]
	s_cbranch_execnz .LBB48_108
; %bb.109:
	s_or_b64 exec, exec, s[48:49]
.LBB48_110:
	s_or_b64 exec, exec, s[46:47]
	v_mov_b32_e32 v8, 2
	v_lshlrev_b64 v[6:7], v3, -1
	v_cmp_eq_u16_sdwa s[46:47], v5, v8 src0_sel:BYTE_0 src1_sel:DWORD
	v_and_b32_e32 v8, s47, v7
	v_or_b32_e32 v8, 0x80000000, v8
	v_and_b32_e32 v9, s46, v6
	v_ffbl_b32_e32 v8, v8
	v_and_b32_e32 v25, 63, v3
	v_add_u32_e32 v8, 32, v8
	v_ffbl_b32_e32 v9, v9
	v_cmp_ne_u32_e32 vcc, 63, v25
	v_min_u32_e32 v8, v9, v8
	v_addc_co_u32_e32 v9, vcc, 0, v3, vcc
	v_and_b32_e32 v27, 0xffffff, v4
	v_lshlrev_b32_e32 v15, 2, v9
	ds_bpermute_b32 v18, v15, v27
	v_add_u32_e32 v16, 1, v3
	v_lshrrev_b32_e32 v9, 16, v4
	v_cmp_le_u32_e32 vcc, v16, v8
	v_bfe_u32 v28, v4, 16, 8
	s_and_saveexec_b64 s[46:47], vcc
	s_cbranch_execz .LBB48_112
; %bb.111:
	v_and_b32_e32 v9, 0xff0000, v4
	s_waitcnt lgkmcnt(0)
	v_cmp_gt_f16_e32 vcc, v4, v18
	v_cndmask_b32_e32 v20, v18, v4, vcc
	v_cmp_eq_u32_e32 vcc, 0, v9
	v_cndmask_b32_e32 v4, v4, v20, vcc
	v_and_b32_e32 v9, 0x10000, v9
	v_mov_b32_e32 v20, 1
	v_and_b32_sdwa v18, v18, v20 dst_sel:DWORD dst_unused:UNUSED_PAD src0_sel:WORD_1 src1_sel:DWORD
	v_cmp_ne_u32_e32 vcc, 0, v9
	v_cndmask_b32_e64 v9, v18, 1, vcc
	v_lshlrev_b32_e32 v18, 16, v9
	v_or_b32_sdwa v27, v18, v4 dst_sel:DWORD dst_unused:UNUSED_PAD src0_sel:DWORD src1_sel:WORD_0
	v_mov_b32_e32 v28, v9
.LBB48_112:
	s_or_b64 exec, exec, s[46:47]
	v_cmp_gt_u32_e32 vcc, 62, v25
	s_waitcnt lgkmcnt(0)
	v_cndmask_b32_e64 v18, 0, 2, vcc
	v_add_lshl_u32 v18, v18, v3, 2
	ds_bpermute_b32 v21, v18, v27
	v_add_u32_e32 v20, 2, v3
	v_cmp_le_u32_e32 vcc, v20, v8
	s_and_saveexec_b64 s[46:47], vcc
	s_cbranch_execz .LBB48_114
; %bb.113:
	s_waitcnt lgkmcnt(0)
	v_cmp_gt_f16_e32 vcc, v4, v21
	v_cndmask_b32_e32 v9, v21, v4, vcc
	v_cmp_eq_u16_e32 vcc, 0, v28
	v_cndmask_b32_e32 v4, v4, v9, vcc
	v_and_b32_e32 v9, 1, v28
	v_mov_b32_e32 v22, 1
	v_and_b32_sdwa v21, v21, v22 dst_sel:DWORD dst_unused:UNUSED_PAD src0_sel:WORD_1 src1_sel:DWORD
	v_cmp_eq_u32_e32 vcc, 1, v9
	v_cndmask_b32_e64 v9, v21, 1, vcc
	v_lshlrev_b32_e32 v21, 16, v9
	v_or_b32_sdwa v27, v21, v4 dst_sel:DWORD dst_unused:UNUSED_PAD src0_sel:DWORD src1_sel:WORD_0
	v_mov_b32_e32 v28, v9
.LBB48_114:
	s_or_b64 exec, exec, s[46:47]
	v_cmp_gt_u32_e32 vcc, 60, v25
	s_waitcnt lgkmcnt(0)
	v_cndmask_b32_e64 v21, 0, 4, vcc
	v_add_lshl_u32 v21, v21, v3, 2
	ds_bpermute_b32 v23, v21, v27
	v_add_u32_e32 v22, 4, v3
	v_cmp_le_u32_e32 vcc, v22, v8
	s_and_saveexec_b64 s[46:47], vcc
	s_cbranch_execz .LBB48_116
; %bb.115:
	s_waitcnt lgkmcnt(0)
	v_cmp_gt_f16_e32 vcc, v4, v23
	v_cndmask_b32_e32 v9, v23, v4, vcc
	v_cmp_eq_u16_e32 vcc, 0, v28
	v_cndmask_b32_e32 v4, v4, v9, vcc
	v_and_b32_e32 v9, 1, v28
	v_mov_b32_e32 v24, 1
	v_and_b32_sdwa v23, v23, v24 dst_sel:DWORD dst_unused:UNUSED_PAD src0_sel:WORD_1 src1_sel:DWORD
	v_cmp_eq_u32_e32 vcc, 1, v9
	v_cndmask_b32_e64 v9, v23, 1, vcc
	v_lshlrev_b32_e32 v23, 16, v9
	v_or_b32_sdwa v27, v23, v4 dst_sel:DWORD dst_unused:UNUSED_PAD src0_sel:DWORD src1_sel:WORD_0
	v_mov_b32_e32 v28, v9
.LBB48_116:
	;; [unrolled: 25-line block ×3, first 2 shown]
	s_or_b64 exec, exec, s[46:47]
	v_cmp_gt_u32_e32 vcc, 48, v25
	v_cndmask_b32_e64 v25, 0, 16, vcc
	v_add_lshl_u32 v25, v25, v3, 2
	ds_bpermute_b32 v29, v25, v27
	s_waitcnt lgkmcnt(1)
	v_add_u32_e32 v26, 16, v3
	v_cmp_le_u32_e32 vcc, v26, v8
	s_and_saveexec_b64 s[46:47], vcc
	s_xor_b64 s[46:47], exec, s[46:47]
	s_cbranch_execz .LBB48_120
; %bb.119:
	s_waitcnt lgkmcnt(0)
	v_cmp_gt_f16_e32 vcc, v4, v29
	v_cndmask_b32_e32 v9, v29, v4, vcc
	v_cmp_eq_u16_e32 vcc, 0, v28
	v_cndmask_b32_e32 v4, v4, v9, vcc
	v_and_b32_e32 v9, 1, v28
	v_mov_b32_e32 v27, 1
	v_and_b32_sdwa v27, v29, v27 dst_sel:DWORD dst_unused:UNUSED_PAD src0_sel:WORD_1 src1_sel:DWORD
	v_cmp_eq_u32_e32 vcc, 1, v9
	v_cndmask_b32_e64 v9, v27, 1, vcc
	v_lshlrev_b32_e32 v27, 16, v9
	v_or_b32_sdwa v27, v27, v4 dst_sel:DWORD dst_unused:UNUSED_PAD src0_sel:DWORD src1_sel:WORD_0
                                        ; implicit-def: $vgpr28
.LBB48_120:
	s_or_saveexec_b64 s[46:47], s[46:47]
	v_mov_b32_e32 v55, v9
	s_xor_b64 exec, exec, s[46:47]
; %bb.121:
	v_mov_b32_e32 v55, v28
; %bb.122:
	s_or_b64 exec, exec, s[46:47]
	v_mov_b32_e32 v28, 0x80
	s_waitcnt lgkmcnt(0)
	v_lshl_or_b32 v29, v3, 2, v28
	ds_bpermute_b32 v27, v29, v27
	v_add_u32_e32 v54, 32, v3
	v_cmp_le_u32_e32 vcc, v54, v8
	s_and_saveexec_b64 s[46:47], vcc
	s_cbranch_execz .LBB48_124
; %bb.123:
	s_waitcnt lgkmcnt(0)
	v_cmp_gt_f16_e32 vcc, v4, v27
	v_and_b32_e32 v9, 1, v55
	v_mov_b32_e32 v28, 1
	v_mov_b32_e32 v3, 0
	v_cndmask_b32_e32 v8, v27, v4, vcc
	v_and_b32_sdwa v27, v27, v28 dst_sel:DWORD dst_unused:UNUSED_PAD src0_sel:WORD_1 src1_sel:DWORD
	v_cmp_eq_u32_e32 vcc, 1, v9
	v_cndmask_b32_e64 v9, v27, 1, vcc
	v_cmp_eq_u16_sdwa vcc, v55, v3 src0_sel:BYTE_0 src1_sel:DWORD
	v_cndmask_b32_e32 v4, v4, v8, vcc
.LBB48_124:
	s_or_b64 exec, exec, s[46:47]
	v_mov_b32_e32 v3, 0
	v_mov_b32_e32 v55, 2
	;; [unrolled: 1-line block ×3, first 2 shown]
	s_branch .LBB48_127
.LBB48_125:                             ;   in Loop: Header=BB48_127 Depth=1
	s_or_b64 exec, exec, s[46:47]
	v_cmp_lt_f16_e32 vcc, v4, v28
	v_cndmask_b32_e32 v4, v4, v28, vcc
	v_cmp_eq_u16_sdwa vcc, v27, v3 src0_sel:BYTE_0 src1_sel:DWORD
	v_and_b32_e32 v8, 1, v27
	v_cndmask_b32_e32 v4, v28, v4, vcc
	v_and_b32_e32 v9, 1, v9
	v_cmp_eq_u32_e32 vcc, 1, v8
	v_subrev_u32_e32 v2, 64, v2
	v_cndmask_b32_e64 v9, v9, 1, vcc
	s_mov_b64 s[46:47], 0
.LBB48_126:                             ;   in Loop: Header=BB48_127 Depth=1
	s_and_b64 vcc, exec, s[46:47]
	s_cbranch_vccnz .LBB48_159
.LBB48_127:                             ; =>This Loop Header: Depth=1
                                        ;     Child Loop BB48_130 Depth 2
	v_cmp_ne_u16_sdwa s[46:47], v5, v55 src0_sel:BYTE_0 src1_sel:DWORD
	s_waitcnt lgkmcnt(0)
	v_mov_b32_e32 v27, v9
	v_mov_b32_e32 v28, v4
	s_cmp_lg_u64 s[46:47], exec
	s_mov_b64 s[46:47], -1
                                        ; implicit-def: $vgpr9
                                        ; implicit-def: $vgpr4
	s_cbranch_scc1 .LBB48_126
; %bb.128:                              ;   in Loop: Header=BB48_127 Depth=1
	v_lshlrev_b64 v[4:5], 3, v[2:3]
	v_mov_b32_e32 v9, s41
	v_add_co_u32_e32 v8, vcc, s40, v4
	v_addc_co_u32_e32 v9, vcc, v9, v5, vcc
	global_load_dwordx2 v[4:5], v[8:9], off glc
	s_waitcnt vmcnt(0)
	v_cmp_eq_u16_sdwa s[48:49], v5, v3 src0_sel:BYTE_0 src1_sel:DWORD
	s_and_saveexec_b64 s[46:47], s[48:49]
	s_cbranch_execz .LBB48_132
; %bb.129:                              ;   in Loop: Header=BB48_127 Depth=1
	s_mov_b64 s[48:49], 0
.LBB48_130:                             ;   Parent Loop BB48_127 Depth=1
                                        ; =>  This Inner Loop Header: Depth=2
	global_load_dwordx2 v[4:5], v[8:9], off glc
	s_waitcnt vmcnt(0)
	v_cmp_ne_u16_sdwa s[50:51], v5, v3 src0_sel:BYTE_0 src1_sel:DWORD
	s_or_b64 s[48:49], s[50:51], s[48:49]
	s_andn2_b64 exec, exec, s[48:49]
	s_cbranch_execnz .LBB48_130
; %bb.131:                              ;   in Loop: Header=BB48_127 Depth=1
	s_or_b64 exec, exec, s[48:49]
.LBB48_132:                             ;   in Loop: Header=BB48_127 Depth=1
	s_or_b64 exec, exec, s[46:47]
	v_cmp_eq_u16_sdwa s[46:47], v5, v55 src0_sel:BYTE_0 src1_sel:DWORD
	v_and_b32_e32 v8, s47, v7
	v_and_b32_e32 v57, 0xffffff, v4
	v_or_b32_e32 v8, 0x80000000, v8
	ds_bpermute_b32 v59, v15, v57
	v_and_b32_e32 v9, s46, v6
	v_ffbl_b32_e32 v8, v8
	v_add_u32_e32 v8, 32, v8
	v_ffbl_b32_e32 v9, v9
	v_min_u32_e32 v8, v9, v8
	v_lshrrev_b32_e32 v9, 16, v4
	v_cmp_le_u32_e32 vcc, v16, v8
	v_bfe_u32 v58, v4, 16, 8
	s_and_saveexec_b64 s[46:47], vcc
	s_cbranch_execz .LBB48_134
; %bb.133:                              ;   in Loop: Header=BB48_127 Depth=1
	v_and_b32_e32 v9, 0xff0000, v4
	s_waitcnt lgkmcnt(0)
	v_cmp_gt_f16_e32 vcc, v4, v59
	v_cndmask_b32_e32 v57, v59, v4, vcc
	v_cmp_eq_u32_e32 vcc, 0, v9
	v_and_b32_e32 v9, 0x10000, v9
	v_cndmask_b32_e32 v4, v4, v57, vcc
	v_and_b32_sdwa v57, v59, v56 dst_sel:DWORD dst_unused:UNUSED_PAD src0_sel:WORD_1 src1_sel:DWORD
	v_cmp_ne_u32_e32 vcc, 0, v9
	v_cndmask_b32_e64 v9, v57, 1, vcc
	v_lshlrev_b32_e32 v57, 16, v9
	v_or_b32_sdwa v57, v57, v4 dst_sel:DWORD dst_unused:UNUSED_PAD src0_sel:DWORD src1_sel:WORD_0
	v_mov_b32_e32 v58, v9
.LBB48_134:                             ;   in Loop: Header=BB48_127 Depth=1
	s_or_b64 exec, exec, s[46:47]
	s_waitcnt lgkmcnt(0)
	ds_bpermute_b32 v59, v18, v57
	v_cmp_le_u32_e32 vcc, v20, v8
	s_and_saveexec_b64 s[46:47], vcc
	s_cbranch_execz .LBB48_136
; %bb.135:                              ;   in Loop: Header=BB48_127 Depth=1
	s_waitcnt lgkmcnt(0)
	v_cmp_gt_f16_e32 vcc, v4, v59
	v_cndmask_b32_e32 v9, v59, v4, vcc
	v_cmp_eq_u16_e32 vcc, 0, v58
	v_cndmask_b32_e32 v4, v4, v9, vcc
	v_and_b32_e32 v9, 1, v58
	v_and_b32_sdwa v57, v59, v56 dst_sel:DWORD dst_unused:UNUSED_PAD src0_sel:WORD_1 src1_sel:DWORD
	v_cmp_eq_u32_e32 vcc, 1, v9
	v_cndmask_b32_e64 v9, v57, 1, vcc
	v_lshlrev_b32_e32 v57, 16, v9
	v_or_b32_sdwa v57, v57, v4 dst_sel:DWORD dst_unused:UNUSED_PAD src0_sel:DWORD src1_sel:WORD_0
	v_mov_b32_e32 v58, v9
.LBB48_136:                             ;   in Loop: Header=BB48_127 Depth=1
	s_or_b64 exec, exec, s[46:47]
	s_waitcnt lgkmcnt(0)
	ds_bpermute_b32 v59, v21, v57
	v_cmp_le_u32_e32 vcc, v22, v8
	s_and_saveexec_b64 s[46:47], vcc
	s_cbranch_execz .LBB48_138
; %bb.137:                              ;   in Loop: Header=BB48_127 Depth=1
	s_waitcnt lgkmcnt(0)
	v_cmp_gt_f16_e32 vcc, v4, v59
	v_cndmask_b32_e32 v9, v59, v4, vcc
	v_cmp_eq_u16_e32 vcc, 0, v58
	v_cndmask_b32_e32 v4, v4, v9, vcc
	v_and_b32_e32 v9, 1, v58
	v_and_b32_sdwa v57, v59, v56 dst_sel:DWORD dst_unused:UNUSED_PAD src0_sel:WORD_1 src1_sel:DWORD
	v_cmp_eq_u32_e32 vcc, 1, v9
	v_cndmask_b32_e64 v9, v57, 1, vcc
	v_lshlrev_b32_e32 v57, 16, v9
	v_or_b32_sdwa v57, v57, v4 dst_sel:DWORD dst_unused:UNUSED_PAD src0_sel:DWORD src1_sel:WORD_0
	v_mov_b32_e32 v58, v9
.LBB48_138:                             ;   in Loop: Header=BB48_127 Depth=1
	;; [unrolled: 20-line block ×3, first 2 shown]
	s_or_b64 exec, exec, s[46:47]
	s_waitcnt lgkmcnt(0)
	ds_bpermute_b32 v59, v25, v57
	v_cmp_le_u32_e32 vcc, v26, v8
	s_and_saveexec_b64 s[46:47], vcc
	s_xor_b64 s[46:47], exec, s[46:47]
	s_cbranch_execz .LBB48_142
; %bb.141:                              ;   in Loop: Header=BB48_127 Depth=1
	s_waitcnt lgkmcnt(0)
	v_cmp_gt_f16_e32 vcc, v4, v59
	v_cndmask_b32_e32 v9, v59, v4, vcc
	v_cmp_eq_u16_e32 vcc, 0, v58
	v_cndmask_b32_e32 v4, v4, v9, vcc
	v_and_b32_e32 v9, 1, v58
	v_and_b32_sdwa v57, v59, v56 dst_sel:DWORD dst_unused:UNUSED_PAD src0_sel:WORD_1 src1_sel:DWORD
	v_cmp_eq_u32_e32 vcc, 1, v9
	v_cndmask_b32_e64 v9, v57, 1, vcc
	v_lshlrev_b32_e32 v57, 16, v9
	v_or_b32_sdwa v57, v57, v4 dst_sel:DWORD dst_unused:UNUSED_PAD src0_sel:DWORD src1_sel:WORD_0
                                        ; implicit-def: $vgpr58
.LBB48_142:                             ;   in Loop: Header=BB48_127 Depth=1
	s_or_saveexec_b64 s[46:47], s[46:47]
	s_waitcnt lgkmcnt(0)
	v_mov_b32_e32 v59, v9
	s_xor_b64 exec, exec, s[46:47]
; %bb.143:                              ;   in Loop: Header=BB48_127 Depth=1
	v_mov_b32_e32 v59, v58
; %bb.144:                              ;   in Loop: Header=BB48_127 Depth=1
	s_or_b64 exec, exec, s[46:47]
	ds_bpermute_b32 v57, v29, v57
	v_cmp_le_u32_e32 vcc, v54, v8
	s_and_saveexec_b64 s[46:47], vcc
	s_cbranch_execz .LBB48_125
; %bb.145:                              ;   in Loop: Header=BB48_127 Depth=1
	s_waitcnt lgkmcnt(0)
	v_cmp_gt_f16_e32 vcc, v4, v57
	v_and_b32_e32 v9, 1, v59
	v_cndmask_b32_e32 v8, v57, v4, vcc
	v_lshrrev_b32_e32 v57, 16, v57
	v_cmp_eq_u32_e32 vcc, 1, v9
	v_cndmask_b32_e64 v9, v57, 1, vcc
	v_cmp_eq_u16_sdwa vcc, v59, v3 src0_sel:BYTE_0 src1_sel:DWORD
	v_cndmask_b32_e32 v4, v4, v8, vcc
	s_branch .LBB48_125
.LBB48_146:
	s_or_b64 exec, exec, s[46:47]
                                        ; implicit-def: $vgpr19
	s_and_saveexec_b64 s[2:3], s[34:35]
	s_cbranch_execz .LBB48_33
.LBB48_147:
	global_load_ushort v19, v[1:2], off offset:512
	s_or_b64 exec, exec, s[2:3]
                                        ; implicit-def: $vgpr20
	s_and_saveexec_b64 s[2:3], s[8:9]
	s_cbranch_execnz .LBB48_34
.LBB48_148:
	s_or_b64 exec, exec, s[2:3]
                                        ; implicit-def: $vgpr21
	s_and_saveexec_b64 s[2:3], s[10:11]
	s_cbranch_execz .LBB48_35
.LBB48_149:
	global_load_ushort v21, v[1:2], off offset:1536
	s_or_b64 exec, exec, s[2:3]
                                        ; implicit-def: $vgpr22
	s_and_saveexec_b64 s[2:3], s[12:13]
	s_cbranch_execnz .LBB48_36
.LBB48_150:
	s_or_b64 exec, exec, s[2:3]
                                        ; implicit-def: $vgpr23
	s_and_saveexec_b64 s[2:3], s[14:15]
	s_cbranch_execz .LBB48_37
.LBB48_151:
	global_load_ushort v23, v[1:2], off offset:2560
	s_or_b64 exec, exec, s[2:3]
                                        ; implicit-def: $vgpr24
	s_and_saveexec_b64 s[2:3], s[16:17]
	s_cbranch_execnz .LBB48_38
.LBB48_152:
	s_or_b64 exec, exec, s[2:3]
                                        ; implicit-def: $vgpr25
	s_and_saveexec_b64 s[2:3], s[18:19]
	s_cbranch_execz .LBB48_39
.LBB48_153:
	global_load_ushort v25, v[1:2], off offset:3584
	s_or_b64 exec, exec, s[2:3]
                                        ; implicit-def: $vgpr30
	s_and_saveexec_b64 s[2:3], s[20:21]
	s_cbranch_execnz .LBB48_40
.LBB48_154:
	s_or_b64 exec, exec, s[2:3]
                                        ; implicit-def: $vgpr31
	s_and_saveexec_b64 s[2:3], s[22:23]
	s_cbranch_execz .LBB48_41
.LBB48_155:
	v_add_co_u32_e32 v31, vcc, 0x1000, v1
	v_addc_co_u32_e32 v32, vcc, 0, v2, vcc
	global_load_ushort v31, v[31:32], off offset:512
	s_or_b64 exec, exec, s[2:3]
                                        ; implicit-def: $vgpr32
	s_and_saveexec_b64 s[2:3], s[24:25]
	s_cbranch_execnz .LBB48_42
.LBB48_156:
	s_or_b64 exec, exec, s[2:3]
                                        ; implicit-def: $vgpr33
	s_and_saveexec_b64 s[2:3], s[26:27]
	s_cbranch_execz .LBB48_43
.LBB48_157:
	v_add_co_u32_e32 v33, vcc, 0x1000, v1
	v_addc_co_u32_e32 v34, vcc, 0, v2, vcc
	global_load_ushort v33, v[33:34], off offset:1536
	s_or_b64 exec, exec, s[2:3]
                                        ; implicit-def: $vgpr34
	s_and_saveexec_b64 s[2:3], s[28:29]
	s_cbranch_execz .LBB48_45
	s_branch .LBB48_44
.LBB48_158:
                                        ; implicit-def: $vgpr20
                                        ; implicit-def: $vgpr18
                                        ; implicit-def: $vgpr13
                                        ; implicit-def: $vgpr16
                                        ; implicit-def: $vgpr15
                                        ; implicit-def: $vgpr3
                                        ; implicit-def: $vgpr14
                                        ; implicit-def: $vgpr9
                                        ; implicit-def: $vgpr4
                                        ; implicit-def: $vgpr12
                                        ; implicit-def: $vgpr8
                                        ; implicit-def: $vgpr5
                                        ; implicit-def: $vgpr7
                                        ; implicit-def: $vgpr6
	s_cbranch_execnz .LBB48_168
	s_branch .LBB48_199
.LBB48_159:
	s_and_saveexec_b64 s[46:47], s[28:29]
	s_cbranch_execz .LBB48_161
; %bb.160:
	v_and_b32_e32 v2, 0xff0000, v1
	v_cmp_lt_f16_e32 vcc, v28, v1
	v_cndmask_b32_e32 v3, v28, v1, vcc
	v_cmp_eq_u32_e32 vcc, 0, v2
	s_mov_b32 s7, 0
	v_cndmask_b32_e32 v2, v1, v3, vcc
	v_and_b32_e32 v1, 0x10000, v1
	v_mov_b32_e32 v3, 1
	s_add_i32 s6, s6, 64
	v_and_b32_sdwa v3, v27, v3 dst_sel:WORD_1 dst_unused:UNUSED_PAD src0_sel:DWORD src1_sel:DWORD
	v_mov_b32_e32 v4, 0x10000
	v_cmp_eq_u32_e32 vcc, 0, v1
	s_lshl_b64 s[6:7], s[6:7], 3
	v_cndmask_b32_e32 v1, v4, v3, vcc
	s_add_u32 s6, s40, s6
	s_addc_u32 s7, s41, s7
	v_mov_b32_e32 v3, 0
	v_or_b32_sdwa v1, v1, v2 dst_sel:DWORD dst_unused:UNUSED_PAD src0_sel:DWORD src1_sel:WORD_0
	v_mov_b32_e32 v2, 2
	global_store_dwordx2 v3, v[1:2], s[6:7]
.LBB48_161:
	s_or_b64 exec, exec, s[46:47]
	v_cmp_eq_u32_e32 vcc, 0, v0
	s_and_b64 exec, exec, vcc
	s_cbranch_execz .LBB48_163
; %bb.162:
	v_mov_b32_e32 v1, 0
	ds_write_b16 v1, v28 offset:12
	ds_write_b8 v1, v27 offset:14
.LBB48_163:
	s_or_b64 exec, exec, s[34:35]
	v_mov_b32_e32 v2, 0
	s_waitcnt vmcnt(0) lgkmcnt(0)
	s_barrier
	ds_read_u16 v1, v2 offset:12
	v_cmp_ne_u32_e32 vcc, 0, v0
	v_mov_b32_e32 v4, v17
	v_mov_b32_e32 v3, v17
	;; [unrolled: 1-line block ×3, first 2 shown]
	s_and_saveexec_b64 s[6:7], vcc
	s_cbranch_execz .LBB48_165
; %bb.164:
	s_mov_b64 vcc, s[28:29]
	v_cndmask_b32_e64 v3, v14, v12, s[28:29]
	v_cndmask_b32_sdwa v5, v14, v13, vcc dst_sel:DWORD dst_unused:UNUSED_PAD src0_sel:WORD_1 src1_sel:DWORD
	v_cmp_lt_f16_e32 vcc, v3, v17
	v_cndmask_b32_e32 v3, v3, v17, vcc
	v_cmp_eq_u16_sdwa vcc, v51, v2 src0_sel:BYTE_0 src1_sel:DWORD
	v_cndmask_b32_e32 v4, v17, v3, vcc
	v_and_b32_e32 v3, 1, v51
	v_and_b32_e32 v5, 1, v5
	v_cmp_eq_u32_e32 vcc, 1, v3
	v_cndmask_b32_e64 v5, v5, 1, vcc
	v_mov_b32_e32 v3, v4
.LBB48_165:
	s_or_b64 exec, exec, s[6:7]
	s_waitcnt lgkmcnt(0)
	v_cmp_lt_f16_e64 s[6:7], v1, v4
	v_cmp_eq_u16_sdwa vcc, v5, v2 src0_sel:BYTE_0 src1_sel:DWORD
	v_cndmask_b32_e64 v1, v1, v4, s[6:7]
	s_and_saveexec_b64 s[6:7], s[44:45]
	s_xor_b64 s[6:7], exec, s[6:7]
	s_or_saveexec_b64 s[6:7], s[6:7]
	v_cndmask_b32_e32 v13, v3, v1, vcc
	v_mov_b32_e32 v3, v49
	s_xor_b64 exec, exec, s[6:7]
; %bb.166:
	v_cmp_gt_f16_e32 vcc, v49, v13
	v_cndmask_b32_e32 v3, v13, v49, vcc
; %bb.167:
	s_or_b64 exec, exec, s[6:7]
	v_cmp_lt_f16_e32 vcc, v3, v48
	v_cndmask_b32_e32 v1, v3, v48, vcc
	v_cndmask_b32_e64 v4, v48, v1, s[2:3]
	v_cmp_lt_f16_e32 vcc, v4, v42
	v_cndmask_b32_e32 v1, v4, v42, vcc
	v_cndmask_b32_e64 v5, v42, v1, s[30:31]
	;; [unrolled: 3-line block ×12, first 2 shown]
	s_branch .LBB48_199
.LBB48_168:
	s_cmp_lg_u64 s[36:37], 0
	s_cselect_b64 s[6:7], -1, 0
	v_cmp_eq_u32_e32 vcc, 0, v0
	v_cmp_ne_u32_e64 s[2:3], 0, v0
	s_and_b64 s[6:7], vcc, s[6:7]
	s_and_saveexec_b64 s[8:9], s[6:7]
	s_cbranch_execz .LBB48_172
; %bb.169:
	v_mov_b32_e32 v2, 0
	global_load_ubyte v1, v2, s[36:37] offset:2
	v_cmp_eq_u16_sdwa s[6:7], v51, v2 src0_sel:BYTE_0 src1_sel:DWORD
	s_and_saveexec_b64 s[10:11], s[6:7]
	s_cbranch_execz .LBB48_171
; %bb.170:
	global_load_ushort v2, v2, s[36:37]
	s_waitcnt vmcnt(0)
	v_cmp_lt_f16_e64 s[6:7], v2, v17
	v_cndmask_b32_e64 v17, v2, v17, s[6:7]
.LBB48_171:
	s_or_b64 exec, exec, s[10:11]
	v_and_b32_e32 v2, 1, v51
	s_waitcnt vmcnt(0)
	v_and_b32_e32 v1, 1, v1
	v_cmp_eq_u32_e64 s[6:7], 1, v2
	v_cndmask_b32_e64 v51, v1, 1, s[6:7]
.LBB48_172:
	s_or_b64 exec, exec, s[8:9]
	v_mov_b32_e32 v1, 0
	v_cmp_eq_u16_sdwa s[6:7], v44, v1 src0_sel:BYTE_0 src1_sel:DWORD
	v_cmp_ne_u16_sdwa s[8:9], v44, v1 src0_sel:BYTE_0 src1_sel:DWORD
	s_and_saveexec_b64 s[10:11], s[8:9]
	s_xor_b64 s[8:9], exec, s[10:11]
	s_or_saveexec_b64 s[10:11], s[8:9]
	v_mov_b32_e32 v1, v49
	s_xor_b64 exec, exec, s[10:11]
; %bb.173:
	v_cmp_lt_f16_e64 s[8:9], v17, v49
	v_cndmask_b32_e64 v1, v17, v49, s[8:9]
; %bb.174:
	s_or_b64 exec, exec, s[10:11]
	v_mov_b32_e32 v2, 0
	v_cmp_lt_f16_e64 s[8:9], v1, v48
	v_cndmask_b32_e64 v1, v1, v48, s[8:9]
	v_cmp_eq_u16_sdwa s[8:9], v45, v2 src0_sel:BYTE_0 src1_sel:DWORD
	v_cndmask_b32_e64 v1, v48, v1, s[8:9]
	v_cmp_lt_f16_e64 s[10:11], v1, v42
	v_cndmask_b32_e64 v1, v1, v42, s[10:11]
	v_cmp_eq_u16_sdwa s[10:11], v53, v2 src0_sel:BYTE_0 src1_sel:DWORD
	v_cndmask_b32_e64 v1, v42, v1, s[10:11]
	;; [unrolled: 4-line block ×9, first 2 shown]
	v_or_b32_e32 v3, v45, v46
	v_or_b32_e32 v4, v52, v43
	;; [unrolled: 1-line block ×4, first 2 shown]
	v_cmp_lt_f16_e64 s[22:23], v1, v31
	v_or_b32_e32 v5, v5, v6
	v_or_b32_e32 v3, v3, v4
	v_cndmask_b32_e64 v1, v1, v31, s[22:23]
	v_cmp_eq_u16_sdwa s[28:29], v37, v2 src0_sel:BYTE_0 src1_sel:DWORD
	v_or_b32_e32 v3, v5, v3
	v_cndmask_b32_e64 v1, v31, v1, s[28:29]
	v_or_b32_e32 v4, v38, v37
	v_or_b32_e32 v5, v34, v36
	v_cmp_lt_f16_e64 s[22:23], v1, v30
	v_or_b32_e32 v4, v4, v5
	v_cndmask_b32_e64 v1, v1, v30, s[22:23]
	v_cmp_eq_u16_sdwa s[30:31], v36, v2 src0_sel:BYTE_0 src1_sel:DWORD
	v_or_b32_e32 v3, v4, v3
	v_cndmask_b32_e64 v1, v30, v1, s[30:31]
	v_cmp_eq_u16_sdwa s[22:23], v3, v2 src0_sel:BYTE_0 src1_sel:DWORD
	v_cndmask_b32_e64 v3, 1, v51, s[22:23]
	v_cmp_lt_f16_e64 s[22:23], v1, v10
	v_cndmask_b32_e64 v1, v1, v10, s[22:23]
	v_cmp_eq_u16_e64 s[22:23], 0, v11
	v_cndmask_b32_e64 v2, v10, v1, s[22:23]
	v_and_b32_e32 v1, 1, v11
	v_cmp_eq_u32_e64 s[34:35], 1, v1
	v_cndmask_b32_e64 v3, v3, 1, s[34:35]
	v_mbcnt_lo_u32_b32 v1, -1, 0
	v_mbcnt_hi_u32_b32 v1, -1, v1
	v_and_b32_e32 v7, 0xff, v3
	v_and_b32_e32 v4, 0xffff, v2
	;; [unrolled: 1-line block ×3, first 2 shown]
	v_lshl_or_b32 v4, v7, 16, v4
	v_cmp_ne_u32_e64 s[34:35], 0, v6
	s_nop 0
	v_mov_b32_dpp v5, v4 row_shr:1 row_mask:0xf bank_mask:0xf
	s_and_saveexec_b64 s[36:37], s[34:35]
	s_xor_b64 s[36:37], exec, s[36:37]
	s_cbranch_execz .LBB48_176
; %bb.175:
	v_cmp_gt_f16_e64 s[34:35], v2, v5
	v_cndmask_b32_e64 v4, v5, v2, s[34:35]
	v_cmp_eq_u16_e64 s[34:35], 0, v7
	v_cndmask_b32_e64 v2, v2, v4, s[34:35]
	v_and_b32_e32 v3, 1, v3
	v_mov_b32_e32 v4, 1
	v_and_b32_sdwa v4, v5, v4 dst_sel:DWORD dst_unused:UNUSED_PAD src0_sel:WORD_1 src1_sel:DWORD
	v_cmp_eq_u32_e64 s[34:35], 1, v3
	v_cndmask_b32_e64 v3, v4, 1, s[34:35]
	v_lshlrev_b32_e32 v4, 16, v3
	v_or_b32_sdwa v4, v4, v2 dst_sel:DWORD dst_unused:UNUSED_PAD src0_sel:DWORD src1_sel:WORD_0
.LBB48_176:
	s_or_b64 exec, exec, s[36:37]
	v_lshrrev_b32_e32 v5, 16, v4
	v_mov_b32_dpp v7, v4 row_shr:2 row_mask:0xf bank_mask:0xf
	v_cmp_lt_u32_e64 s[34:35], 1, v6
	s_and_saveexec_b64 s[36:37], s[34:35]
	s_cbranch_execz .LBB48_178
; %bb.177:
	s_mov_b32 s43, 0x10000
	v_cmp_gt_f16_e64 s[34:35], v2, v7
	v_cndmask_b32_e64 v3, v7, v2, s[34:35]
	v_cmp_gt_u32_e64 s[34:35], s43, v4
	v_cndmask_b32_e64 v2, v2, v3, s[34:35]
	v_and_b32_e32 v3, 0x10000, v4
	v_mov_b32_e32 v4, 1
	v_and_b32_sdwa v4, v7, v4 dst_sel:DWORD dst_unused:UNUSED_PAD src0_sel:WORD_1 src1_sel:DWORD
	v_cmp_ne_u32_e64 s[34:35], 0, v3
	v_cndmask_b32_e64 v3, v4, 1, s[34:35]
	v_lshlrev_b32_e32 v4, 16, v3
	v_or_b32_sdwa v4, v4, v2 dst_sel:DWORD dst_unused:UNUSED_PAD src0_sel:DWORD src1_sel:WORD_0
	v_mov_b32_e32 v5, v3
.LBB48_178:
	s_or_b64 exec, exec, s[36:37]
	v_mov_b32_dpp v7, v4 row_shr:4 row_mask:0xf bank_mask:0xf
	v_cmp_lt_u32_e64 s[34:35], 3, v6
	s_and_saveexec_b64 s[36:37], s[34:35]
	s_cbranch_execz .LBB48_180
; %bb.179:
	v_cmp_gt_f16_e64 s[34:35], v2, v7
	v_cndmask_b32_e64 v3, v7, v2, s[34:35]
	v_cmp_eq_u16_e64 s[34:35], 0, v5
	v_cndmask_b32_e64 v2, v2, v3, s[34:35]
	v_and_b32_e32 v3, 1, v5
	v_mov_b32_e32 v4, 1
	v_and_b32_sdwa v4, v7, v4 dst_sel:DWORD dst_unused:UNUSED_PAD src0_sel:WORD_1 src1_sel:DWORD
	v_cmp_eq_u32_e64 s[34:35], 1, v3
	v_cndmask_b32_e64 v3, v4, 1, s[34:35]
	v_lshlrev_b32_e32 v4, 16, v3
	v_or_b32_sdwa v4, v4, v2 dst_sel:DWORD dst_unused:UNUSED_PAD src0_sel:DWORD src1_sel:WORD_0
	v_mov_b32_e32 v5, v3
.LBB48_180:
	s_or_b64 exec, exec, s[36:37]
	v_mov_b32_dpp v7, v4 row_shr:8 row_mask:0xf bank_mask:0xf
	v_cmp_lt_u32_e64 s[34:35], 7, v6
	s_and_saveexec_b64 s[36:37], s[34:35]
	s_cbranch_execz .LBB48_182
; %bb.181:
	v_cmp_gt_f16_e64 s[34:35], v2, v7
	v_cndmask_b32_e64 v3, v7, v2, s[34:35]
	v_cmp_eq_u16_e64 s[34:35], 0, v5
	v_cndmask_b32_e64 v2, v2, v3, s[34:35]
	v_and_b32_e32 v3, 1, v5
	v_mov_b32_e32 v4, 1
	v_and_b32_sdwa v4, v7, v4 dst_sel:DWORD dst_unused:UNUSED_PAD src0_sel:WORD_1 src1_sel:DWORD
	v_cmp_eq_u32_e64 s[34:35], 1, v3
	v_cndmask_b32_e64 v3, v4, 1, s[34:35]
	v_lshlrev_b32_e32 v4, 16, v3
	v_or_b32_sdwa v4, v4, v2 dst_sel:DWORD dst_unused:UNUSED_PAD src0_sel:DWORD src1_sel:WORD_0
	v_mov_b32_e32 v5, v3
.LBB48_182:
	s_or_b64 exec, exec, s[36:37]
	v_and_b32_e32 v7, 16, v1
	v_mov_b32_dpp v6, v4 row_bcast:15 row_mask:0xf bank_mask:0xf
	v_cmp_ne_u32_e64 s[34:35], 0, v7
	s_and_saveexec_b64 s[36:37], s[34:35]
	s_cbranch_execz .LBB48_184
; %bb.183:
	v_cmp_gt_f16_e64 s[34:35], v2, v6
	v_cndmask_b32_e64 v3, v6, v2, s[34:35]
	v_cmp_eq_u16_e64 s[34:35], 0, v5
	v_cndmask_b32_e64 v2, v2, v3, s[34:35]
	v_and_b32_e32 v3, 1, v5
	v_mov_b32_e32 v4, 1
	v_and_b32_sdwa v4, v6, v4 dst_sel:DWORD dst_unused:UNUSED_PAD src0_sel:WORD_1 src1_sel:DWORD
	v_cmp_eq_u32_e64 s[34:35], 1, v3
	v_cndmask_b32_e64 v3, v4, 1, s[34:35]
	v_lshlrev_b32_e32 v4, 16, v3
	v_or_b32_sdwa v4, v4, v2 dst_sel:DWORD dst_unused:UNUSED_PAD src0_sel:DWORD src1_sel:WORD_0
	v_mov_b32_e32 v5, v3
.LBB48_184:
	s_or_b64 exec, exec, s[36:37]
	v_mov_b32_dpp v4, v4 row_bcast:31 row_mask:0xf bank_mask:0xf
	v_cmp_lt_u32_e64 s[34:35], 31, v1
	s_and_saveexec_b64 s[36:37], s[34:35]
; %bb.185:
	v_and_b32_e32 v3, 1, v5
	v_mov_b32_e32 v6, 1
	v_and_b32_sdwa v6, v4, v6 dst_sel:DWORD dst_unused:UNUSED_PAD src0_sel:WORD_1 src1_sel:DWORD
	v_cmp_eq_u32_e64 s[34:35], 1, v3
	v_cndmask_b32_e64 v3, v6, 1, s[34:35]
	v_cmp_gt_f16_e64 s[34:35], v2, v4
	v_cndmask_b32_e64 v4, v4, v2, s[34:35]
	v_cmp_eq_u16_e64 s[34:35], 0, v5
	v_cndmask_b32_e64 v2, v2, v4, s[34:35]
; %bb.186:
	s_or_b64 exec, exec, s[36:37]
	v_lshrrev_b32_e32 v4, 6, v0
	v_or_b32_e32 v5, 63, v0
	v_cmp_eq_u32_e64 s[34:35], v0, v5
	v_lshlrev_b32_e32 v4, 2, v4
	s_and_saveexec_b64 s[36:37], s[34:35]
	s_cbranch_execz .LBB48_188
; %bb.187:
	ds_write_b16 v4, v2
	ds_write_b8 v4, v3 offset:2
.LBB48_188:
	s_or_b64 exec, exec, s[36:37]
	v_cmp_gt_u32_e64 s[34:35], 4, v0
	s_waitcnt lgkmcnt(0)
	s_barrier
	s_and_saveexec_b64 s[44:45], s[34:35]
	s_cbranch_execz .LBB48_192
; %bb.189:
	v_lshlrev_b32_e32 v5, 2, v0
	ds_read_b32 v9, v5
	v_and_b32_e32 v6, 3, v1
	v_cmp_ne_u32_e64 s[34:35], 0, v6
	s_waitcnt lgkmcnt(0)
	v_lshrrev_b32_e32 v8, 16, v9
	v_mov_b32_dpp v11, v9 row_shr:1 row_mask:0xf bank_mask:0xf
	v_mov_b32_e32 v7, v9
	s_and_saveexec_b64 s[36:37], s[34:35]
	s_cbranch_execz .LBB48_191
; %bb.190:
	v_mov_b32_e32 v7, 0
	v_cmp_gt_f16_e64 s[34:35], v9, v11
	v_cndmask_b32_e64 v12, v11, v9, s[34:35]
	v_cmp_eq_u16_sdwa s[34:35], v8, v7 src0_sel:BYTE_0 src1_sel:DWORD
	v_cndmask_b32_e64 v7, v9, v12, s[34:35]
	v_and_b32_e32 v12, 0xff000000, v9
	v_and_b32_e32 v8, 0x10000, v9
	v_mov_b32_e32 v9, 1
	v_and_b32_sdwa v9, v11, v9 dst_sel:DWORD dst_unused:UNUSED_PAD src0_sel:WORD_1 src1_sel:DWORD
	v_cmp_ne_u32_e64 s[34:35], 0, v8
	v_cndmask_b32_e64 v8, v9, 1, s[34:35]
	v_lshlrev_b32_e32 v9, 16, v8
	v_and_b32_e32 v11, 0xffff, v7
	v_or3_b32 v9, v9, v12, v11
.LBB48_191:
	s_or_b64 exec, exec, s[36:37]
	s_nop 0
	v_mov_b32_dpp v11, v9 row_shr:2 row_mask:0xf bank_mask:0xf
	v_and_b32_e32 v12, 0xff0000, v9
	v_cmp_gt_f16_e64 s[36:37], v7, v11
	v_and_b32_e32 v9, 0x10000, v9
	v_mov_b32_e32 v13, 1
	v_cmp_eq_u32_e64 s[34:35], 0, v12
	v_cndmask_b32_e64 v12, v11, v7, s[36:37]
	v_and_b32_sdwa v11, v11, v13 dst_sel:DWORD dst_unused:UNUSED_PAD src0_sel:WORD_1 src1_sel:DWORD
	v_cmp_eq_u32_e64 s[36:37], 0, v9
	v_cndmask_b32_e64 v9, 1, v11, s[36:37]
	v_cmp_lt_u32_e64 s[36:37], 1, v6
	s_and_b64 s[34:35], s[36:37], s[34:35]
	v_cndmask_b32_e64 v7, v7, v12, s[34:35]
	v_cndmask_b32_e64 v6, v8, v9, s[36:37]
	ds_write_b16 v5, v7
	ds_write_b8 v5, v6 offset:2
.LBB48_192:
	s_or_b64 exec, exec, s[44:45]
	v_cmp_lt_u32_e64 s[34:35], 63, v0
	v_mov_b32_e32 v5, 0
	s_waitcnt lgkmcnt(0)
	s_barrier
	s_and_saveexec_b64 s[36:37], s[34:35]
	s_cbranch_execz .LBB48_194
; %bb.193:
	v_add_u32_e32 v5, -4, v4
	ds_read_u16 v5, v5
	v_add_u32_e32 v4, -2, v4
	ds_read_u8 v4, v4
	v_mov_b32_e32 v6, 0
	s_waitcnt lgkmcnt(1)
	v_cmp_lt_f16_e64 s[34:35], v5, v2
	v_cndmask_b32_e64 v7, v5, v2, s[34:35]
	v_cmp_eq_u16_sdwa s[34:35], v3, v6 src0_sel:BYTE_0 src1_sel:DWORD
	v_and_b32_e32 v3, 1, v3
	v_cndmask_b32_e64 v2, v2, v7, s[34:35]
	v_cmp_eq_u32_e64 s[34:35], 1, v3
	s_waitcnt lgkmcnt(0)
	v_cndmask_b32_e64 v3, v4, 1, s[34:35]
.LBB48_194:
	s_or_b64 exec, exec, s[36:37]
	v_and_b32_e32 v3, 0xff, v3
	v_and_b32_e32 v2, 0xffff, v2
	v_lshl_or_b32 v2, v3, 16, v2
	v_add_u32_e32 v3, -1, v1
	v_and_b32_e32 v4, 64, v1
	v_cmp_lt_i32_e64 s[34:35], v3, v4
	v_cndmask_b32_e64 v3, v3, v1, s[34:35]
	v_lshlrev_b32_e32 v3, 2, v3
	ds_bpermute_b32 v2, v3, v2
	s_and_saveexec_b64 s[34:35], s[2:3]
	s_cbranch_execz .LBB48_196
; %bb.195:
	v_cmp_eq_u32_e64 s[2:3], 0, v1
	s_waitcnt lgkmcnt(0)
	v_cndmask_b32_e64 v1, v2, v5, s[2:3]
	v_mov_b32_e32 v2, 0
	v_cmp_lt_f16_e64 s[2:3], v1, v17
	v_cndmask_b32_e64 v1, v1, v17, s[2:3]
	v_cmp_eq_u16_sdwa s[2:3], v51, v2 src0_sel:BYTE_0 src1_sel:DWORD
	v_cndmask_b32_e64 v17, v17, v1, s[2:3]
.LBB48_196:
	s_or_b64 exec, exec, s[34:35]
	v_cmp_lt_f16_e64 s[2:3], v17, v49
	v_cndmask_b32_e64 v1, v17, v49, s[2:3]
	v_cndmask_b32_e64 v3, v49, v1, s[6:7]
	v_cmp_lt_f16_e64 s[2:3], v3, v48
	v_cndmask_b32_e64 v1, v3, v48, s[2:3]
	v_cndmask_b32_e64 v4, v48, v1, s[8:9]
	;; [unrolled: 3-line block ×12, first 2 shown]
	v_cmp_lt_f16_e64 s[2:3], v18, v10
	v_cndmask_b32_e64 v1, v18, v10, s[2:3]
	s_and_saveexec_b64 s[2:3], vcc
	s_cbranch_execz .LBB48_198
; %bb.197:
	s_waitcnt lgkmcnt(0)
	v_mov_b32_e32 v2, 0
	ds_read_u8 v11, v2 offset:14
	ds_read_u16 v13, v2 offset:12
	v_mov_b32_e32 v20, 2
	s_waitcnt lgkmcnt(1)
	v_lshlrev_b32_e32 v11, 16, v11
	s_waitcnt lgkmcnt(0)
	v_or_b32_e32 v19, v11, v13
	global_store_dwordx2 v2, v[19:20], s[40:41] offset:512
.LBB48_198:
	s_or_b64 exec, exec, s[2:3]
	v_cndmask_b32_e64 v20, v10, v1, s[22:23]
	v_mov_b32_e32 v13, v17
.LBB48_199:
	s_load_dwordx2 s[2:3], s[4:5], 0x18
	s_waitcnt lgkmcnt(0)
	s_add_u32 s2, s2, s38
	s_addc_u32 s3, s3, s39
	s_and_b64 vcc, exec, s[0:1]
	s_cbranch_vccz .LBB48_249
; %bb.200:
	s_add_i32 s33, s33, s42
	v_mul_u32_u24_e32 v1, 14, v0
	v_cmp_gt_u32_e32 vcc, s33, v1
	s_and_saveexec_b64 s[0:1], vcc
	s_cbranch_execz .LBB48_222
; %bb.201:
	v_or_b32_e32 v2, 1, v1
	v_cmp_gt_u32_e32 vcc, s33, v2
	s_and_saveexec_b64 s[4:5], vcc
	s_cbranch_execz .LBB48_221
; %bb.202:
	v_add_u32_e32 v2, 2, v1
	v_cmp_gt_u32_e32 vcc, s33, v2
	s_and_saveexec_b64 s[6:7], vcc
	s_cbranch_execz .LBB48_220
; %bb.203:
	v_add_u32_e32 v2, 3, v1
	;; [unrolled: 5-line block ×9, first 2 shown]
	v_cmp_gt_u32_e32 vcc, s33, v2
	s_and_saveexec_b64 s[22:23], vcc
; %bb.211:
	v_add_u32_e32 v2, 11, v1
	v_cmp_gt_u32_e32 vcc, s33, v2
	s_and_saveexec_b64 s[24:25], vcc
	s_or_b64 exec, exec, s[24:25]
; %bb.212:
	s_or_b64 exec, exec, s[22:23]
.LBB48_213:
	s_or_b64 exec, exec, s[20:21]
.LBB48_214:
	s_or_b64 exec, exec, s[18:19]
.LBB48_215:
	s_or_b64 exec, exec, s[16:17]
.LBB48_216:
	s_or_b64 exec, exec, s[14:15]
.LBB48_217:
	s_or_b64 exec, exec, s[12:13]
.LBB48_218:
	s_or_b64 exec, exec, s[10:11]
.LBB48_219:
	s_or_b64 exec, exec, s[8:9]
.LBB48_220:
	s_or_b64 exec, exec, s[6:7]
.LBB48_221:
	s_or_b64 exec, exec, s[4:5]
.LBB48_222:
	s_or_b64 exec, exec, s[0:1]
	s_mov_b32 s0, 0x5040100
	v_lshlrev_b32_e32 v29, 1, v1
	v_perm_b32 v1, v5, v4, s0
	v_perm_b32 v2, v3, v13, s0
	s_waitcnt vmcnt(0)
	s_barrier
	ds_write2_b32 v29, v2, v1 offset1:1
	v_perm_b32 v1, v12, v8, s0
	v_perm_b32 v2, v7, v6, s0
	ds_write2_b32 v29, v2, v1 offset0:2 offset1:3
	v_perm_b32 v1, v16, v15, s0
	v_perm_b32 v2, v14, v9, s0
	ds_write2_b32 v29, v2, v1 offset0:4 offset1:5
	v_perm_b32 v1, v20, v18, s0
	s_movk_i32 s0, 0xffe6
	ds_write_b32 v29, v1 offset:24
	v_mad_i32_i24 v1, v0, s0, v29
	s_waitcnt lgkmcnt(0)
	s_barrier
	ds_read_u16 v30, v1 offset:512
	ds_read_u16 v28, v1 offset:1024
	;; [unrolled: 1-line block ×13, first 2 shown]
	v_lshlrev_b32_e32 v1, 1, v0
	v_mov_b32_e32 v2, s3
	v_add_co_u32_e32 v1, vcc, s2, v1
	v_addc_co_u32_e32 v2, vcc, 0, v2, vcc
	v_cmp_gt_u32_e32 vcc, s33, v0
	s_and_saveexec_b64 s[0:1], vcc
	s_cbranch_execz .LBB48_224
; %bb.223:
	v_mul_i32_i24_e32 v31, 0xffffffe6, v0
	v_add_u32_e32 v29, v29, v31
	ds_read_u16 v29, v29
	s_waitcnt lgkmcnt(0)
	global_store_short v[1:2], v29, off
.LBB48_224:
	s_or_b64 exec, exec, s[0:1]
	v_or_b32_e32 v29, 0x100, v0
	v_cmp_gt_u32_e32 vcc, s33, v29
	s_and_saveexec_b64 s[0:1], vcc
	s_cbranch_execz .LBB48_226
; %bb.225:
	s_waitcnt lgkmcnt(12)
	global_store_short v[1:2], v30, off offset:512
.LBB48_226:
	s_or_b64 exec, exec, s[0:1]
	v_or_b32_e32 v29, 0x200, v0
	v_cmp_gt_u32_e32 vcc, s33, v29
	s_and_saveexec_b64 s[0:1], vcc
	s_cbranch_execz .LBB48_228
; %bb.227:
	s_waitcnt lgkmcnt(11)
	global_store_short v[1:2], v28, off offset:1024
.LBB48_228:
	s_or_b64 exec, exec, s[0:1]
	s_waitcnt lgkmcnt(11)
	v_or_b32_e32 v28, 0x300, v0
	v_cmp_gt_u32_e32 vcc, s33, v28
	s_and_saveexec_b64 s[0:1], vcc
	s_cbranch_execz .LBB48_230
; %bb.229:
	s_waitcnt lgkmcnt(10)
	global_store_short v[1:2], v27, off offset:1536
.LBB48_230:
	s_or_b64 exec, exec, s[0:1]
	s_waitcnt lgkmcnt(10)
	;; [unrolled: 10-line block ×6, first 2 shown]
	v_or_b32_e32 v23, 0x800, v0
	v_cmp_gt_u32_e32 vcc, s33, v23
	s_and_saveexec_b64 s[0:1], vcc
	s_cbranch_execz .LBB48_240
; %bb.239:
	v_add_co_u32_e32 v23, vcc, 0x1000, v1
	v_addc_co_u32_e32 v24, vcc, 0, v2, vcc
	s_waitcnt lgkmcnt(5)
	global_store_short v[23:24], v22, off
.LBB48_240:
	s_or_b64 exec, exec, s[0:1]
	s_waitcnt lgkmcnt(5)
	v_or_b32_e32 v22, 0x900, v0
	v_cmp_gt_u32_e32 vcc, s33, v22
	s_and_saveexec_b64 s[0:1], vcc
	s_cbranch_execz .LBB48_242
; %bb.241:
	v_add_co_u32_e32 v22, vcc, 0x1000, v1
	v_addc_co_u32_e32 v23, vcc, 0, v2, vcc
	s_waitcnt lgkmcnt(4)
	global_store_short v[22:23], v21, off offset:512
.LBB48_242:
	s_or_b64 exec, exec, s[0:1]
	s_waitcnt lgkmcnt(4)
	v_or_b32_e32 v21, 0xa00, v0
	v_cmp_gt_u32_e32 vcc, s33, v21
	s_and_saveexec_b64 s[0:1], vcc
	s_cbranch_execz .LBB48_244
; %bb.243:
	v_add_co_u32_e32 v21, vcc, 0x1000, v1
	v_addc_co_u32_e32 v22, vcc, 0, v2, vcc
	s_waitcnt lgkmcnt(3)
	global_store_short v[21:22], v19, off offset:1024
.LBB48_244:
	;; [unrolled: 12-line block ×4, first 2 shown]
	s_or_b64 exec, exec, s[0:1]
	v_or_b32_e32 v1, 0xd00, v0
	v_cmp_gt_u32_e64 s[0:1], s33, v1
	s_branch .LBB48_251
.LBB48_249:
	s_mov_b64 s[0:1], 0
                                        ; implicit-def: $vgpr10
	s_cbranch_execz .LBB48_251
; %bb.250:
	s_mov_b32 s4, 0x5040100
	v_mul_u32_u24_e32 v1, 28, v0
	v_perm_b32 v2, v5, v4, s4
	v_perm_b32 v3, v3, v13, s4
	s_waitcnt vmcnt(0) lgkmcnt(0)
	s_barrier
	ds_write2_b32 v1, v3, v2 offset1:1
	v_perm_b32 v2, v12, v8, s4
	v_perm_b32 v3, v7, v6, s4
	ds_write2_b32 v1, v3, v2 offset0:2 offset1:3
	v_perm_b32 v2, v16, v15, s4
	v_perm_b32 v3, v14, v9, s4
	ds_write2_b32 v1, v3, v2 offset0:4 offset1:5
	v_perm_b32 v2, v20, v18, s4
	ds_write_b32 v1, v2 offset:24
	v_mul_i32_i24_e32 v1, 0xffffffe6, v0
	v_mad_u32_u24 v1, v0, 28, v1
	s_waitcnt lgkmcnt(0)
	s_barrier
	ds_read_u16 v2, v1
	ds_read_u16 v3, v1 offset:512
	ds_read_u16 v4, v1 offset:1024
	;; [unrolled: 1-line block ×13, first 2 shown]
	v_lshlrev_b32_e32 v1, 1, v0
	v_mov_b32_e32 v16, s3
	v_add_co_u32_e32 v17, vcc, s2, v1
	v_addc_co_u32_e32 v16, vcc, 0, v16, vcc
	s_waitcnt lgkmcnt(13)
	global_store_short v1, v2, s[2:3]
	s_waitcnt lgkmcnt(12)
	global_store_short v1, v3, s[2:3] offset:512
	s_waitcnt lgkmcnt(11)
	global_store_short v1, v4, s[2:3] offset:1024
	;; [unrolled: 2-line block ×7, first 2 shown]
	v_add_co_u32_e32 v1, vcc, 0x1000, v17
	v_addc_co_u32_e32 v2, vcc, 0, v16, vcc
	s_or_b64 s[0:1], s[0:1], exec
	s_waitcnt lgkmcnt(5)
	global_store_short v[1:2], v11, off
	s_waitcnt lgkmcnt(4)
	global_store_short v[1:2], v12, off offset:512
	s_waitcnt lgkmcnt(3)
	global_store_short v[1:2], v13, off offset:1024
	;; [unrolled: 2-line block ×4, first 2 shown]
.LBB48_251:
	s_and_saveexec_b64 s[4:5], s[0:1]
	s_cbranch_execz .LBB48_253
; %bb.252:
	v_lshlrev_b32_e32 v0, 1, v0
	v_mov_b32_e32 v1, s3
	v_add_co_u32_e32 v0, vcc, s2, v0
	v_addc_co_u32_e32 v1, vcc, 0, v1, vcc
	v_add_co_u32_e32 v0, vcc, 0x1000, v0
	v_addc_co_u32_e32 v1, vcc, 0, v1, vcc
	s_waitcnt lgkmcnt(0)
	global_store_short v[0:1], v10, off offset:2560
	s_endpgm
.LBB48_253:
	s_endpgm
	.section	.rodata,"a",@progbits
	.p2align	6, 0x0
	.amdhsa_kernel _ZN7rocprim6detail25device_scan_by_key_kernelILNS0_25lookback_scan_determinismE0ELb0ENS0_26wrapped_scan_by_key_configINS_14default_configEi6__halfEEPiN6hipcub22TransformInputIteratorIS5_NS8_6CastOpIS5_EEPS5_lEESC_S5_NS8_8EqualityENS8_3MaxENS0_19lookback_scan_stateINS_5tupleIJS5_bEEELb0ELb1EEES5_EEvT2_T3_T4_T5_T6_T7_T8_mmmPKNSH_IJT9_bEEE
		.amdhsa_group_segment_fixed_size 16384
		.amdhsa_private_segment_fixed_size 0
		.amdhsa_kernarg_size 80
		.amdhsa_user_sgpr_count 6
		.amdhsa_user_sgpr_private_segment_buffer 1
		.amdhsa_user_sgpr_dispatch_ptr 0
		.amdhsa_user_sgpr_queue_ptr 0
		.amdhsa_user_sgpr_kernarg_segment_ptr 1
		.amdhsa_user_sgpr_dispatch_id 0
		.amdhsa_user_sgpr_flat_scratch_init 0
		.amdhsa_user_sgpr_private_segment_size 0
		.amdhsa_uses_dynamic_stack 0
		.amdhsa_system_sgpr_private_segment_wavefront_offset 0
		.amdhsa_system_sgpr_workgroup_id_x 1
		.amdhsa_system_sgpr_workgroup_id_y 0
		.amdhsa_system_sgpr_workgroup_id_z 0
		.amdhsa_system_sgpr_workgroup_info 0
		.amdhsa_system_vgpr_workitem_id 0
		.amdhsa_next_free_vgpr 68
		.amdhsa_next_free_sgpr 98
		.amdhsa_reserve_vcc 1
		.amdhsa_reserve_flat_scratch 0
		.amdhsa_float_round_mode_32 0
		.amdhsa_float_round_mode_16_64 0
		.amdhsa_float_denorm_mode_32 3
		.amdhsa_float_denorm_mode_16_64 3
		.amdhsa_dx10_clamp 1
		.amdhsa_ieee_mode 1
		.amdhsa_fp16_overflow 0
		.amdhsa_exception_fp_ieee_invalid_op 0
		.amdhsa_exception_fp_denorm_src 0
		.amdhsa_exception_fp_ieee_div_zero 0
		.amdhsa_exception_fp_ieee_overflow 0
		.amdhsa_exception_fp_ieee_underflow 0
		.amdhsa_exception_fp_ieee_inexact 0
		.amdhsa_exception_int_div_zero 0
	.end_amdhsa_kernel
	.section	.text._ZN7rocprim6detail25device_scan_by_key_kernelILNS0_25lookback_scan_determinismE0ELb0ENS0_26wrapped_scan_by_key_configINS_14default_configEi6__halfEEPiN6hipcub22TransformInputIteratorIS5_NS8_6CastOpIS5_EEPS5_lEESC_S5_NS8_8EqualityENS8_3MaxENS0_19lookback_scan_stateINS_5tupleIJS5_bEEELb0ELb1EEES5_EEvT2_T3_T4_T5_T6_T7_T8_mmmPKNSH_IJT9_bEEE,"axG",@progbits,_ZN7rocprim6detail25device_scan_by_key_kernelILNS0_25lookback_scan_determinismE0ELb0ENS0_26wrapped_scan_by_key_configINS_14default_configEi6__halfEEPiN6hipcub22TransformInputIteratorIS5_NS8_6CastOpIS5_EEPS5_lEESC_S5_NS8_8EqualityENS8_3MaxENS0_19lookback_scan_stateINS_5tupleIJS5_bEEELb0ELb1EEES5_EEvT2_T3_T4_T5_T6_T7_T8_mmmPKNSH_IJT9_bEEE,comdat
.Lfunc_end48:
	.size	_ZN7rocprim6detail25device_scan_by_key_kernelILNS0_25lookback_scan_determinismE0ELb0ENS0_26wrapped_scan_by_key_configINS_14default_configEi6__halfEEPiN6hipcub22TransformInputIteratorIS5_NS8_6CastOpIS5_EEPS5_lEESC_S5_NS8_8EqualityENS8_3MaxENS0_19lookback_scan_stateINS_5tupleIJS5_bEEELb0ELb1EEES5_EEvT2_T3_T4_T5_T6_T7_T8_mmmPKNSH_IJT9_bEEE, .Lfunc_end48-_ZN7rocprim6detail25device_scan_by_key_kernelILNS0_25lookback_scan_determinismE0ELb0ENS0_26wrapped_scan_by_key_configINS_14default_configEi6__halfEEPiN6hipcub22TransformInputIteratorIS5_NS8_6CastOpIS5_EEPS5_lEESC_S5_NS8_8EqualityENS8_3MaxENS0_19lookback_scan_stateINS_5tupleIJS5_bEEELb0ELb1EEES5_EEvT2_T3_T4_T5_T6_T7_T8_mmmPKNSH_IJT9_bEEE
                                        ; -- End function
	.set _ZN7rocprim6detail25device_scan_by_key_kernelILNS0_25lookback_scan_determinismE0ELb0ENS0_26wrapped_scan_by_key_configINS_14default_configEi6__halfEEPiN6hipcub22TransformInputIteratorIS5_NS8_6CastOpIS5_EEPS5_lEESC_S5_NS8_8EqualityENS8_3MaxENS0_19lookback_scan_stateINS_5tupleIJS5_bEEELb0ELb1EEES5_EEvT2_T3_T4_T5_T6_T7_T8_mmmPKNSH_IJT9_bEEE.num_vgpr, 68
	.set _ZN7rocprim6detail25device_scan_by_key_kernelILNS0_25lookback_scan_determinismE0ELb0ENS0_26wrapped_scan_by_key_configINS_14default_configEi6__halfEEPiN6hipcub22TransformInputIteratorIS5_NS8_6CastOpIS5_EEPS5_lEESC_S5_NS8_8EqualityENS8_3MaxENS0_19lookback_scan_stateINS_5tupleIJS5_bEEELb0ELb1EEES5_EEvT2_T3_T4_T5_T6_T7_T8_mmmPKNSH_IJT9_bEEE.num_agpr, 0
	.set _ZN7rocprim6detail25device_scan_by_key_kernelILNS0_25lookback_scan_determinismE0ELb0ENS0_26wrapped_scan_by_key_configINS_14default_configEi6__halfEEPiN6hipcub22TransformInputIteratorIS5_NS8_6CastOpIS5_EEPS5_lEESC_S5_NS8_8EqualityENS8_3MaxENS0_19lookback_scan_stateINS_5tupleIJS5_bEEELb0ELb1EEES5_EEvT2_T3_T4_T5_T6_T7_T8_mmmPKNSH_IJT9_bEEE.numbered_sgpr, 56
	.set _ZN7rocprim6detail25device_scan_by_key_kernelILNS0_25lookback_scan_determinismE0ELb0ENS0_26wrapped_scan_by_key_configINS_14default_configEi6__halfEEPiN6hipcub22TransformInputIteratorIS5_NS8_6CastOpIS5_EEPS5_lEESC_S5_NS8_8EqualityENS8_3MaxENS0_19lookback_scan_stateINS_5tupleIJS5_bEEELb0ELb1EEES5_EEvT2_T3_T4_T5_T6_T7_T8_mmmPKNSH_IJT9_bEEE.num_named_barrier, 0
	.set _ZN7rocprim6detail25device_scan_by_key_kernelILNS0_25lookback_scan_determinismE0ELb0ENS0_26wrapped_scan_by_key_configINS_14default_configEi6__halfEEPiN6hipcub22TransformInputIteratorIS5_NS8_6CastOpIS5_EEPS5_lEESC_S5_NS8_8EqualityENS8_3MaxENS0_19lookback_scan_stateINS_5tupleIJS5_bEEELb0ELb1EEES5_EEvT2_T3_T4_T5_T6_T7_T8_mmmPKNSH_IJT9_bEEE.private_seg_size, 0
	.set _ZN7rocprim6detail25device_scan_by_key_kernelILNS0_25lookback_scan_determinismE0ELb0ENS0_26wrapped_scan_by_key_configINS_14default_configEi6__halfEEPiN6hipcub22TransformInputIteratorIS5_NS8_6CastOpIS5_EEPS5_lEESC_S5_NS8_8EqualityENS8_3MaxENS0_19lookback_scan_stateINS_5tupleIJS5_bEEELb0ELb1EEES5_EEvT2_T3_T4_T5_T6_T7_T8_mmmPKNSH_IJT9_bEEE.uses_vcc, 1
	.set _ZN7rocprim6detail25device_scan_by_key_kernelILNS0_25lookback_scan_determinismE0ELb0ENS0_26wrapped_scan_by_key_configINS_14default_configEi6__halfEEPiN6hipcub22TransformInputIteratorIS5_NS8_6CastOpIS5_EEPS5_lEESC_S5_NS8_8EqualityENS8_3MaxENS0_19lookback_scan_stateINS_5tupleIJS5_bEEELb0ELb1EEES5_EEvT2_T3_T4_T5_T6_T7_T8_mmmPKNSH_IJT9_bEEE.uses_flat_scratch, 0
	.set _ZN7rocprim6detail25device_scan_by_key_kernelILNS0_25lookback_scan_determinismE0ELb0ENS0_26wrapped_scan_by_key_configINS_14default_configEi6__halfEEPiN6hipcub22TransformInputIteratorIS5_NS8_6CastOpIS5_EEPS5_lEESC_S5_NS8_8EqualityENS8_3MaxENS0_19lookback_scan_stateINS_5tupleIJS5_bEEELb0ELb1EEES5_EEvT2_T3_T4_T5_T6_T7_T8_mmmPKNSH_IJT9_bEEE.has_dyn_sized_stack, 0
	.set _ZN7rocprim6detail25device_scan_by_key_kernelILNS0_25lookback_scan_determinismE0ELb0ENS0_26wrapped_scan_by_key_configINS_14default_configEi6__halfEEPiN6hipcub22TransformInputIteratorIS5_NS8_6CastOpIS5_EEPS5_lEESC_S5_NS8_8EqualityENS8_3MaxENS0_19lookback_scan_stateINS_5tupleIJS5_bEEELb0ELb1EEES5_EEvT2_T3_T4_T5_T6_T7_T8_mmmPKNSH_IJT9_bEEE.has_recursion, 0
	.set _ZN7rocprim6detail25device_scan_by_key_kernelILNS0_25lookback_scan_determinismE0ELb0ENS0_26wrapped_scan_by_key_configINS_14default_configEi6__halfEEPiN6hipcub22TransformInputIteratorIS5_NS8_6CastOpIS5_EEPS5_lEESC_S5_NS8_8EqualityENS8_3MaxENS0_19lookback_scan_stateINS_5tupleIJS5_bEEELb0ELb1EEES5_EEvT2_T3_T4_T5_T6_T7_T8_mmmPKNSH_IJT9_bEEE.has_indirect_call, 0
	.section	.AMDGPU.csdata,"",@progbits
; Kernel info:
; codeLenInByte = 12880
; TotalNumSgprs: 60
; NumVgprs: 68
; ScratchSize: 0
; MemoryBound: 0
; FloatMode: 240
; IeeeMode: 1
; LDSByteSize: 16384 bytes/workgroup (compile time only)
; SGPRBlocks: 12
; VGPRBlocks: 16
; NumSGPRsForWavesPerEU: 102
; NumVGPRsForWavesPerEU: 68
; Occupancy: 3
; WaveLimiterHint : 1
; COMPUTE_PGM_RSRC2:SCRATCH_EN: 0
; COMPUTE_PGM_RSRC2:USER_SGPR: 6
; COMPUTE_PGM_RSRC2:TRAP_HANDLER: 0
; COMPUTE_PGM_RSRC2:TGID_X_EN: 1
; COMPUTE_PGM_RSRC2:TGID_Y_EN: 0
; COMPUTE_PGM_RSRC2:TGID_Z_EN: 0
; COMPUTE_PGM_RSRC2:TIDIG_COMP_CNT: 0
	.section	.text._ZN7rocprim6detail31init_lookback_scan_state_kernelINS0_19lookback_scan_stateINS_5tupleIJ12hip_bfloat16bEEELb1ELb1EEEEEvT_jjPNS7_10value_typeE,"axG",@progbits,_ZN7rocprim6detail31init_lookback_scan_state_kernelINS0_19lookback_scan_stateINS_5tupleIJ12hip_bfloat16bEEELb1ELb1EEEEEvT_jjPNS7_10value_typeE,comdat
	.protected	_ZN7rocprim6detail31init_lookback_scan_state_kernelINS0_19lookback_scan_stateINS_5tupleIJ12hip_bfloat16bEEELb1ELb1EEEEEvT_jjPNS7_10value_typeE ; -- Begin function _ZN7rocprim6detail31init_lookback_scan_state_kernelINS0_19lookback_scan_stateINS_5tupleIJ12hip_bfloat16bEEELb1ELb1EEEEEvT_jjPNS7_10value_typeE
	.globl	_ZN7rocprim6detail31init_lookback_scan_state_kernelINS0_19lookback_scan_stateINS_5tupleIJ12hip_bfloat16bEEELb1ELb1EEEEEvT_jjPNS7_10value_typeE
	.p2align	8
	.type	_ZN7rocprim6detail31init_lookback_scan_state_kernelINS0_19lookback_scan_stateINS_5tupleIJ12hip_bfloat16bEEELb1ELb1EEEEEvT_jjPNS7_10value_typeE,@function
_ZN7rocprim6detail31init_lookback_scan_state_kernelINS0_19lookback_scan_stateINS_5tupleIJ12hip_bfloat16bEEELb1ELb1EEEEEvT_jjPNS7_10value_typeE: ; @_ZN7rocprim6detail31init_lookback_scan_state_kernelINS0_19lookback_scan_stateINS_5tupleIJ12hip_bfloat16bEEELb1ELb1EEEEEvT_jjPNS7_10value_typeE
; %bb.0:
	s_load_dword s7, s[4:5], 0x24
	s_load_dwordx2 s[8:9], s[4:5], 0x10
	s_load_dwordx4 s[0:3], s[4:5], 0x0
	s_waitcnt lgkmcnt(0)
	s_and_b32 s4, s7, 0xffff
	s_mul_i32 s6, s6, s4
	s_cmp_eq_u64 s[8:9], 0
	v_add_u32_e32 v0, s6, v0
	s_cbranch_scc1 .LBB49_9
; %bb.1:
	s_cmp_lt_u32 s3, s2
	s_cselect_b32 s4, s3, 0
	s_mov_b32 s7, 0
	v_cmp_eq_u32_e32 vcc, s4, v0
	s_and_saveexec_b64 s[4:5], vcc
	s_cbranch_execz .LBB49_8
; %bb.2:
	s_add_i32 s6, s3, 64
	s_lshl_b64 s[6:7], s[6:7], 3
	s_add_u32 s6, s0, s6
	s_addc_u32 s7, s1, s7
	v_mov_b32_e32 v1, 0
	global_load_dwordx2 v[3:4], v1, s[6:7] glc
	s_waitcnt vmcnt(0)
	v_and_b32_e32 v2, 0xff, v4
	v_cmp_ne_u64_e32 vcc, 0, v[1:2]
	s_cbranch_vccnz .LBB49_7
; %bb.3:
	s_mov_b32 s3, 1
.LBB49_4:                               ; =>This Loop Header: Depth=1
                                        ;     Child Loop BB49_5 Depth 2
	s_mov_b32 s10, s3
.LBB49_5:                               ;   Parent Loop BB49_4 Depth=1
                                        ; =>  This Inner Loop Header: Depth=2
	s_add_i32 s10, s10, -1
	s_cmp_eq_u32 s10, 0
	s_sleep 1
	s_cbranch_scc0 .LBB49_5
; %bb.6:                                ;   in Loop: Header=BB49_4 Depth=1
	global_load_dwordx2 v[3:4], v1, s[6:7] glc
	s_cmp_lt_u32 s3, 32
	s_cselect_b64 s[10:11], -1, 0
	s_cmp_lg_u64 s[10:11], 0
	s_addc_u32 s3, s3, 0
	s_waitcnt vmcnt(0)
	v_and_b32_e32 v2, 0xff, v4
	v_cmp_ne_u64_e32 vcc, 0, v[1:2]
	s_cbranch_vccz .LBB49_4
.LBB49_7:
	v_mov_b32_e32 v1, 0
	global_store_short v1, v3, s[8:9]
	global_store_byte_d16_hi v1, v3, s[8:9] offset:2
.LBB49_8:
	s_or_b64 exec, exec, s[4:5]
.LBB49_9:
	v_cmp_gt_u32_e32 vcc, s2, v0
	s_and_saveexec_b64 s[2:3], vcc
	s_cbranch_execnz .LBB49_12
; %bb.10:
	s_or_b64 exec, exec, s[2:3]
	v_cmp_gt_u32_e32 vcc, 64, v0
	s_and_saveexec_b64 s[2:3], vcc
	s_cbranch_execnz .LBB49_13
.LBB49_11:
	s_endpgm
.LBB49_12:
	v_add_u32_e32 v1, 64, v0
	v_mov_b32_e32 v2, 0
	v_lshlrev_b64 v[3:4], 3, v[1:2]
	v_mov_b32_e32 v1, s1
	v_add_co_u32_e32 v3, vcc, s0, v3
	v_addc_co_u32_e32 v4, vcc, v1, v4, vcc
	v_mov_b32_e32 v1, v2
	global_store_dwordx2 v[3:4], v[1:2], off
	s_or_b64 exec, exec, s[2:3]
	v_cmp_gt_u32_e32 vcc, 64, v0
	s_and_saveexec_b64 s[2:3], vcc
	s_cbranch_execz .LBB49_11
.LBB49_13:
	v_mov_b32_e32 v1, 0
	v_lshlrev_b64 v[2:3], 3, v[0:1]
	v_mov_b32_e32 v0, s1
	v_add_co_u32_e32 v2, vcc, s0, v2
	v_addc_co_u32_e32 v3, vcc, v0, v3, vcc
	v_mov_b32_e32 v5, 0xff
	v_mov_b32_e32 v4, v1
	global_store_dwordx2 v[2:3], v[4:5], off
	s_endpgm
	.section	.rodata,"a",@progbits
	.p2align	6, 0x0
	.amdhsa_kernel _ZN7rocprim6detail31init_lookback_scan_state_kernelINS0_19lookback_scan_stateINS_5tupleIJ12hip_bfloat16bEEELb1ELb1EEEEEvT_jjPNS7_10value_typeE
		.amdhsa_group_segment_fixed_size 0
		.amdhsa_private_segment_fixed_size 0
		.amdhsa_kernarg_size 280
		.amdhsa_user_sgpr_count 6
		.amdhsa_user_sgpr_private_segment_buffer 1
		.amdhsa_user_sgpr_dispatch_ptr 0
		.amdhsa_user_sgpr_queue_ptr 0
		.amdhsa_user_sgpr_kernarg_segment_ptr 1
		.amdhsa_user_sgpr_dispatch_id 0
		.amdhsa_user_sgpr_flat_scratch_init 0
		.amdhsa_user_sgpr_private_segment_size 0
		.amdhsa_uses_dynamic_stack 0
		.amdhsa_system_sgpr_private_segment_wavefront_offset 0
		.amdhsa_system_sgpr_workgroup_id_x 1
		.amdhsa_system_sgpr_workgroup_id_y 0
		.amdhsa_system_sgpr_workgroup_id_z 0
		.amdhsa_system_sgpr_workgroup_info 0
		.amdhsa_system_vgpr_workitem_id 0
		.amdhsa_next_free_vgpr 6
		.amdhsa_next_free_sgpr 12
		.amdhsa_reserve_vcc 1
		.amdhsa_reserve_flat_scratch 0
		.amdhsa_float_round_mode_32 0
		.amdhsa_float_round_mode_16_64 0
		.amdhsa_float_denorm_mode_32 3
		.amdhsa_float_denorm_mode_16_64 3
		.amdhsa_dx10_clamp 1
		.amdhsa_ieee_mode 1
		.amdhsa_fp16_overflow 0
		.amdhsa_exception_fp_ieee_invalid_op 0
		.amdhsa_exception_fp_denorm_src 0
		.amdhsa_exception_fp_ieee_div_zero 0
		.amdhsa_exception_fp_ieee_overflow 0
		.amdhsa_exception_fp_ieee_underflow 0
		.amdhsa_exception_fp_ieee_inexact 0
		.amdhsa_exception_int_div_zero 0
	.end_amdhsa_kernel
	.section	.text._ZN7rocprim6detail31init_lookback_scan_state_kernelINS0_19lookback_scan_stateINS_5tupleIJ12hip_bfloat16bEEELb1ELb1EEEEEvT_jjPNS7_10value_typeE,"axG",@progbits,_ZN7rocprim6detail31init_lookback_scan_state_kernelINS0_19lookback_scan_stateINS_5tupleIJ12hip_bfloat16bEEELb1ELb1EEEEEvT_jjPNS7_10value_typeE,comdat
.Lfunc_end49:
	.size	_ZN7rocprim6detail31init_lookback_scan_state_kernelINS0_19lookback_scan_stateINS_5tupleIJ12hip_bfloat16bEEELb1ELb1EEEEEvT_jjPNS7_10value_typeE, .Lfunc_end49-_ZN7rocprim6detail31init_lookback_scan_state_kernelINS0_19lookback_scan_stateINS_5tupleIJ12hip_bfloat16bEEELb1ELb1EEEEEvT_jjPNS7_10value_typeE
                                        ; -- End function
	.set _ZN7rocprim6detail31init_lookback_scan_state_kernelINS0_19lookback_scan_stateINS_5tupleIJ12hip_bfloat16bEEELb1ELb1EEEEEvT_jjPNS7_10value_typeE.num_vgpr, 6
	.set _ZN7rocprim6detail31init_lookback_scan_state_kernelINS0_19lookback_scan_stateINS_5tupleIJ12hip_bfloat16bEEELb1ELb1EEEEEvT_jjPNS7_10value_typeE.num_agpr, 0
	.set _ZN7rocprim6detail31init_lookback_scan_state_kernelINS0_19lookback_scan_stateINS_5tupleIJ12hip_bfloat16bEEELb1ELb1EEEEEvT_jjPNS7_10value_typeE.numbered_sgpr, 12
	.set _ZN7rocprim6detail31init_lookback_scan_state_kernelINS0_19lookback_scan_stateINS_5tupleIJ12hip_bfloat16bEEELb1ELb1EEEEEvT_jjPNS7_10value_typeE.num_named_barrier, 0
	.set _ZN7rocprim6detail31init_lookback_scan_state_kernelINS0_19lookback_scan_stateINS_5tupleIJ12hip_bfloat16bEEELb1ELb1EEEEEvT_jjPNS7_10value_typeE.private_seg_size, 0
	.set _ZN7rocprim6detail31init_lookback_scan_state_kernelINS0_19lookback_scan_stateINS_5tupleIJ12hip_bfloat16bEEELb1ELb1EEEEEvT_jjPNS7_10value_typeE.uses_vcc, 1
	.set _ZN7rocprim6detail31init_lookback_scan_state_kernelINS0_19lookback_scan_stateINS_5tupleIJ12hip_bfloat16bEEELb1ELb1EEEEEvT_jjPNS7_10value_typeE.uses_flat_scratch, 0
	.set _ZN7rocprim6detail31init_lookback_scan_state_kernelINS0_19lookback_scan_stateINS_5tupleIJ12hip_bfloat16bEEELb1ELb1EEEEEvT_jjPNS7_10value_typeE.has_dyn_sized_stack, 0
	.set _ZN7rocprim6detail31init_lookback_scan_state_kernelINS0_19lookback_scan_stateINS_5tupleIJ12hip_bfloat16bEEELb1ELb1EEEEEvT_jjPNS7_10value_typeE.has_recursion, 0
	.set _ZN7rocprim6detail31init_lookback_scan_state_kernelINS0_19lookback_scan_stateINS_5tupleIJ12hip_bfloat16bEEELb1ELb1EEEEEvT_jjPNS7_10value_typeE.has_indirect_call, 0
	.section	.AMDGPU.csdata,"",@progbits
; Kernel info:
; codeLenInByte = 352
; TotalNumSgprs: 16
; NumVgprs: 6
; ScratchSize: 0
; MemoryBound: 0
; FloatMode: 240
; IeeeMode: 1
; LDSByteSize: 0 bytes/workgroup (compile time only)
; SGPRBlocks: 1
; VGPRBlocks: 1
; NumSGPRsForWavesPerEU: 16
; NumVGPRsForWavesPerEU: 6
; Occupancy: 10
; WaveLimiterHint : 0
; COMPUTE_PGM_RSRC2:SCRATCH_EN: 0
; COMPUTE_PGM_RSRC2:USER_SGPR: 6
; COMPUTE_PGM_RSRC2:TRAP_HANDLER: 0
; COMPUTE_PGM_RSRC2:TGID_X_EN: 1
; COMPUTE_PGM_RSRC2:TGID_Y_EN: 0
; COMPUTE_PGM_RSRC2:TGID_Z_EN: 0
; COMPUTE_PGM_RSRC2:TIDIG_COMP_CNT: 0
	.section	.text._ZN7rocprim6detail31init_lookback_scan_state_kernelINS0_19lookback_scan_stateINS_5tupleIJ12hip_bfloat16bEEELb0ELb1EEEEEvT_jjPNS7_10value_typeE,"axG",@progbits,_ZN7rocprim6detail31init_lookback_scan_state_kernelINS0_19lookback_scan_stateINS_5tupleIJ12hip_bfloat16bEEELb0ELb1EEEEEvT_jjPNS7_10value_typeE,comdat
	.protected	_ZN7rocprim6detail31init_lookback_scan_state_kernelINS0_19lookback_scan_stateINS_5tupleIJ12hip_bfloat16bEEELb0ELb1EEEEEvT_jjPNS7_10value_typeE ; -- Begin function _ZN7rocprim6detail31init_lookback_scan_state_kernelINS0_19lookback_scan_stateINS_5tupleIJ12hip_bfloat16bEEELb0ELb1EEEEEvT_jjPNS7_10value_typeE
	.globl	_ZN7rocprim6detail31init_lookback_scan_state_kernelINS0_19lookback_scan_stateINS_5tupleIJ12hip_bfloat16bEEELb0ELb1EEEEEvT_jjPNS7_10value_typeE
	.p2align	8
	.type	_ZN7rocprim6detail31init_lookback_scan_state_kernelINS0_19lookback_scan_stateINS_5tupleIJ12hip_bfloat16bEEELb0ELb1EEEEEvT_jjPNS7_10value_typeE,@function
_ZN7rocprim6detail31init_lookback_scan_state_kernelINS0_19lookback_scan_stateINS_5tupleIJ12hip_bfloat16bEEELb0ELb1EEEEEvT_jjPNS7_10value_typeE: ; @_ZN7rocprim6detail31init_lookback_scan_state_kernelINS0_19lookback_scan_stateINS_5tupleIJ12hip_bfloat16bEEELb0ELb1EEEEEvT_jjPNS7_10value_typeE
; %bb.0:
	s_load_dword s7, s[4:5], 0x24
	s_load_dwordx2 s[8:9], s[4:5], 0x10
	s_load_dwordx4 s[0:3], s[4:5], 0x0
	s_waitcnt lgkmcnt(0)
	s_and_b32 s4, s7, 0xffff
	s_mul_i32 s6, s6, s4
	s_cmp_eq_u64 s[8:9], 0
	v_add_u32_e32 v0, s6, v0
	s_cbranch_scc1 .LBB50_6
; %bb.1:
	s_cmp_lt_u32 s3, s2
	s_cselect_b32 s4, s3, 0
	s_mov_b32 s7, 0
	v_cmp_eq_u32_e32 vcc, s4, v0
	s_and_saveexec_b64 s[4:5], vcc
	s_cbranch_execz .LBB50_5
; %bb.2:
	s_add_i32 s6, s3, 64
	s_lshl_b64 s[6:7], s[6:7], 3
	s_add_u32 s6, s0, s6
	s_addc_u32 s7, s1, s7
	v_mov_b32_e32 v3, 0
	global_load_dwordx2 v[1:2], v3, s[6:7] glc
	s_waitcnt vmcnt(0)
	v_and_b32_e32 v4, 0xff, v2
	v_cmp_ne_u64_e32 vcc, 0, v[3:4]
	s_cbranch_vccnz .LBB50_4
.LBB50_3:                               ; =>This Inner Loop Header: Depth=1
	global_load_dwordx2 v[1:2], v3, s[6:7] glc
	s_waitcnt vmcnt(0)
	v_and_b32_e32 v4, 0xff, v2
	v_cmp_eq_u64_e32 vcc, 0, v[3:4]
	s_cbranch_vccnz .LBB50_3
.LBB50_4:
	v_mov_b32_e32 v2, 0
	global_store_short v2, v1, s[8:9]
	global_store_byte_d16_hi v2, v1, s[8:9] offset:2
.LBB50_5:
	s_or_b64 exec, exec, s[4:5]
.LBB50_6:
	v_cmp_gt_u32_e32 vcc, s2, v0
	s_and_saveexec_b64 s[2:3], vcc
	s_cbranch_execnz .LBB50_9
; %bb.7:
	s_or_b64 exec, exec, s[2:3]
	v_cmp_gt_u32_e32 vcc, 64, v0
	s_and_saveexec_b64 s[2:3], vcc
	s_cbranch_execnz .LBB50_10
.LBB50_8:
	s_endpgm
.LBB50_9:
	v_add_u32_e32 v1, 64, v0
	v_mov_b32_e32 v2, 0
	v_lshlrev_b64 v[3:4], 3, v[1:2]
	v_mov_b32_e32 v1, s1
	v_add_co_u32_e32 v3, vcc, s0, v3
	v_addc_co_u32_e32 v4, vcc, v1, v4, vcc
	v_mov_b32_e32 v1, v2
	global_store_dwordx2 v[3:4], v[1:2], off
	s_or_b64 exec, exec, s[2:3]
	v_cmp_gt_u32_e32 vcc, 64, v0
	s_and_saveexec_b64 s[2:3], vcc
	s_cbranch_execz .LBB50_8
.LBB50_10:
	v_mov_b32_e32 v1, 0
	v_lshlrev_b64 v[2:3], 3, v[0:1]
	v_mov_b32_e32 v0, s1
	v_add_co_u32_e32 v2, vcc, s0, v2
	v_addc_co_u32_e32 v3, vcc, v0, v3, vcc
	v_mov_b32_e32 v5, 0xff
	v_mov_b32_e32 v4, v1
	global_store_dwordx2 v[2:3], v[4:5], off
	s_endpgm
	.section	.rodata,"a",@progbits
	.p2align	6, 0x0
	.amdhsa_kernel _ZN7rocprim6detail31init_lookback_scan_state_kernelINS0_19lookback_scan_stateINS_5tupleIJ12hip_bfloat16bEEELb0ELb1EEEEEvT_jjPNS7_10value_typeE
		.amdhsa_group_segment_fixed_size 0
		.amdhsa_private_segment_fixed_size 0
		.amdhsa_kernarg_size 280
		.amdhsa_user_sgpr_count 6
		.amdhsa_user_sgpr_private_segment_buffer 1
		.amdhsa_user_sgpr_dispatch_ptr 0
		.amdhsa_user_sgpr_queue_ptr 0
		.amdhsa_user_sgpr_kernarg_segment_ptr 1
		.amdhsa_user_sgpr_dispatch_id 0
		.amdhsa_user_sgpr_flat_scratch_init 0
		.amdhsa_user_sgpr_private_segment_size 0
		.amdhsa_uses_dynamic_stack 0
		.amdhsa_system_sgpr_private_segment_wavefront_offset 0
		.amdhsa_system_sgpr_workgroup_id_x 1
		.amdhsa_system_sgpr_workgroup_id_y 0
		.amdhsa_system_sgpr_workgroup_id_z 0
		.amdhsa_system_sgpr_workgroup_info 0
		.amdhsa_system_vgpr_workitem_id 0
		.amdhsa_next_free_vgpr 6
		.amdhsa_next_free_sgpr 10
		.amdhsa_reserve_vcc 1
		.amdhsa_reserve_flat_scratch 0
		.amdhsa_float_round_mode_32 0
		.amdhsa_float_round_mode_16_64 0
		.amdhsa_float_denorm_mode_32 3
		.amdhsa_float_denorm_mode_16_64 3
		.amdhsa_dx10_clamp 1
		.amdhsa_ieee_mode 1
		.amdhsa_fp16_overflow 0
		.amdhsa_exception_fp_ieee_invalid_op 0
		.amdhsa_exception_fp_denorm_src 0
		.amdhsa_exception_fp_ieee_div_zero 0
		.amdhsa_exception_fp_ieee_overflow 0
		.amdhsa_exception_fp_ieee_underflow 0
		.amdhsa_exception_fp_ieee_inexact 0
		.amdhsa_exception_int_div_zero 0
	.end_amdhsa_kernel
	.section	.text._ZN7rocprim6detail31init_lookback_scan_state_kernelINS0_19lookback_scan_stateINS_5tupleIJ12hip_bfloat16bEEELb0ELb1EEEEEvT_jjPNS7_10value_typeE,"axG",@progbits,_ZN7rocprim6detail31init_lookback_scan_state_kernelINS0_19lookback_scan_stateINS_5tupleIJ12hip_bfloat16bEEELb0ELb1EEEEEvT_jjPNS7_10value_typeE,comdat
.Lfunc_end50:
	.size	_ZN7rocprim6detail31init_lookback_scan_state_kernelINS0_19lookback_scan_stateINS_5tupleIJ12hip_bfloat16bEEELb0ELb1EEEEEvT_jjPNS7_10value_typeE, .Lfunc_end50-_ZN7rocprim6detail31init_lookback_scan_state_kernelINS0_19lookback_scan_stateINS_5tupleIJ12hip_bfloat16bEEELb0ELb1EEEEEvT_jjPNS7_10value_typeE
                                        ; -- End function
	.set _ZN7rocprim6detail31init_lookback_scan_state_kernelINS0_19lookback_scan_stateINS_5tupleIJ12hip_bfloat16bEEELb0ELb1EEEEEvT_jjPNS7_10value_typeE.num_vgpr, 6
	.set _ZN7rocprim6detail31init_lookback_scan_state_kernelINS0_19lookback_scan_stateINS_5tupleIJ12hip_bfloat16bEEELb0ELb1EEEEEvT_jjPNS7_10value_typeE.num_agpr, 0
	.set _ZN7rocprim6detail31init_lookback_scan_state_kernelINS0_19lookback_scan_stateINS_5tupleIJ12hip_bfloat16bEEELb0ELb1EEEEEvT_jjPNS7_10value_typeE.numbered_sgpr, 10
	.set _ZN7rocprim6detail31init_lookback_scan_state_kernelINS0_19lookback_scan_stateINS_5tupleIJ12hip_bfloat16bEEELb0ELb1EEEEEvT_jjPNS7_10value_typeE.num_named_barrier, 0
	.set _ZN7rocprim6detail31init_lookback_scan_state_kernelINS0_19lookback_scan_stateINS_5tupleIJ12hip_bfloat16bEEELb0ELb1EEEEEvT_jjPNS7_10value_typeE.private_seg_size, 0
	.set _ZN7rocprim6detail31init_lookback_scan_state_kernelINS0_19lookback_scan_stateINS_5tupleIJ12hip_bfloat16bEEELb0ELb1EEEEEvT_jjPNS7_10value_typeE.uses_vcc, 1
	.set _ZN7rocprim6detail31init_lookback_scan_state_kernelINS0_19lookback_scan_stateINS_5tupleIJ12hip_bfloat16bEEELb0ELb1EEEEEvT_jjPNS7_10value_typeE.uses_flat_scratch, 0
	.set _ZN7rocprim6detail31init_lookback_scan_state_kernelINS0_19lookback_scan_stateINS_5tupleIJ12hip_bfloat16bEEELb0ELb1EEEEEvT_jjPNS7_10value_typeE.has_dyn_sized_stack, 0
	.set _ZN7rocprim6detail31init_lookback_scan_state_kernelINS0_19lookback_scan_stateINS_5tupleIJ12hip_bfloat16bEEELb0ELb1EEEEEvT_jjPNS7_10value_typeE.has_recursion, 0
	.set _ZN7rocprim6detail31init_lookback_scan_state_kernelINS0_19lookback_scan_stateINS_5tupleIJ12hip_bfloat16bEEELb0ELb1EEEEEvT_jjPNS7_10value_typeE.has_indirect_call, 0
	.section	.AMDGPU.csdata,"",@progbits
; Kernel info:
; codeLenInByte = 312
; TotalNumSgprs: 14
; NumVgprs: 6
; ScratchSize: 0
; MemoryBound: 0
; FloatMode: 240
; IeeeMode: 1
; LDSByteSize: 0 bytes/workgroup (compile time only)
; SGPRBlocks: 1
; VGPRBlocks: 1
; NumSGPRsForWavesPerEU: 14
; NumVGPRsForWavesPerEU: 6
; Occupancy: 10
; WaveLimiterHint : 0
; COMPUTE_PGM_RSRC2:SCRATCH_EN: 0
; COMPUTE_PGM_RSRC2:USER_SGPR: 6
; COMPUTE_PGM_RSRC2:TRAP_HANDLER: 0
; COMPUTE_PGM_RSRC2:TGID_X_EN: 1
; COMPUTE_PGM_RSRC2:TGID_Y_EN: 0
; COMPUTE_PGM_RSRC2:TGID_Z_EN: 0
; COMPUTE_PGM_RSRC2:TIDIG_COMP_CNT: 0
	.section	.text._ZN7rocprim6detail25device_scan_by_key_kernelILNS0_25lookback_scan_determinismE0ELb0ENS0_26wrapped_scan_by_key_configINS_14default_configEi12hip_bfloat16EEPiN6hipcub22TransformInputIteratorIS5_NS8_6CastOpIS5_EEPS5_lEESC_S5_NS8_8EqualityENS8_3SumENS0_19lookback_scan_stateINS_5tupleIJS5_bEEELb1ELb1EEES5_EEvT2_T3_T4_T5_T6_T7_T8_mmmPKNSH_IJT9_bEEE,"axG",@progbits,_ZN7rocprim6detail25device_scan_by_key_kernelILNS0_25lookback_scan_determinismE0ELb0ENS0_26wrapped_scan_by_key_configINS_14default_configEi12hip_bfloat16EEPiN6hipcub22TransformInputIteratorIS5_NS8_6CastOpIS5_EEPS5_lEESC_S5_NS8_8EqualityENS8_3SumENS0_19lookback_scan_stateINS_5tupleIJS5_bEEELb1ELb1EEES5_EEvT2_T3_T4_T5_T6_T7_T8_mmmPKNSH_IJT9_bEEE,comdat
	.protected	_ZN7rocprim6detail25device_scan_by_key_kernelILNS0_25lookback_scan_determinismE0ELb0ENS0_26wrapped_scan_by_key_configINS_14default_configEi12hip_bfloat16EEPiN6hipcub22TransformInputIteratorIS5_NS8_6CastOpIS5_EEPS5_lEESC_S5_NS8_8EqualityENS8_3SumENS0_19lookback_scan_stateINS_5tupleIJS5_bEEELb1ELb1EEES5_EEvT2_T3_T4_T5_T6_T7_T8_mmmPKNSH_IJT9_bEEE ; -- Begin function _ZN7rocprim6detail25device_scan_by_key_kernelILNS0_25lookback_scan_determinismE0ELb0ENS0_26wrapped_scan_by_key_configINS_14default_configEi12hip_bfloat16EEPiN6hipcub22TransformInputIteratorIS5_NS8_6CastOpIS5_EEPS5_lEESC_S5_NS8_8EqualityENS8_3SumENS0_19lookback_scan_stateINS_5tupleIJS5_bEEELb1ELb1EEES5_EEvT2_T3_T4_T5_T6_T7_T8_mmmPKNSH_IJT9_bEEE
	.globl	_ZN7rocprim6detail25device_scan_by_key_kernelILNS0_25lookback_scan_determinismE0ELb0ENS0_26wrapped_scan_by_key_configINS_14default_configEi12hip_bfloat16EEPiN6hipcub22TransformInputIteratorIS5_NS8_6CastOpIS5_EEPS5_lEESC_S5_NS8_8EqualityENS8_3SumENS0_19lookback_scan_stateINS_5tupleIJS5_bEEELb1ELb1EEES5_EEvT2_T3_T4_T5_T6_T7_T8_mmmPKNSH_IJT9_bEEE
	.p2align	8
	.type	_ZN7rocprim6detail25device_scan_by_key_kernelILNS0_25lookback_scan_determinismE0ELb0ENS0_26wrapped_scan_by_key_configINS_14default_configEi12hip_bfloat16EEPiN6hipcub22TransformInputIteratorIS5_NS8_6CastOpIS5_EEPS5_lEESC_S5_NS8_8EqualityENS8_3SumENS0_19lookback_scan_stateINS_5tupleIJS5_bEEELb1ELb1EEES5_EEvT2_T3_T4_T5_T6_T7_T8_mmmPKNSH_IJT9_bEEE,@function
_ZN7rocprim6detail25device_scan_by_key_kernelILNS0_25lookback_scan_determinismE0ELb0ENS0_26wrapped_scan_by_key_configINS_14default_configEi12hip_bfloat16EEPiN6hipcub22TransformInputIteratorIS5_NS8_6CastOpIS5_EEPS5_lEESC_S5_NS8_8EqualityENS8_3SumENS0_19lookback_scan_stateINS_5tupleIJS5_bEEELb1ELb1EEES5_EEvT2_T3_T4_T5_T6_T7_T8_mmmPKNSH_IJT9_bEEE: ; @_ZN7rocprim6detail25device_scan_by_key_kernelILNS0_25lookback_scan_determinismE0ELb0ENS0_26wrapped_scan_by_key_configINS_14default_configEi12hip_bfloat16EEPiN6hipcub22TransformInputIteratorIS5_NS8_6CastOpIS5_EEPS5_lEESC_S5_NS8_8EqualityENS8_3SumENS0_19lookback_scan_stateINS_5tupleIJS5_bEEELb1ELb1EEES5_EEvT2_T3_T4_T5_T6_T7_T8_mmmPKNSH_IJT9_bEEE
; %bb.0:
	s_endpgm
	.section	.rodata,"a",@progbits
	.p2align	6, 0x0
	.amdhsa_kernel _ZN7rocprim6detail25device_scan_by_key_kernelILNS0_25lookback_scan_determinismE0ELb0ENS0_26wrapped_scan_by_key_configINS_14default_configEi12hip_bfloat16EEPiN6hipcub22TransformInputIteratorIS5_NS8_6CastOpIS5_EEPS5_lEESC_S5_NS8_8EqualityENS8_3SumENS0_19lookback_scan_stateINS_5tupleIJS5_bEEELb1ELb1EEES5_EEvT2_T3_T4_T5_T6_T7_T8_mmmPKNSH_IJT9_bEEE
		.amdhsa_group_segment_fixed_size 0
		.amdhsa_private_segment_fixed_size 0
		.amdhsa_kernarg_size 80
		.amdhsa_user_sgpr_count 6
		.amdhsa_user_sgpr_private_segment_buffer 1
		.amdhsa_user_sgpr_dispatch_ptr 0
		.amdhsa_user_sgpr_queue_ptr 0
		.amdhsa_user_sgpr_kernarg_segment_ptr 1
		.amdhsa_user_sgpr_dispatch_id 0
		.amdhsa_user_sgpr_flat_scratch_init 0
		.amdhsa_user_sgpr_private_segment_size 0
		.amdhsa_uses_dynamic_stack 0
		.amdhsa_system_sgpr_private_segment_wavefront_offset 0
		.amdhsa_system_sgpr_workgroup_id_x 1
		.amdhsa_system_sgpr_workgroup_id_y 0
		.amdhsa_system_sgpr_workgroup_id_z 0
		.amdhsa_system_sgpr_workgroup_info 0
		.amdhsa_system_vgpr_workitem_id 0
		.amdhsa_next_free_vgpr 1
		.amdhsa_next_free_sgpr 0
		.amdhsa_reserve_vcc 0
		.amdhsa_reserve_flat_scratch 0
		.amdhsa_float_round_mode_32 0
		.amdhsa_float_round_mode_16_64 0
		.amdhsa_float_denorm_mode_32 3
		.amdhsa_float_denorm_mode_16_64 3
		.amdhsa_dx10_clamp 1
		.amdhsa_ieee_mode 1
		.amdhsa_fp16_overflow 0
		.amdhsa_exception_fp_ieee_invalid_op 0
		.amdhsa_exception_fp_denorm_src 0
		.amdhsa_exception_fp_ieee_div_zero 0
		.amdhsa_exception_fp_ieee_overflow 0
		.amdhsa_exception_fp_ieee_underflow 0
		.amdhsa_exception_fp_ieee_inexact 0
		.amdhsa_exception_int_div_zero 0
	.end_amdhsa_kernel
	.section	.text._ZN7rocprim6detail25device_scan_by_key_kernelILNS0_25lookback_scan_determinismE0ELb0ENS0_26wrapped_scan_by_key_configINS_14default_configEi12hip_bfloat16EEPiN6hipcub22TransformInputIteratorIS5_NS8_6CastOpIS5_EEPS5_lEESC_S5_NS8_8EqualityENS8_3SumENS0_19lookback_scan_stateINS_5tupleIJS5_bEEELb1ELb1EEES5_EEvT2_T3_T4_T5_T6_T7_T8_mmmPKNSH_IJT9_bEEE,"axG",@progbits,_ZN7rocprim6detail25device_scan_by_key_kernelILNS0_25lookback_scan_determinismE0ELb0ENS0_26wrapped_scan_by_key_configINS_14default_configEi12hip_bfloat16EEPiN6hipcub22TransformInputIteratorIS5_NS8_6CastOpIS5_EEPS5_lEESC_S5_NS8_8EqualityENS8_3SumENS0_19lookback_scan_stateINS_5tupleIJS5_bEEELb1ELb1EEES5_EEvT2_T3_T4_T5_T6_T7_T8_mmmPKNSH_IJT9_bEEE,comdat
.Lfunc_end51:
	.size	_ZN7rocprim6detail25device_scan_by_key_kernelILNS0_25lookback_scan_determinismE0ELb0ENS0_26wrapped_scan_by_key_configINS_14default_configEi12hip_bfloat16EEPiN6hipcub22TransformInputIteratorIS5_NS8_6CastOpIS5_EEPS5_lEESC_S5_NS8_8EqualityENS8_3SumENS0_19lookback_scan_stateINS_5tupleIJS5_bEEELb1ELb1EEES5_EEvT2_T3_T4_T5_T6_T7_T8_mmmPKNSH_IJT9_bEEE, .Lfunc_end51-_ZN7rocprim6detail25device_scan_by_key_kernelILNS0_25lookback_scan_determinismE0ELb0ENS0_26wrapped_scan_by_key_configINS_14default_configEi12hip_bfloat16EEPiN6hipcub22TransformInputIteratorIS5_NS8_6CastOpIS5_EEPS5_lEESC_S5_NS8_8EqualityENS8_3SumENS0_19lookback_scan_stateINS_5tupleIJS5_bEEELb1ELb1EEES5_EEvT2_T3_T4_T5_T6_T7_T8_mmmPKNSH_IJT9_bEEE
                                        ; -- End function
	.set _ZN7rocprim6detail25device_scan_by_key_kernelILNS0_25lookback_scan_determinismE0ELb0ENS0_26wrapped_scan_by_key_configINS_14default_configEi12hip_bfloat16EEPiN6hipcub22TransformInputIteratorIS5_NS8_6CastOpIS5_EEPS5_lEESC_S5_NS8_8EqualityENS8_3SumENS0_19lookback_scan_stateINS_5tupleIJS5_bEEELb1ELb1EEES5_EEvT2_T3_T4_T5_T6_T7_T8_mmmPKNSH_IJT9_bEEE.num_vgpr, 0
	.set _ZN7rocprim6detail25device_scan_by_key_kernelILNS0_25lookback_scan_determinismE0ELb0ENS0_26wrapped_scan_by_key_configINS_14default_configEi12hip_bfloat16EEPiN6hipcub22TransformInputIteratorIS5_NS8_6CastOpIS5_EEPS5_lEESC_S5_NS8_8EqualityENS8_3SumENS0_19lookback_scan_stateINS_5tupleIJS5_bEEELb1ELb1EEES5_EEvT2_T3_T4_T5_T6_T7_T8_mmmPKNSH_IJT9_bEEE.num_agpr, 0
	.set _ZN7rocprim6detail25device_scan_by_key_kernelILNS0_25lookback_scan_determinismE0ELb0ENS0_26wrapped_scan_by_key_configINS_14default_configEi12hip_bfloat16EEPiN6hipcub22TransformInputIteratorIS5_NS8_6CastOpIS5_EEPS5_lEESC_S5_NS8_8EqualityENS8_3SumENS0_19lookback_scan_stateINS_5tupleIJS5_bEEELb1ELb1EEES5_EEvT2_T3_T4_T5_T6_T7_T8_mmmPKNSH_IJT9_bEEE.numbered_sgpr, 0
	.set _ZN7rocprim6detail25device_scan_by_key_kernelILNS0_25lookback_scan_determinismE0ELb0ENS0_26wrapped_scan_by_key_configINS_14default_configEi12hip_bfloat16EEPiN6hipcub22TransformInputIteratorIS5_NS8_6CastOpIS5_EEPS5_lEESC_S5_NS8_8EqualityENS8_3SumENS0_19lookback_scan_stateINS_5tupleIJS5_bEEELb1ELb1EEES5_EEvT2_T3_T4_T5_T6_T7_T8_mmmPKNSH_IJT9_bEEE.num_named_barrier, 0
	.set _ZN7rocprim6detail25device_scan_by_key_kernelILNS0_25lookback_scan_determinismE0ELb0ENS0_26wrapped_scan_by_key_configINS_14default_configEi12hip_bfloat16EEPiN6hipcub22TransformInputIteratorIS5_NS8_6CastOpIS5_EEPS5_lEESC_S5_NS8_8EqualityENS8_3SumENS0_19lookback_scan_stateINS_5tupleIJS5_bEEELb1ELb1EEES5_EEvT2_T3_T4_T5_T6_T7_T8_mmmPKNSH_IJT9_bEEE.private_seg_size, 0
	.set _ZN7rocprim6detail25device_scan_by_key_kernelILNS0_25lookback_scan_determinismE0ELb0ENS0_26wrapped_scan_by_key_configINS_14default_configEi12hip_bfloat16EEPiN6hipcub22TransformInputIteratorIS5_NS8_6CastOpIS5_EEPS5_lEESC_S5_NS8_8EqualityENS8_3SumENS0_19lookback_scan_stateINS_5tupleIJS5_bEEELb1ELb1EEES5_EEvT2_T3_T4_T5_T6_T7_T8_mmmPKNSH_IJT9_bEEE.uses_vcc, 0
	.set _ZN7rocprim6detail25device_scan_by_key_kernelILNS0_25lookback_scan_determinismE0ELb0ENS0_26wrapped_scan_by_key_configINS_14default_configEi12hip_bfloat16EEPiN6hipcub22TransformInputIteratorIS5_NS8_6CastOpIS5_EEPS5_lEESC_S5_NS8_8EqualityENS8_3SumENS0_19lookback_scan_stateINS_5tupleIJS5_bEEELb1ELb1EEES5_EEvT2_T3_T4_T5_T6_T7_T8_mmmPKNSH_IJT9_bEEE.uses_flat_scratch, 0
	.set _ZN7rocprim6detail25device_scan_by_key_kernelILNS0_25lookback_scan_determinismE0ELb0ENS0_26wrapped_scan_by_key_configINS_14default_configEi12hip_bfloat16EEPiN6hipcub22TransformInputIteratorIS5_NS8_6CastOpIS5_EEPS5_lEESC_S5_NS8_8EqualityENS8_3SumENS0_19lookback_scan_stateINS_5tupleIJS5_bEEELb1ELb1EEES5_EEvT2_T3_T4_T5_T6_T7_T8_mmmPKNSH_IJT9_bEEE.has_dyn_sized_stack, 0
	.set _ZN7rocprim6detail25device_scan_by_key_kernelILNS0_25lookback_scan_determinismE0ELb0ENS0_26wrapped_scan_by_key_configINS_14default_configEi12hip_bfloat16EEPiN6hipcub22TransformInputIteratorIS5_NS8_6CastOpIS5_EEPS5_lEESC_S5_NS8_8EqualityENS8_3SumENS0_19lookback_scan_stateINS_5tupleIJS5_bEEELb1ELb1EEES5_EEvT2_T3_T4_T5_T6_T7_T8_mmmPKNSH_IJT9_bEEE.has_recursion, 0
	.set _ZN7rocprim6detail25device_scan_by_key_kernelILNS0_25lookback_scan_determinismE0ELb0ENS0_26wrapped_scan_by_key_configINS_14default_configEi12hip_bfloat16EEPiN6hipcub22TransformInputIteratorIS5_NS8_6CastOpIS5_EEPS5_lEESC_S5_NS8_8EqualityENS8_3SumENS0_19lookback_scan_stateINS_5tupleIJS5_bEEELb1ELb1EEES5_EEvT2_T3_T4_T5_T6_T7_T8_mmmPKNSH_IJT9_bEEE.has_indirect_call, 0
	.section	.AMDGPU.csdata,"",@progbits
; Kernel info:
; codeLenInByte = 4
; TotalNumSgprs: 4
; NumVgprs: 0
; ScratchSize: 0
; MemoryBound: 0
; FloatMode: 240
; IeeeMode: 1
; LDSByteSize: 0 bytes/workgroup (compile time only)
; SGPRBlocks: 0
; VGPRBlocks: 0
; NumSGPRsForWavesPerEU: 4
; NumVGPRsForWavesPerEU: 1
; Occupancy: 10
; WaveLimiterHint : 0
; COMPUTE_PGM_RSRC2:SCRATCH_EN: 0
; COMPUTE_PGM_RSRC2:USER_SGPR: 6
; COMPUTE_PGM_RSRC2:TRAP_HANDLER: 0
; COMPUTE_PGM_RSRC2:TGID_X_EN: 1
; COMPUTE_PGM_RSRC2:TGID_Y_EN: 0
; COMPUTE_PGM_RSRC2:TGID_Z_EN: 0
; COMPUTE_PGM_RSRC2:TIDIG_COMP_CNT: 0
	.section	.text._ZN7rocprim6detail25device_scan_by_key_kernelILNS0_25lookback_scan_determinismE0ELb0ENS0_26wrapped_scan_by_key_configINS_14default_configEi12hip_bfloat16EEPiN6hipcub22TransformInputIteratorIS5_NS8_6CastOpIS5_EEPS5_lEESC_S5_NS8_8EqualityENS8_3SumENS0_19lookback_scan_stateINS_5tupleIJS5_bEEELb0ELb1EEES5_EEvT2_T3_T4_T5_T6_T7_T8_mmmPKNSH_IJT9_bEEE,"axG",@progbits,_ZN7rocprim6detail25device_scan_by_key_kernelILNS0_25lookback_scan_determinismE0ELb0ENS0_26wrapped_scan_by_key_configINS_14default_configEi12hip_bfloat16EEPiN6hipcub22TransformInputIteratorIS5_NS8_6CastOpIS5_EEPS5_lEESC_S5_NS8_8EqualityENS8_3SumENS0_19lookback_scan_stateINS_5tupleIJS5_bEEELb0ELb1EEES5_EEvT2_T3_T4_T5_T6_T7_T8_mmmPKNSH_IJT9_bEEE,comdat
	.protected	_ZN7rocprim6detail25device_scan_by_key_kernelILNS0_25lookback_scan_determinismE0ELb0ENS0_26wrapped_scan_by_key_configINS_14default_configEi12hip_bfloat16EEPiN6hipcub22TransformInputIteratorIS5_NS8_6CastOpIS5_EEPS5_lEESC_S5_NS8_8EqualityENS8_3SumENS0_19lookback_scan_stateINS_5tupleIJS5_bEEELb0ELb1EEES5_EEvT2_T3_T4_T5_T6_T7_T8_mmmPKNSH_IJT9_bEEE ; -- Begin function _ZN7rocprim6detail25device_scan_by_key_kernelILNS0_25lookback_scan_determinismE0ELb0ENS0_26wrapped_scan_by_key_configINS_14default_configEi12hip_bfloat16EEPiN6hipcub22TransformInputIteratorIS5_NS8_6CastOpIS5_EEPS5_lEESC_S5_NS8_8EqualityENS8_3SumENS0_19lookback_scan_stateINS_5tupleIJS5_bEEELb0ELb1EEES5_EEvT2_T3_T4_T5_T6_T7_T8_mmmPKNSH_IJT9_bEEE
	.globl	_ZN7rocprim6detail25device_scan_by_key_kernelILNS0_25lookback_scan_determinismE0ELb0ENS0_26wrapped_scan_by_key_configINS_14default_configEi12hip_bfloat16EEPiN6hipcub22TransformInputIteratorIS5_NS8_6CastOpIS5_EEPS5_lEESC_S5_NS8_8EqualityENS8_3SumENS0_19lookback_scan_stateINS_5tupleIJS5_bEEELb0ELb1EEES5_EEvT2_T3_T4_T5_T6_T7_T8_mmmPKNSH_IJT9_bEEE
	.p2align	8
	.type	_ZN7rocprim6detail25device_scan_by_key_kernelILNS0_25lookback_scan_determinismE0ELb0ENS0_26wrapped_scan_by_key_configINS_14default_configEi12hip_bfloat16EEPiN6hipcub22TransformInputIteratorIS5_NS8_6CastOpIS5_EEPS5_lEESC_S5_NS8_8EqualityENS8_3SumENS0_19lookback_scan_stateINS_5tupleIJS5_bEEELb0ELb1EEES5_EEvT2_T3_T4_T5_T6_T7_T8_mmmPKNSH_IJT9_bEEE,@function
_ZN7rocprim6detail25device_scan_by_key_kernelILNS0_25lookback_scan_determinismE0ELb0ENS0_26wrapped_scan_by_key_configINS_14default_configEi12hip_bfloat16EEPiN6hipcub22TransformInputIteratorIS5_NS8_6CastOpIS5_EEPS5_lEESC_S5_NS8_8EqualityENS8_3SumENS0_19lookback_scan_stateINS_5tupleIJS5_bEEELb0ELb1EEES5_EEvT2_T3_T4_T5_T6_T7_T8_mmmPKNSH_IJT9_bEEE: ; @_ZN7rocprim6detail25device_scan_by_key_kernelILNS0_25lookback_scan_determinismE0ELb0ENS0_26wrapped_scan_by_key_configINS_14default_configEi12hip_bfloat16EEPiN6hipcub22TransformInputIteratorIS5_NS8_6CastOpIS5_EEPS5_lEESC_S5_NS8_8EqualityENS8_3SumENS0_19lookback_scan_stateINS_5tupleIJS5_bEEELb0ELb1EEES5_EEvT2_T3_T4_T5_T6_T7_T8_mmmPKNSH_IJT9_bEEE
; %bb.0:
	s_load_dwordx4 s[0:3], s[4:5], 0x0
	s_load_dwordx8 s[40:47], s[4:5], 0x28
	s_load_dwordx2 s[48:49], s[4:5], 0x48
	s_mul_i32 s8, s6, 0xe00
	s_mov_b32 s9, 0
	s_lshl_b64 s[10:11], s[8:9], 2
	s_waitcnt lgkmcnt(0)
	s_add_u32 s50, s0, s10
	s_addc_u32 s51, s1, s11
	s_lshl_b64 s[38:39], s[8:9], 1
	s_add_u32 s36, s2, s38
	s_addc_u32 s37, s3, s39
	s_add_u32 s0, s44, s6
	s_addc_u32 s1, s45, 0
	s_add_u32 s8, s46, -1
	s_addc_u32 s9, s47, -1
	v_mov_b32_e32 v1, s8
	v_mov_b32_e32 v2, s9
	v_cmp_ge_u64_e64 s[0:1], s[0:1], v[1:2]
	s_mov_b64 s[2:3], -1
	s_and_b64 vcc, exec, s[0:1]
	s_mul_i32 s33, s8, 0xfffff200
	s_cbranch_vccz .LBB52_74
; %bb.1:
	s_load_dword s43, s[50:51], 0x0
	v_lshlrev_b32_e32 v3, 2, v0
	s_add_i32 s7, s33, s42
	v_mov_b32_e32 v2, s51
	v_add_co_u32_e32 v1, vcc, s50, v3
	v_addc_co_u32_e32 v2, vcc, 0, v2, vcc
	v_cmp_gt_u32_e64 s[2:3], s7, v0
	s_waitcnt lgkmcnt(0)
	v_mov_b32_e32 v4, s43
	s_and_saveexec_b64 s[8:9], s[2:3]
	s_cbranch_execz .LBB52_3
; %bb.2:
	global_load_dword v4, v[1:2], off
.LBB52_3:
	s_or_b64 exec, exec, s[8:9]
	v_or_b32_e32 v5, 0x100, v0
	v_cmp_gt_u32_e64 s[34:35], s7, v5
	v_mov_b32_e32 v5, s43
	s_and_saveexec_b64 s[8:9], s[34:35]
	s_cbranch_execz .LBB52_5
; %bb.4:
	global_load_dword v5, v[1:2], off offset:1024
.LBB52_5:
	s_or_b64 exec, exec, s[8:9]
	v_or_b32_e32 v6, 0x200, v0
	v_cmp_gt_u32_e64 s[8:9], s7, v6
	v_mov_b32_e32 v6, s43
	s_and_saveexec_b64 s[10:11], s[8:9]
	s_cbranch_execz .LBB52_7
; %bb.6:
	global_load_dword v6, v[1:2], off offset:2048
.LBB52_7:
	;; [unrolled: 9-line block ×3, first 2 shown]
	s_or_b64 exec, exec, s[12:13]
	v_or_b32_e32 v8, 0x400, v0
	v_cmp_gt_u32_e64 s[12:13], s7, v8
	v_mov_b32_e32 v8, s43
	s_and_saveexec_b64 s[14:15], s[12:13]
	s_cbranch_execz .LBB52_11
; %bb.10:
	v_add_co_u32_e32 v8, vcc, 0x1000, v1
	v_addc_co_u32_e32 v9, vcc, 0, v2, vcc
	global_load_dword v8, v[8:9], off
.LBB52_11:
	s_or_b64 exec, exec, s[14:15]
	v_or_b32_e32 v9, 0x500, v0
	v_cmp_gt_u32_e64 s[14:15], s7, v9
	v_mov_b32_e32 v9, s43
	s_and_saveexec_b64 s[16:17], s[14:15]
	s_cbranch_execz .LBB52_13
; %bb.12:
	v_add_co_u32_e32 v9, vcc, 0x1000, v1
	v_addc_co_u32_e32 v10, vcc, 0, v2, vcc
	global_load_dword v9, v[9:10], off offset:1024
.LBB52_13:
	s_or_b64 exec, exec, s[16:17]
	v_or_b32_e32 v10, 0x600, v0
	v_cmp_gt_u32_e64 s[16:17], s7, v10
	v_mov_b32_e32 v10, s43
	s_and_saveexec_b64 s[18:19], s[16:17]
	s_cbranch_execz .LBB52_15
; %bb.14:
	v_add_co_u32_e32 v10, vcc, 0x1000, v1
	v_addc_co_u32_e32 v11, vcc, 0, v2, vcc
	global_load_dword v10, v[10:11], off offset:2048
.LBB52_15:
	;; [unrolled: 11-line block ×3, first 2 shown]
	s_or_b64 exec, exec, s[20:21]
	v_or_b32_e32 v12, 0x800, v0
	v_cmp_gt_u32_e64 s[20:21], s7, v12
	v_mov_b32_e32 v12, s43
	s_and_saveexec_b64 s[22:23], s[20:21]
	s_cbranch_execz .LBB52_19
; %bb.18:
	v_add_co_u32_e32 v12, vcc, 0x2000, v1
	v_addc_co_u32_e32 v13, vcc, 0, v2, vcc
	global_load_dword v12, v[12:13], off
.LBB52_19:
	s_or_b64 exec, exec, s[22:23]
	v_or_b32_e32 v13, 0x900, v0
	v_cmp_gt_u32_e64 s[22:23], s7, v13
	v_mov_b32_e32 v13, s43
	s_and_saveexec_b64 s[24:25], s[22:23]
	s_cbranch_execz .LBB52_21
; %bb.20:
	v_add_co_u32_e32 v13, vcc, 0x2000, v1
	v_addc_co_u32_e32 v14, vcc, 0, v2, vcc
	global_load_dword v13, v[13:14], off offset:1024
.LBB52_21:
	s_or_b64 exec, exec, s[24:25]
	v_or_b32_e32 v14, 0xa00, v0
	v_cmp_gt_u32_e64 s[24:25], s7, v14
	v_mov_b32_e32 v14, s43
	s_and_saveexec_b64 s[26:27], s[24:25]
	s_cbranch_execz .LBB52_23
; %bb.22:
	v_add_co_u32_e32 v14, vcc, 0x2000, v1
	v_addc_co_u32_e32 v15, vcc, 0, v2, vcc
	global_load_dword v14, v[14:15], off offset:2048
.LBB52_23:
	s_or_b64 exec, exec, s[26:27]
	v_or_b32_e32 v15, 0xb00, v0
	v_cmp_gt_u32_e64 s[26:27], s7, v15
	v_mov_b32_e32 v15, s43
	s_and_saveexec_b64 s[28:29], s[26:27]
	s_cbranch_execz .LBB52_25
; %bb.24:
	v_add_co_u32_e32 v15, vcc, 0x2000, v1
	v_addc_co_u32_e32 v16, vcc, 0, v2, vcc
	global_load_dword v15, v[15:16], off offset:3072
.LBB52_25:
	s_or_b64 exec, exec, s[28:29]
	v_or_b32_e32 v16, 0xc00, v0
	v_cmp_gt_u32_e64 s[28:29], s7, v16
	v_mov_b32_e32 v16, s43
	s_and_saveexec_b64 s[30:31], s[28:29]
	s_cbranch_execz .LBB52_27
; %bb.26:
	v_add_co_u32_e32 v16, vcc, 0x3000, v1
	v_addc_co_u32_e32 v17, vcc, 0, v2, vcc
	global_load_dword v16, v[16:17], off
.LBB52_27:
	s_or_b64 exec, exec, s[30:31]
	v_or_b32_e32 v17, 0xd00, v0
	v_cmp_gt_u32_e64 s[30:31], s7, v17
	v_mov_b32_e32 v17, s43
	s_and_saveexec_b64 s[46:47], s[30:31]
	s_cbranch_execz .LBB52_29
; %bb.28:
	v_add_co_u32_e32 v1, vcc, 0x3000, v1
	v_addc_co_u32_e32 v2, vcc, 0, v2, vcc
	global_load_dword v17, v[1:2], off offset:1024
.LBB52_29:
	s_or_b64 exec, exec, s[46:47]
	s_sub_u32 s46, 0, s6
	s_subb_u32 s47, 0, 0
	s_cmp_eq_u64 s[44:45], s[46:47]
	s_cselect_b32 s46, 0, -4
	s_cselect_b32 s43, 0, -1
	s_add_u32 s46, s50, s46
	v_mad_u32_u24 v1, v0, 52, v3
	s_addc_u32 s47, s51, s43
	s_waitcnt vmcnt(0)
	ds_write2st64_b32 v3, v4, v5 offset1:4
	ds_write2st64_b32 v3, v6, v7 offset0:8 offset1:12
	ds_write2st64_b32 v3, v8, v9 offset0:16 offset1:20
	;; [unrolled: 1-line block ×6, first 2 shown]
	s_waitcnt lgkmcnt(0)
	s_barrier
	ds_read2_b64 v[21:24], v1 offset1:1
	ds_read2_b64 v[17:20], v1 offset0:2 offset1:3
	ds_read2_b64 v[13:16], v1 offset0:4 offset1:5
	ds_read_b64 v[29:30], v1 offset:48
	s_load_dword s43, s[46:47], 0x0
	s_movk_i32 s46, 0xffcc
	v_mad_i32_i24 v3, v0, s46, v1
	v_cmp_ne_u32_e32 vcc, 0, v0
	s_waitcnt lgkmcnt(0)
	ds_write_b32 v3, v30 offset:14336
	v_mov_b32_e32 v25, s43
	s_waitcnt lgkmcnt(0)
	s_barrier
	s_and_saveexec_b64 s[46:47], vcc
; %bb.30:
	ds_read_b32 v25, v3 offset:14332
; %bb.31:
	s_or_b64 exec, exec, s[46:47]
	v_lshlrev_b32_e32 v4, 1, v0
	v_mov_b32_e32 v2, s37
	v_add_co_u32_e32 v1, vcc, s36, v4
	v_addc_co_u32_e32 v2, vcc, 0, v2, vcc
	s_waitcnt lgkmcnt(0)
	s_barrier
                                        ; implicit-def: $vgpr5
	s_and_saveexec_b64 s[46:47], s[2:3]
	s_cbranch_execz .LBB52_346
; %bb.32:
	global_load_ushort v5, v[1:2], off
	s_or_b64 exec, exec, s[46:47]
                                        ; implicit-def: $vgpr6
	s_and_saveexec_b64 s[2:3], s[34:35]
	s_cbranch_execnz .LBB52_347
.LBB52_33:
	s_or_b64 exec, exec, s[2:3]
                                        ; implicit-def: $vgpr7
	s_and_saveexec_b64 s[2:3], s[8:9]
	s_cbranch_execz .LBB52_348
.LBB52_34:
	global_load_ushort v7, v[1:2], off offset:1024
	s_or_b64 exec, exec, s[2:3]
                                        ; implicit-def: $vgpr8
	s_and_saveexec_b64 s[2:3], s[10:11]
	s_cbranch_execnz .LBB52_349
.LBB52_35:
	s_or_b64 exec, exec, s[2:3]
                                        ; implicit-def: $vgpr9
	s_and_saveexec_b64 s[2:3], s[12:13]
	s_cbranch_execz .LBB52_350
.LBB52_36:
	global_load_ushort v9, v[1:2], off offset:2048
	s_or_b64 exec, exec, s[2:3]
                                        ; implicit-def: $vgpr10
	s_and_saveexec_b64 s[2:3], s[14:15]
	s_cbranch_execnz .LBB52_351
.LBB52_37:
	s_or_b64 exec, exec, s[2:3]
                                        ; implicit-def: $vgpr11
	s_and_saveexec_b64 s[2:3], s[16:17]
	s_cbranch_execz .LBB52_352
.LBB52_38:
	global_load_ushort v11, v[1:2], off offset:3072
	s_or_b64 exec, exec, s[2:3]
                                        ; implicit-def: $vgpr12
	s_and_saveexec_b64 s[2:3], s[18:19]
	s_cbranch_execnz .LBB52_353
.LBB52_39:
	s_or_b64 exec, exec, s[2:3]
                                        ; implicit-def: $vgpr26
	s_and_saveexec_b64 s[2:3], s[20:21]
	s_cbranch_execz .LBB52_354
.LBB52_40:
	v_add_co_u32_e32 v26, vcc, 0x1000, v1
	v_addc_co_u32_e32 v27, vcc, 0, v2, vcc
	global_load_ushort v26, v[26:27], off
	s_or_b64 exec, exec, s[2:3]
                                        ; implicit-def: $vgpr27
	s_and_saveexec_b64 s[2:3], s[22:23]
	s_cbranch_execnz .LBB52_355
.LBB52_41:
	s_or_b64 exec, exec, s[2:3]
                                        ; implicit-def: $vgpr28
	s_and_saveexec_b64 s[2:3], s[24:25]
	s_cbranch_execz .LBB52_356
.LBB52_42:
	v_add_co_u32_e32 v31, vcc, 0x1000, v1
	v_addc_co_u32_e32 v32, vcc, 0, v2, vcc
	global_load_ushort v28, v[31:32], off offset:1024
	s_or_b64 exec, exec, s[2:3]
                                        ; implicit-def: $vgpr31
	s_and_saveexec_b64 s[2:3], s[26:27]
	s_cbranch_execnz .LBB52_357
.LBB52_43:
	s_or_b64 exec, exec, s[2:3]
                                        ; implicit-def: $vgpr32
	s_and_saveexec_b64 s[2:3], s[28:29]
	s_cbranch_execz .LBB52_45
.LBB52_44:
	v_add_co_u32_e32 v32, vcc, 0x1000, v1
	v_addc_co_u32_e32 v33, vcc, 0, v2, vcc
	global_load_ushort v32, v[32:33], off offset:2048
.LBB52_45:
	s_or_b64 exec, exec, s[2:3]
	v_mul_u32_u24_e32 v34, 14, v0
                                        ; implicit-def: $vgpr33
	s_and_saveexec_b64 s[2:3], s[30:31]
	s_cbranch_execz .LBB52_47
; %bb.46:
	v_add_co_u32_e32 v1, vcc, 0x1000, v1
	v_addc_co_u32_e32 v2, vcc, 0, v2, vcc
	global_load_ushort v33, v[1:2], off offset:2560
.LBB52_47:
	s_or_b64 exec, exec, s[2:3]
	v_sub_u32_e32 v35, v3, v4
	s_waitcnt vmcnt(0)
	ds_write_b16 v35, v5
	ds_write_b16 v35, v6 offset:512
	ds_write_b16 v35, v7 offset:1024
	;; [unrolled: 1-line block ×13, first 2 shown]
	v_mov_b32_e32 v9, 0
	v_mov_b32_e32 v10, v9
	;; [unrolled: 1-line block ×6, first 2 shown]
	v_cmp_gt_u32_e32 vcc, s7, v34
	s_mov_b64 s[2:3], 0
	s_mov_b64 s[12:13], 0
	v_mov_b32_e32 v6, v10
	v_mov_b32_e32 v7, v11
	;; [unrolled: 1-line block ×8, first 2 shown]
	s_waitcnt lgkmcnt(0)
	s_barrier
                                        ; implicit-def: $sgpr8_sgpr9
                                        ; implicit-def: $vgpr33
	s_and_saveexec_b64 s[10:11], vcc
	s_cbranch_execz .LBB52_73
; %bb.48:
	v_mad_u32_u24 v1, v0, 26, v35
	ds_read_u16 v31, v1
	v_mov_b32_e32 v11, 0
	v_mov_b32_e32 v36, 0x10000
	v_cmp_eq_u32_e32 vcc, v25, v21
	v_or_b32_e32 v1, 1, v34
	v_mov_b32_e32 v9, v11
	v_cndmask_b32_e64 v32, v36, 0, vcc
	v_cmp_gt_u32_e32 vcc, s7, v1
	v_mov_b32_e32 v10, v11
	v_mov_b32_e32 v12, v11
	;; [unrolled: 1-line block ×4, first 2 shown]
	s_mov_b64 s[14:15], 0
	v_mov_b32_e32 v6, v10
	v_mov_b32_e32 v7, v11
	;; [unrolled: 1-line block ×6, first 2 shown]
                                        ; implicit-def: $sgpr8_sgpr9
                                        ; implicit-def: $vgpr33
	s_and_saveexec_b64 s[12:13], vcc
	s_cbranch_execz .LBB52_72
; %bb.49:
	v_mul_u32_u24_e32 v1, 26, v0
	v_add_u32_e32 v35, v35, v1
	ds_read_b128 v[25:28], v35 offset:2
	v_cmp_eq_u32_e32 vcc, v21, v22
	v_cndmask_b32_e64 v1, v36, 0, vcc
	s_mov_b32 s8, 0xffff
	v_add_u32_e32 v2, 2, v34
	v_mov_b32_e32 v5, v11
	s_waitcnt lgkmcnt(0)
	v_and_or_b32 v9, v25, s8, v1
	v_cmp_gt_u32_e32 vcc, s7, v2
	v_mov_b32_e32 v6, v11
	v_mov_b32_e32 v7, v11
	;; [unrolled: 1-line block ×6, first 2 shown]
	s_mov_b64 s[16:17], 0
	v_mov_b32_e32 v2, v6
	v_mov_b32_e32 v3, v7
	;; [unrolled: 1-line block ×3, first 2 shown]
                                        ; implicit-def: $sgpr8_sgpr9
                                        ; implicit-def: $vgpr33
	s_and_saveexec_b64 s[14:15], vcc
	s_cbranch_execz .LBB52_71
; %bb.50:
	v_mov_b32_e32 v21, 0x10000
	v_cmp_eq_u32_e32 vcc, v22, v23
	v_cndmask_b32_e64 v1, v21, 0, vcc
	v_or_b32_sdwa v10, v1, v25 dst_sel:DWORD dst_unused:UNUSED_PAD src0_sel:DWORD src1_sel:WORD_1
	v_add_u32_e32 v1, 3, v34
	v_mov_b32_e32 v5, 0
	v_cmp_gt_u32_e32 vcc, s7, v1
	v_mov_b32_e32 v6, v5
	v_mov_b32_e32 v7, v5
	;; [unrolled: 1-line block ×4, first 2 shown]
	s_mov_b32 s20, 0
	v_mov_b32_e32 v12, v11
	s_mov_b64 s[18:19], 0
	v_mov_b32_e32 v2, v6
	v_mov_b32_e32 v3, v7
	;; [unrolled: 1-line block ×3, first 2 shown]
                                        ; implicit-def: $sgpr8_sgpr9
                                        ; implicit-def: $vgpr33
	s_and_saveexec_b64 s[16:17], vcc
	s_cbranch_execz .LBB52_70
; %bb.51:
	v_cmp_eq_u32_e32 vcc, v23, v24
	v_cndmask_b32_e64 v1, v21, 0, vcc
	s_mov_b32 s8, 0xffff
	v_and_or_b32 v11, v26, s8, v1
	v_add_u32_e32 v1, 4, v34
	v_cmp_gt_u32_e32 vcc, s7, v1
	v_mov_b32_e32 v6, v5
	v_mov_b32_e32 v7, v5
	;; [unrolled: 1-line block ×5, first 2 shown]
	s_mov_b64 s[20:21], 0
	v_mov_b32_e32 v2, v6
	v_mov_b32_e32 v3, v7
	;; [unrolled: 1-line block ×3, first 2 shown]
                                        ; implicit-def: $sgpr8_sgpr9
                                        ; implicit-def: $vgpr33
	s_and_saveexec_b64 s[18:19], vcc
	s_cbranch_execz .LBB52_69
; %bb.52:
	v_mov_b32_e32 v21, 0x10000
	v_cmp_eq_u32_e32 vcc, v24, v17
	v_cndmask_b32_e64 v1, v21, 0, vcc
	v_mov_b32_e32 v7, 0
	v_or_b32_sdwa v12, v1, v26 dst_sel:DWORD dst_unused:UNUSED_PAD src0_sel:DWORD src1_sel:WORD_1
	v_add_u32_e32 v1, 5, v34
	v_mov_b32_e32 v5, v7
	v_cmp_gt_u32_e32 vcc, s7, v1
	v_mov_b32_e32 v6, v7
	v_mov_b32_e32 v8, v7
	;; [unrolled: 1-line block ×3, first 2 shown]
	s_mov_b64 s[22:23], 0
	v_mov_b32_e32 v2, v6
	v_mov_b32_e32 v3, v7
	;; [unrolled: 1-line block ×3, first 2 shown]
                                        ; implicit-def: $sgpr8_sgpr9
                                        ; implicit-def: $vgpr33
	s_and_saveexec_b64 s[20:21], vcc
	s_cbranch_execz .LBB52_68
; %bb.53:
	v_cmp_eq_u32_e32 vcc, v17, v18
	v_cndmask_b32_e64 v1, v21, 0, vcc
	s_mov_b32 s8, 0xffff
	v_and_or_b32 v5, v27, s8, v1
	v_add_u32_e32 v1, 6, v34
	v_cmp_gt_u32_e32 vcc, s7, v1
	v_mov_b32_e32 v6, v7
	v_mov_b32_e32 v8, v7
	;; [unrolled: 1-line block ×6, first 2 shown]
	s_mov_b64 s[24:25], 0
                                        ; implicit-def: $sgpr8_sgpr9
                                        ; implicit-def: $vgpr33
	s_and_saveexec_b64 s[22:23], vcc
	s_cbranch_execz .LBB52_67
; %bb.54:
	v_mov_b32_e32 v17, 0x10000
	v_cmp_eq_u32_e32 vcc, v18, v19
	v_cndmask_b32_e64 v1, v17, 0, vcc
	v_or_b32_sdwa v6, v1, v27 dst_sel:DWORD dst_unused:UNUSED_PAD src0_sel:DWORD src1_sel:WORD_1
	v_add_u32_e32 v1, 7, v34
	v_cmp_gt_u32_e32 vcc, s7, v1
	v_mov_b32_e32 v1, 0
	s_mov_b32 s28, 0
	v_mov_b32_e32 v8, v7
	v_mov_b32_e32 v2, v1
	;; [unrolled: 1-line block ×4, first 2 shown]
	s_mov_b64 s[26:27], 0
                                        ; implicit-def: $sgpr8_sgpr9
                                        ; implicit-def: $vgpr33
	s_and_saveexec_b64 s[24:25], vcc
	s_cbranch_execz .LBB52_66
; %bb.55:
	v_cmp_eq_u32_e32 vcc, v19, v20
	v_cndmask_b32_e64 v2, v17, 0, vcc
	s_mov_b32 s8, 0xffff
	v_and_or_b32 v7, v28, s8, v2
	v_add_u32_e32 v2, 8, v34
	v_cmp_gt_u32_e32 vcc, s7, v2
	v_mov_b32_e32 v8, s28
	v_mov_b32_e32 v2, v1
	;; [unrolled: 1-line block ×4, first 2 shown]
	s_mov_b64 s[28:29], 0
                                        ; implicit-def: $sgpr8_sgpr9
                                        ; implicit-def: $vgpr33
	s_and_saveexec_b64 s[26:27], vcc
	s_cbranch_execz .LBB52_65
; %bb.56:
	v_mov_b32_e32 v19, 0x10000
	v_cmp_eq_u32_e32 vcc, v20, v13
	v_cndmask_b32_e64 v1, v19, 0, vcc
	v_or_b32_sdwa v8, v1, v28 dst_sel:DWORD dst_unused:UNUSED_PAD src0_sel:DWORD src1_sel:WORD_1
	v_add_u32_e32 v1, 9, v34
	v_mov_b32_e32 v3, 0
	v_cmp_gt_u32_e32 vcc, s7, v1
	v_mov_b32_e32 v1, v3
	v_mov_b32_e32 v2, v3
	v_mov_b32_e32 v4, v3
	s_mov_b64 s[30:31], 0
                                        ; implicit-def: $sgpr8_sgpr9
                                        ; implicit-def: $vgpr33
	s_and_saveexec_b64 s[28:29], vcc
	s_cbranch_execz .LBB52_64
; %bb.57:
	ds_read_b64 v[17:18], v35 offset:18
	v_cmp_eq_u32_e32 vcc, v13, v14
	v_cndmask_b32_e64 v1, v19, 0, vcc
	s_mov_b32 s8, 0xffff
	v_add_u32_e32 v2, 10, v34
	s_waitcnt lgkmcnt(0)
	v_and_or_b32 v1, v17, s8, v1
	v_cmp_gt_u32_e32 vcc, s7, v2
	v_mov_b32_e32 v2, v3
	v_mov_b32_e32 v4, v3
	s_mov_b64 s[34:35], 0
                                        ; implicit-def: $sgpr8_sgpr9
                                        ; implicit-def: $vgpr33
	s_and_saveexec_b64 s[30:31], vcc
	s_cbranch_execz .LBB52_63
; %bb.58:
	v_mov_b32_e32 v13, 0x10000
	v_cmp_eq_u32_e32 vcc, v14, v15
	v_cndmask_b32_e64 v2, v13, 0, vcc
	v_add_u32_e32 v4, 11, v34
	s_mov_b32 s43, 0
	v_or_b32_sdwa v2, v2, v17 dst_sel:DWORD dst_unused:UNUSED_PAD src0_sel:DWORD src1_sel:WORD_1
	v_cmp_gt_u32_e32 vcc, s7, v4
	v_mov_b32_e32 v4, v3
	s_mov_b64 s[46:47], 0
                                        ; implicit-def: $sgpr8_sgpr9
                                        ; implicit-def: $vgpr33
	s_and_saveexec_b64 s[34:35], vcc
	s_cbranch_execz .LBB52_62
; %bb.59:
	v_cmp_eq_u32_e32 vcc, v15, v16
	v_cndmask_b32_e64 v3, v13, 0, vcc
	s_mov_b32 s8, 0xffff
	v_add_u32_e32 v4, 12, v34
	v_and_or_b32 v3, v18, s8, v3
	v_cmp_gt_u32_e32 vcc, s7, v4
	v_mov_b32_e32 v4, s43
	s_mov_b64 s[52:53], 0
                                        ; implicit-def: $sgpr8_sgpr9
                                        ; implicit-def: $vgpr33
	s_and_saveexec_b64 s[46:47], vcc
	s_xor_b64 s[46:47], exec, s[46:47]
	s_cbranch_execz .LBB52_61
; %bb.60:
	ds_read_u16 v33, v35 offset:26
	v_mov_b32_e32 v4, 0x10000
	v_cmp_eq_u32_e32 vcc, v16, v29
	v_add_u32_e32 v13, 13, v34
	v_cndmask_b32_e64 v4, v4, 0, vcc
	v_cmp_gt_u32_e32 vcc, s7, v13
	v_cmp_ne_u32_e64 s[8:9], v29, v30
	v_or_b32_sdwa v4, v4, v18 dst_sel:DWORD dst_unused:UNUSED_PAD src0_sel:DWORD src1_sel:WORD_1
	s_and_b64 s[52:53], vcc, exec
.LBB52_61:
	s_or_b64 exec, exec, s[46:47]
	s_and_b64 s[46:47], s[52:53], exec
.LBB52_62:
	s_or_b64 exec, exec, s[34:35]
	s_and_b64 s[34:35], s[46:47], exec
.LBB52_63:
	s_or_b64 exec, exec, s[30:31]
	s_and_b64 s[30:31], s[34:35], exec
.LBB52_64:
	s_or_b64 exec, exec, s[28:29]
	s_and_b64 s[28:29], s[30:31], exec
.LBB52_65:
	s_or_b64 exec, exec, s[26:27]
	s_and_b64 s[26:27], s[28:29], exec
.LBB52_66:
	s_or_b64 exec, exec, s[24:25]
	s_and_b64 s[24:25], s[26:27], exec
.LBB52_67:
	s_or_b64 exec, exec, s[22:23]
	s_and_b64 s[22:23], s[24:25], exec
.LBB52_68:
	s_or_b64 exec, exec, s[20:21]
	s_and_b64 s[20:21], s[22:23], exec
.LBB52_69:
	s_or_b64 exec, exec, s[18:19]
	s_and_b64 s[18:19], s[20:21], exec
.LBB52_70:
	s_or_b64 exec, exec, s[16:17]
	s_and_b64 s[16:17], s[18:19], exec
.LBB52_71:
	s_or_b64 exec, exec, s[14:15]
	s_and_b64 s[14:15], s[16:17], exec
.LBB52_72:
	s_or_b64 exec, exec, s[12:13]
	s_waitcnt lgkmcnt(0)
	v_or_b32_e32 v26, v32, v31
	s_and_b64 s[12:13], s[14:15], exec
	v_mov_b32_e32 v31, v26
.LBB52_73:
	s_or_b64 exec, exec, s[10:11]
	s_and_b64 vcc, exec, s[2:3]
	v_cmp_ne_u32_e64 s[2:3], 0, v0
	s_cbranch_vccnz .LBB52_75
	s_branch .LBB52_78
.LBB52_74:
	s_mov_b64 s[12:13], 0
                                        ; implicit-def: $sgpr8_sgpr9
                                        ; implicit-def: $vgpr9_vgpr10_vgpr11_vgpr12
                                        ; implicit-def: $vgpr5_vgpr6_vgpr7_vgpr8
                                        ; implicit-def: $vgpr33
                                        ; implicit-def: $vgpr26
                                        ; implicit-def: $vgpr1_vgpr2_vgpr3_vgpr4
                                        ; implicit-def: $vgpr31
	s_and_b64 vcc, exec, s[2:3]
	v_cmp_ne_u32_e64 s[2:3], 0, v0
	s_cbranch_vccz .LBB52_78
.LBB52_75:
	v_lshlrev_b32_e32 v5, 2, v0
	v_mov_b32_e32 v1, s51
	v_add_co_u32_e32 v3, vcc, s50, v5
	v_addc_co_u32_e32 v4, vcc, 0, v1, vcc
	v_add_co_u32_e32 v1, vcc, 0x1000, v3
	v_addc_co_u32_e32 v2, vcc, 0, v4, vcc
	global_load_dword v6, v5, s[50:51]
	global_load_dword v7, v5, s[50:51] offset:1024
	global_load_dword v8, v5, s[50:51] offset:2048
	;; [unrolled: 1-line block ×3, first 2 shown]
	global_load_dword v10, v[1:2], off
	global_load_dword v11, v[1:2], off offset:1024
	global_load_dword v12, v[1:2], off offset:2048
	;; [unrolled: 1-line block ×3, first 2 shown]
	v_add_co_u32_e32 v1, vcc, 0x2000, v3
	v_addc_co_u32_e32 v2, vcc, 0, v4, vcc
	v_add_co_u32_e32 v3, vcc, 0x3000, v3
	v_addc_co_u32_e32 v4, vcc, 0, v4, vcc
	global_load_dword v14, v[1:2], off
	global_load_dword v15, v[1:2], off offset:1024
	global_load_dword v16, v[1:2], off offset:2048
	;; [unrolled: 1-line block ×3, first 2 shown]
	global_load_dword v19, v[3:4], off
	global_load_dword v20, v[3:4], off offset:1024
	s_sub_u32 s8, 0, s6
	s_subb_u32 s9, 0, 0
	s_cmp_eq_u64 s[44:45], s[8:9]
	s_cselect_b32 s8, 0, -4
	s_cselect_b32 s9, 0, -1
	s_add_u32 s8, s50, s8
	v_mad_u32_u24 v21, v0, 52, v5
	s_addc_u32 s9, s51, s9
	s_movk_i32 s10, 0xffcc
	s_movk_i32 s7, 0x1000
	v_mad_i32_i24 v17, v0, s10, v21
	s_waitcnt vmcnt(12)
	ds_write2st64_b32 v5, v6, v7 offset1:4
	s_waitcnt vmcnt(10)
	ds_write2st64_b32 v5, v8, v9 offset0:8 offset1:12
	s_waitcnt vmcnt(8)
	ds_write2st64_b32 v5, v10, v11 offset0:16 offset1:20
	;; [unrolled: 2-line block ×6, first 2 shown]
	s_waitcnt lgkmcnt(0)
	s_barrier
	ds_read2_b32 v[13:14], v21 offset0:11 offset1:12
	ds_read_b32 v19, v21 offset:52
	ds_read2_b64 v[9:12], v21 offset1:1
	ds_read2_b64 v[5:8], v21 offset0:2 offset1:3
	ds_read2_b64 v[1:4], v21 offset0:4 offset1:5
	ds_read2_b32 v[15:16], v21 offset0:9 offset1:10
	s_load_dword s8, s[8:9], 0x0
	s_waitcnt lgkmcnt(0)
	ds_write_b32 v17, v19 offset:14336
	s_waitcnt lgkmcnt(0)
	s_barrier
	v_mov_b32_e32 v18, s8
	s_and_saveexec_b64 s[8:9], s[2:3]
; %bb.76:
	ds_read_b32 v18, v17 offset:14332
; %bb.77:
	s_or_b64 exec, exec, s[8:9]
	v_lshlrev_b32_e32 v22, 1, v0
	v_mov_b32_e32 v20, s37
	v_add_co_u32_e32 v21, vcc, s36, v22
	v_addc_co_u32_e32 v23, vcc, 0, v20, vcc
	v_add_co_u32_e32 v20, vcc, s7, v21
	v_addc_co_u32_e32 v21, vcc, 0, v23, vcc
	s_waitcnt lgkmcnt(0)
	s_barrier
	global_load_ushort v24, v22, s[36:37]
	global_load_ushort v25, v22, s[36:37] offset:512
	global_load_ushort v26, v22, s[36:37] offset:1024
	global_load_ushort v27, v22, s[36:37] offset:1536
	global_load_ushort v28, v22, s[36:37] offset:2048
	global_load_ushort v29, v22, s[36:37] offset:2560
	global_load_ushort v30, v22, s[36:37] offset:3072
	global_load_ushort v31, v22, s[36:37] offset:3584
	global_load_ushort v23, v[20:21], off
	global_load_ushort v32, v[20:21], off offset:512
	global_load_ushort v33, v[20:21], off offset:1024
	;; [unrolled: 1-line block ×5, first 2 shown]
	v_cmp_ne_u32_e64 s[8:9], v14, v19
	v_mov_b32_e32 v19, 0x10000
	v_cmp_eq_u32_e32 vcc, v18, v9
	v_cndmask_b32_e64 v20, v19, 0, vcc
	v_cmp_ne_u32_e32 vcc, v10, v11
	v_cndmask_b32_e32 v21, 0, v19, vcc
	v_cmp_ne_u32_e32 vcc, v12, v5
	v_sub_u32_e32 v17, v17, v22
	v_cndmask_b32_e32 v22, 0, v19, vcc
	v_cmp_ne_u32_e32 vcc, v9, v10
	v_cndmask_b32_e32 v9, 0, v19, vcc
	v_cmp_ne_u32_e32 vcc, v11, v12
	;; [unrolled: 2-line block ×9, first 2 shown]
	v_mad_u32_u24 v7, v0, 26, v17
	v_cndmask_b32_e32 v1, 0, v19, vcc
	v_cmp_ne_u32_e32 vcc, v3, v13
	v_cndmask_b32_e32 v3, 0, v19, vcc
	s_mov_b32 s2, 0xffff
	s_mov_b64 s[12:13], -1
	s_waitcnt vmcnt(13)
	ds_write_b16 v17, v24
	s_waitcnt vmcnt(12)
	ds_write_b16 v17, v25 offset:512
	s_waitcnt vmcnt(11)
	ds_write_b16 v17, v26 offset:1024
	;; [unrolled: 2-line block ×13, first 2 shown]
	s_waitcnt lgkmcnt(0)
	s_barrier
	ds_read_u16 v8, v7
	ds_read_b128 v[14:17], v7 offset:2
	ds_read_b64 v[18:19], v7 offset:18
	ds_read_u16 v33, v7 offset:26
	s_waitcnt lgkmcnt(3)
	v_or_b32_e32 v26, v20, v8
	s_waitcnt lgkmcnt(2)
	v_and_or_b32 v11, v15, s2, v10
	v_and_or_b32 v9, v14, s2, v9
	v_or_b32_sdwa v12, v22, v15 dst_sel:DWORD dst_unused:UNUSED_PAD src0_sel:DWORD src1_sel:WORD_1
	v_or_b32_sdwa v10, v21, v14 dst_sel:DWORD dst_unused:UNUSED_PAD src0_sel:DWORD src1_sel:WORD_1
	v_and_or_b32 v7, v17, s2, v6
	v_and_or_b32 v5, v16, s2, v5
	v_or_b32_sdwa v8, v38, v17 dst_sel:DWORD dst_unused:UNUSED_PAD src0_sel:DWORD src1_sel:WORD_1
	v_or_b32_sdwa v6, v37, v16 dst_sel:DWORD dst_unused:UNUSED_PAD src0_sel:DWORD src1_sel:WORD_1
	s_waitcnt lgkmcnt(1)
	v_and_or_b32 v3, v19, s2, v3
	v_and_or_b32 v1, v18, s2, v1
	v_or_b32_sdwa v4, v4, v19 dst_sel:DWORD dst_unused:UNUSED_PAD src0_sel:DWORD src1_sel:WORD_1
	v_or_b32_sdwa v2, v2, v18 dst_sel:DWORD dst_unused:UNUSED_PAD src0_sel:DWORD src1_sel:WORD_1
	v_mov_b32_e32 v31, v26
.LBB52_78:
	v_mov_b32_e32 v14, 0
	s_and_saveexec_b64 s[2:3], s[12:13]
	s_cbranch_execz .LBB52_80
; %bb.79:
	v_mov_b32_e32 v13, 0x10000
	v_cndmask_b32_e64 v13, 0, v13, s[8:9]
	s_waitcnt lgkmcnt(0)
	v_or_b32_sdwa v14, v13, v33 dst_sel:DWORD dst_unused:UNUSED_PAD src0_sel:DWORD src1_sel:WORD_0
	v_mov_b32_e32 v31, v26
.LBB52_80:
	s_or_b64 exec, exec, s[2:3]
	s_cmp_lg_u32 s6, 0
	s_waitcnt lgkmcnt(0)
	s_barrier
	s_cbranch_scc0 .LBB52_358
; %bb.81:
	s_mov_b32 s2, 0x10000
	v_cmp_gt_u32_e64 s[2:3], s2, v9
	v_mov_b32_e32 v13, v9
	s_and_saveexec_b64 s[8:9], s[2:3]
	s_cbranch_execz .LBB52_87
; %bb.82:
	v_lshlrev_b32_e32 v13, 16, v31
	v_lshlrev_b32_e32 v15, 16, v9
	v_add_f32_e32 v13, v15, v13
	s_mov_b32 s7, 0x7f800000
	v_and_b32_e32 v15, 0x7f800000, v13
	v_cmp_ne_u32_e32 vcc, s7, v15
                                        ; implicit-def: $vgpr15
	s_and_saveexec_b64 s[10:11], vcc
	s_xor_b64 s[10:11], exec, s[10:11]
; %bb.83:
	v_bfe_u32 v15, v13, 16, 1
	s_movk_i32 s7, 0x7fff
	v_add3_u32 v15, v13, v15, s7
                                        ; implicit-def: $vgpr13
; %bb.84:
	s_andn2_saveexec_b64 s[10:11], s[10:11]
; %bb.85:
	v_mov_b32_e32 v15, 0
	v_or_b32_e32 v16, 0x10000, v13
	v_cmp_eq_u32_sdwa vcc, v13, v15 src0_sel:WORD_0 src1_sel:DWORD
	v_cndmask_b32_e32 v15, v16, v13, vcc
; %bb.86:
	s_or_b64 exec, exec, s[10:11]
	v_lshrrev_b32_e32 v13, 16, v15
.LBB52_87:
	s_or_b64 exec, exec, s[8:9]
	s_mov_b32 s7, 0x10000
	v_cmp_gt_u32_e64 s[34:35], s7, v10
	v_mov_b32_e32 v15, v10
	s_and_saveexec_b64 s[8:9], s[34:35]
	s_cbranch_execz .LBB52_93
; %bb.88:
	v_lshlrev_b32_e32 v13, 16, v13
	v_lshlrev_b32_e32 v15, 16, v10
	v_add_f32_e32 v13, v15, v13
	s_mov_b32 s7, 0x7f800000
	v_and_b32_e32 v15, 0x7f800000, v13
	v_cmp_ne_u32_e32 vcc, s7, v15
                                        ; implicit-def: $vgpr15
	s_and_saveexec_b64 s[10:11], vcc
	s_xor_b64 s[10:11], exec, s[10:11]
; %bb.89:
	v_bfe_u32 v15, v13, 16, 1
	s_movk_i32 s7, 0x7fff
	v_add3_u32 v15, v13, v15, s7
                                        ; implicit-def: $vgpr13
; %bb.90:
	s_andn2_saveexec_b64 s[10:11], s[10:11]
; %bb.91:
	v_mov_b32_e32 v15, 0
	v_or_b32_e32 v16, 0x10000, v13
	v_cmp_eq_u32_sdwa vcc, v13, v15 src0_sel:WORD_0 src1_sel:DWORD
	v_cndmask_b32_e32 v15, v16, v13, vcc
; %bb.92:
	s_or_b64 exec, exec, s[10:11]
	v_lshrrev_b32_e32 v15, 16, v15
.LBB52_93:
	s_or_b64 exec, exec, s[8:9]
	;; [unrolled: 32-line block ×13, first 2 shown]
	v_or_b32_e32 v16, v7, v8
	v_or3_b32 v16, v16, v6, v5
	v_or_b32_e32 v13, v3, v4
	v_or3_b32 v16, v16, v12, v11
	v_or3_b32 v13, v13, v2, v1
	;; [unrolled: 1-line block ×4, first 2 shown]
	v_and_b32_e32 v13, 0xff0000, v13
	v_and_b32_e32 v17, 0x10000, v31
	v_mov_b32_e32 v16, 0x10000
	v_cmp_eq_u32_e32 vcc, 0, v13
	v_cndmask_b32_e32 v18, v16, v17, vcc
	v_or_b32_sdwa v13, v15, v18 dst_sel:DWORD dst_unused:UNUSED_PAD src0_sel:WORD_0 src1_sel:DWORD
	v_cmp_eq_u32_e32 vcc, 0, v18
	v_mov_b32_e32 v17, v15
	v_mov_b32_dpp v19, v13 row_shr:1 row_mask:0xf bank_mask:0xf
	s_and_saveexec_b64 s[30:31], vcc
	s_xor_b64 s[30:31], exec, s[30:31]
	s_cbranch_execz .LBB52_165
; %bb.160:
	v_mov_b32_e32 v17, 16
	v_lshlrev_b32_e32 v16, 16, v19
	v_lshlrev_b32_sdwa v17, v17, v15 dst_sel:DWORD dst_unused:UNUSED_PAD src0_sel:DWORD src1_sel:WORD_0
	v_add_f32_e32 v16, v17, v16
	s_mov_b32 s7, 0x7f800000
	v_and_b32_e32 v17, 0x7f800000, v16
	v_cmp_ne_u32_e32 vcc, s7, v17
                                        ; implicit-def: $vgpr17
	s_and_saveexec_b64 s[36:37], vcc
	s_xor_b64 s[36:37], exec, s[36:37]
; %bb.161:
	v_bfe_u32 v17, v16, 16, 1
	s_movk_i32 s7, 0x7fff
	v_add3_u32 v17, v16, v17, s7
                                        ; implicit-def: $vgpr16
; %bb.162:
	s_andn2_saveexec_b64 s[36:37], s[36:37]
; %bb.163:
	v_mov_b32_e32 v17, 0
	v_or_b32_e32 v20, 0x10000, v16
	v_cmp_eq_u32_sdwa vcc, v16, v17 src0_sel:WORD_0 src1_sel:DWORD
	v_cndmask_b32_e32 v17, v20, v16, vcc
; %bb.164:
	s_or_b64 exec, exec, s[36:37]
	v_lshrrev_b32_e32 v17, 16, v17
.LBB52_165:
	s_or_b64 exec, exec, s[30:31]
	v_and_b32_e32 v21, 0x10000, v18
	v_mov_b32_e32 v22, 1
	v_mbcnt_lo_u32_b32 v16, -1, 0
	v_and_b32_sdwa v19, v19, v22 dst_sel:DWORD dst_unused:UNUSED_PAD src0_sel:WORD_1 src1_sel:DWORD
	v_cmp_ne_u32_e32 vcc, 0, v21
	v_mbcnt_hi_u32_b32 v16, -1, v16
	v_cndmask_b32_e64 v19, v19, 1, vcc
	v_and_b32_e32 v20, 15, v16
	v_lshlrev_b32_e32 v21, 16, v19
	v_or_b32_sdwa v21, v21, v17 dst_sel:DWORD dst_unused:UNUSED_PAD src0_sel:DWORD src1_sel:WORD_0
	v_cmp_eq_u32_e32 vcc, 0, v20
	v_cndmask_b32_e32 v13, v21, v13, vcc
	s_mov_b32 s7, 0x10000
	v_cmp_gt_u32_e64 s[30:31], s7, v13
	v_mov_b32_dpp v21, v13 row_shr:2 row_mask:0xf bank_mask:0xf
	v_mov_b32_e32 v22, v13
	s_and_saveexec_b64 s[36:37], s[30:31]
	s_cbranch_execz .LBB52_171
; %bb.166:
	v_lshlrev_b32_e32 v22, 16, v21
	v_lshlrev_b32_e32 v23, 16, v13
	v_add_f32_e32 v22, v22, v23
	s_mov_b32 s7, 0x7f800000
	v_and_b32_e32 v23, 0x7f800000, v22
	v_cmp_ne_u32_e64 s[30:31], s7, v23
                                        ; implicit-def: $vgpr23
	s_and_saveexec_b64 s[44:45], s[30:31]
	s_xor_b64 s[30:31], exec, s[44:45]
; %bb.167:
	v_bfe_u32 v23, v22, 16, 1
	s_movk_i32 s7, 0x7fff
	v_add3_u32 v23, v22, v23, s7
                                        ; implicit-def: $vgpr22
; %bb.168:
	s_andn2_saveexec_b64 s[44:45], s[30:31]
; %bb.169:
	v_mov_b32_e32 v23, 0
	v_or_b32_e32 v24, 0x10000, v22
	v_cmp_eq_u32_sdwa s[30:31], v22, v23 src0_sel:WORD_0 src1_sel:DWORD
	v_cndmask_b32_e64 v23, v24, v22, s[30:31]
; %bb.170:
	s_or_b64 exec, exec, s[44:45]
	v_lshrrev_b32_e32 v22, 16, v23
.LBB52_171:
	s_or_b64 exec, exec, s[36:37]
	v_cndmask_b32_e32 v17, v17, v15, vcc
	v_cndmask_b32_sdwa v15, v19, v18, vcc dst_sel:DWORD dst_unused:UNUSED_PAD src0_sel:DWORD src1_sel:WORD_1
	v_lshrrev_b32_e32 v18, 16, v13
	v_cmp_lt_u32_e32 vcc, 1, v20
	v_mov_b32_e32 v19, v13
	s_and_saveexec_b64 s[30:31], vcc
	s_cbranch_execz .LBB52_173
; %bb.172:
	v_and_b32_e32 v13, 0x10000, v13
	v_mov_b32_e32 v15, 1
	v_and_b32_sdwa v15, v21, v15 dst_sel:DWORD dst_unused:UNUSED_PAD src0_sel:WORD_1 src1_sel:DWORD
	v_cmp_ne_u32_e32 vcc, 0, v13
	v_cndmask_b32_e64 v15, v15, 1, vcc
	v_lshlrev_b32_e32 v13, 16, v15
	v_or_b32_sdwa v19, v13, v22 dst_sel:DWORD dst_unused:UNUSED_PAD src0_sel:DWORD src1_sel:WORD_0
	v_mov_b32_e32 v17, v22
	v_mov_b32_e32 v18, v15
	;; [unrolled: 1-line block ×3, first 2 shown]
.LBB52_173:
	s_or_b64 exec, exec, s[30:31]
	v_mov_b32_dpp v21, v19 row_shr:4 row_mask:0xf bank_mask:0xf
	v_cmp_eq_u16_e32 vcc, 0, v18
	v_mov_b32_e32 v22, v13
	s_and_saveexec_b64 s[30:31], vcc
	s_cbranch_execz .LBB52_179
; %bb.174:
	v_lshlrev_b32_e32 v22, 16, v21
	v_lshlrev_b32_e32 v23, 16, v13
	v_add_f32_e32 v22, v23, v22
	s_mov_b32 s7, 0x7f800000
	v_and_b32_e32 v23, 0x7f800000, v22
	v_cmp_ne_u32_e32 vcc, s7, v23
                                        ; implicit-def: $vgpr23
	s_and_saveexec_b64 s[36:37], vcc
	s_xor_b64 s[36:37], exec, s[36:37]
; %bb.175:
	v_bfe_u32 v23, v22, 16, 1
	s_movk_i32 s7, 0x7fff
	v_add3_u32 v23, v22, v23, s7
                                        ; implicit-def: $vgpr22
; %bb.176:
	s_andn2_saveexec_b64 s[36:37], s[36:37]
; %bb.177:
	v_mov_b32_e32 v23, 0
	v_or_b32_e32 v24, 0x10000, v22
	v_cmp_eq_u32_sdwa vcc, v22, v23 src0_sel:WORD_0 src1_sel:DWORD
	v_cndmask_b32_e32 v23, v24, v22, vcc
; %bb.178:
	s_or_b64 exec, exec, s[36:37]
	v_lshrrev_b32_e32 v22, 16, v23
.LBB52_179:
	s_or_b64 exec, exec, s[30:31]
	v_cmp_lt_u32_e32 vcc, 3, v20
	s_and_saveexec_b64 s[30:31], vcc
	s_cbranch_execz .LBB52_181
; %bb.180:
	v_and_b32_e32 v13, 1, v18
	v_mov_b32_e32 v15, 1
	v_and_b32_sdwa v15, v21, v15 dst_sel:DWORD dst_unused:UNUSED_PAD src0_sel:WORD_1 src1_sel:DWORD
	v_cmp_eq_u32_e32 vcc, 1, v13
	v_cndmask_b32_e64 v15, v15, 1, vcc
	v_lshlrev_b32_e32 v13, 16, v15
	v_or_b32_sdwa v19, v13, v22 dst_sel:DWORD dst_unused:UNUSED_PAD src0_sel:DWORD src1_sel:WORD_0
	v_mov_b32_e32 v17, v22
	v_mov_b32_e32 v18, v15
	;; [unrolled: 1-line block ×3, first 2 shown]
.LBB52_181:
	s_or_b64 exec, exec, s[30:31]
	v_mov_b32_dpp v21, v19 row_shr:8 row_mask:0xf bank_mask:0xf
	v_cmp_eq_u16_e32 vcc, 0, v18
	v_mov_b32_e32 v22, v13
	s_and_saveexec_b64 s[30:31], vcc
	s_cbranch_execz .LBB52_187
; %bb.182:
	v_lshlrev_b32_e32 v22, 16, v21
	v_lshlrev_b32_e32 v23, 16, v13
	v_add_f32_e32 v22, v23, v22
	s_mov_b32 s7, 0x7f800000
	v_and_b32_e32 v23, 0x7f800000, v22
	v_cmp_ne_u32_e32 vcc, s7, v23
                                        ; implicit-def: $vgpr23
	s_and_saveexec_b64 s[36:37], vcc
	s_xor_b64 s[36:37], exec, s[36:37]
; %bb.183:
	v_bfe_u32 v23, v22, 16, 1
	s_movk_i32 s7, 0x7fff
	v_add3_u32 v23, v22, v23, s7
                                        ; implicit-def: $vgpr22
; %bb.184:
	s_andn2_saveexec_b64 s[36:37], s[36:37]
; %bb.185:
	v_mov_b32_e32 v23, 0
	v_or_b32_e32 v24, 0x10000, v22
	v_cmp_eq_u32_sdwa vcc, v22, v23 src0_sel:WORD_0 src1_sel:DWORD
	v_cndmask_b32_e32 v23, v24, v22, vcc
; %bb.186:
	s_or_b64 exec, exec, s[36:37]
	v_lshrrev_b32_e32 v22, 16, v23
.LBB52_187:
	s_or_b64 exec, exec, s[30:31]
	v_cmp_lt_u32_e32 vcc, 7, v20
	s_and_saveexec_b64 s[30:31], vcc
	s_cbranch_execz .LBB52_189
; %bb.188:
	v_and_b32_e32 v13, 1, v18
	v_mov_b32_e32 v15, 1
	v_and_b32_sdwa v15, v21, v15 dst_sel:DWORD dst_unused:UNUSED_PAD src0_sel:WORD_1 src1_sel:DWORD
	v_cmp_eq_u32_e32 vcc, 1, v13
	v_cndmask_b32_e64 v15, v15, 1, vcc
	v_lshlrev_b32_e32 v13, 16, v15
	v_or_b32_sdwa v19, v13, v22 dst_sel:DWORD dst_unused:UNUSED_PAD src0_sel:DWORD src1_sel:WORD_0
	v_mov_b32_e32 v17, v22
	v_mov_b32_e32 v18, v15
	;; [unrolled: 1-line block ×3, first 2 shown]
.LBB52_189:
	s_or_b64 exec, exec, s[30:31]
	v_mov_b32_dpp v20, v19 row_bcast:15 row_mask:0xf bank_mask:0xf
	v_cmp_eq_u16_e32 vcc, 0, v18
	v_mov_b32_e32 v21, v13
	s_and_saveexec_b64 s[30:31], vcc
	s_cbranch_execz .LBB52_195
; %bb.190:
	v_lshlrev_b32_e32 v21, 16, v20
	v_lshlrev_b32_e32 v22, 16, v13
	v_add_f32_e32 v21, v22, v21
	s_mov_b32 s7, 0x7f800000
	v_and_b32_e32 v22, 0x7f800000, v21
	v_cmp_ne_u32_e32 vcc, s7, v22
                                        ; implicit-def: $vgpr22
	s_and_saveexec_b64 s[36:37], vcc
	s_xor_b64 s[36:37], exec, s[36:37]
; %bb.191:
	v_bfe_u32 v22, v21, 16, 1
	s_movk_i32 s7, 0x7fff
	v_add3_u32 v22, v21, v22, s7
                                        ; implicit-def: $vgpr21
; %bb.192:
	s_andn2_saveexec_b64 s[36:37], s[36:37]
; %bb.193:
	v_mov_b32_e32 v22, 0
	v_or_b32_e32 v23, 0x10000, v21
	v_cmp_eq_u32_sdwa vcc, v21, v22 src0_sel:WORD_0 src1_sel:DWORD
	v_cndmask_b32_e32 v22, v23, v21, vcc
; %bb.194:
	s_or_b64 exec, exec, s[36:37]
	v_lshrrev_b32_e32 v21, 16, v22
.LBB52_195:
	s_or_b64 exec, exec, s[30:31]
	v_and_b32_e32 v22, 16, v16
	v_cmp_ne_u32_e32 vcc, 0, v22
	s_and_saveexec_b64 s[30:31], vcc
	s_cbranch_execz .LBB52_197
; %bb.196:
	v_and_b32_e32 v13, 1, v18
	v_mov_b32_e32 v15, 1
	v_and_b32_sdwa v15, v20, v15 dst_sel:DWORD dst_unused:UNUSED_PAD src0_sel:WORD_1 src1_sel:DWORD
	v_cmp_eq_u32_e32 vcc, 1, v13
	v_cndmask_b32_e64 v15, v15, 1, vcc
	v_lshlrev_b32_e32 v13, 16, v15
	v_or_b32_sdwa v19, v13, v21 dst_sel:DWORD dst_unused:UNUSED_PAD src0_sel:DWORD src1_sel:WORD_0
	v_mov_b32_e32 v17, v21
	v_mov_b32_e32 v18, v15
	v_mov_b32_e32 v13, v21
.LBB52_197:
	s_or_b64 exec, exec, s[30:31]
	v_mov_b32_dpp v19, v19 row_bcast:31 row_mask:0xf bank_mask:0xf
	v_cmp_eq_u16_e32 vcc, 0, v18
	s_and_saveexec_b64 s[30:31], vcc
	s_cbranch_execz .LBB52_203
; %bb.198:
	v_lshlrev_b32_e32 v20, 16, v19
	v_lshlrev_b32_e32 v13, 16, v13
	v_add_f32_e32 v13, v13, v20
	s_mov_b32 s7, 0x7f800000
	v_and_b32_e32 v20, 0x7f800000, v13
	v_cmp_ne_u32_e32 vcc, s7, v20
                                        ; implicit-def: $vgpr20
	s_and_saveexec_b64 s[36:37], vcc
	s_xor_b64 s[36:37], exec, s[36:37]
; %bb.199:
	v_bfe_u32 v20, v13, 16, 1
	s_movk_i32 s7, 0x7fff
	v_add3_u32 v20, v13, v20, s7
                                        ; implicit-def: $vgpr13
; %bb.200:
	s_andn2_saveexec_b64 s[36:37], s[36:37]
; %bb.201:
	v_mov_b32_e32 v20, 0
	v_or_b32_e32 v21, 0x10000, v13
	v_cmp_eq_u32_sdwa vcc, v13, v20 src0_sel:WORD_0 src1_sel:DWORD
	v_cndmask_b32_e32 v20, v21, v13, vcc
; %bb.202:
	s_or_b64 exec, exec, s[36:37]
	v_lshrrev_b32_e32 v13, 16, v20
.LBB52_203:
	s_or_b64 exec, exec, s[30:31]
	v_and_b32_e32 v18, 1, v18
	v_mov_b32_e32 v20, 1
	v_and_b32_sdwa v19, v19, v20 dst_sel:DWORD dst_unused:UNUSED_PAD src0_sel:WORD_1 src1_sel:DWORD
	v_cmp_eq_u32_e32 vcc, 1, v18
	v_cndmask_b32_e64 v18, v19, 1, vcc
	v_cmp_lt_u32_e32 vcc, 31, v16
	v_cndmask_b32_e32 v17, v17, v13, vcc
	v_cndmask_b32_e32 v15, v15, v18, vcc
	v_lshrrev_b32_e32 v13, 6, v0
	v_or_b32_e32 v18, 63, v0
	v_cmp_eq_u32_e32 vcc, v0, v18
	v_lshlrev_b32_e32 v18, 2, v13
	s_and_saveexec_b64 s[30:31], vcc
	s_cbranch_execz .LBB52_205
; %bb.204:
	ds_write_b16 v18, v17
	ds_write_b8 v18, v15 offset:2
.LBB52_205:
	s_or_b64 exec, exec, s[30:31]
	v_cmp_gt_u32_e32 vcc, 4, v0
	s_waitcnt lgkmcnt(0)
	s_barrier
	s_and_saveexec_b64 s[30:31], vcc
	s_cbranch_execz .LBB52_221
; %bb.206:
	v_lshlrev_b32_e32 v13, 2, v0
	ds_read_b32 v19, v13
	v_mov_b32_e32 v21, 0
	s_waitcnt lgkmcnt(0)
	v_lshrrev_b32_e32 v20, 16, v19
	v_mov_b32_dpp v22, v19 row_shr:1 row_mask:0xf bank_mask:0xf
	v_cmp_eq_u16_sdwa s[44:45], v20, v21 src0_sel:BYTE_0 src1_sel:DWORD
	v_mov_b32_e32 v24, v19
	s_and_saveexec_b64 s[36:37], s[44:45]
	s_cbranch_execz .LBB52_212
; %bb.207:
	v_lshlrev_b32_e32 v21, 16, v22
	v_lshlrev_b32_e32 v23, 16, v19
	v_add_f32_e32 v21, v23, v21
	s_mov_b32 s7, 0x7f800000
	v_and_b32_e32 v23, 0x7f800000, v21
	v_cmp_ne_u32_e32 vcc, s7, v23
                                        ; implicit-def: $vgpr23
	s_and_saveexec_b64 s[44:45], vcc
	s_xor_b64 s[44:45], exec, s[44:45]
; %bb.208:
	v_bfe_u32 v23, v21, 16, 1
	s_movk_i32 s7, 0x7fff
	v_add3_u32 v23, v21, v23, s7
                                        ; implicit-def: $vgpr21
; %bb.209:
	s_andn2_saveexec_b64 s[44:45], s[44:45]
; %bb.210:
	v_mov_b32_e32 v23, 0
	v_or_b32_e32 v24, 0x10000, v21
	v_cmp_eq_u32_sdwa vcc, v21, v23 src0_sel:WORD_0 src1_sel:DWORD
	v_cndmask_b32_e32 v23, v24, v21, vcc
; %bb.211:
	s_or_b64 exec, exec, s[44:45]
	v_lshrrev_b32_e32 v24, 16, v23
.LBB52_212:
	s_or_b64 exec, exec, s[36:37]
	v_and_b32_e32 v21, 3, v16
	v_cmp_ne_u32_e32 vcc, 0, v21
	v_mov_b32_e32 v23, v19
	s_and_saveexec_b64 s[36:37], vcc
	s_cbranch_execz .LBB52_214
; %bb.213:
	v_and_b32_e32 v23, 0xff000000, v19
	v_and_b32_e32 v19, 0x10000, v19
	v_mov_b32_e32 v20, 1
	v_and_b32_sdwa v20, v22, v20 dst_sel:DWORD dst_unused:UNUSED_PAD src0_sel:WORD_1 src1_sel:DWORD
	v_cmp_ne_u32_e32 vcc, 0, v19
	v_cndmask_b32_e64 v20, v20, 1, vcc
	v_lshlrev_b32_e32 v19, 16, v20
	v_and_b32_e32 v22, 0xffff, v24
	v_or3_b32 v23, v19, v23, v22
	v_mov_b32_e32 v19, v24
.LBB52_214:
	s_or_b64 exec, exec, s[36:37]
	v_and_b32_e32 v24, 0xff0000, v23
	v_mov_b32_dpp v22, v23 row_shr:2 row_mask:0xf bank_mask:0xf
	v_cmp_eq_u32_e32 vcc, 0, v24
	v_mov_b32_e32 v24, v23
	s_and_saveexec_b64 s[36:37], vcc
	s_cbranch_execz .LBB52_220
; %bb.215:
	v_lshlrev_b32_e32 v24, 16, v22
	v_lshlrev_b32_e32 v25, 16, v23
	v_add_f32_e32 v24, v25, v24
	s_mov_b32 s7, 0x7f800000
	v_and_b32_e32 v25, 0x7f800000, v24
	v_cmp_ne_u32_e32 vcc, s7, v25
                                        ; implicit-def: $vgpr25
	s_and_saveexec_b64 s[44:45], vcc
	s_xor_b64 s[44:45], exec, s[44:45]
; %bb.216:
	v_bfe_u32 v25, v24, 16, 1
	s_movk_i32 s7, 0x7fff
	v_add3_u32 v25, v24, v25, s7
                                        ; implicit-def: $vgpr24
; %bb.217:
	s_andn2_saveexec_b64 s[44:45], s[44:45]
; %bb.218:
	v_mov_b32_e32 v25, 0
	v_or_b32_e32 v26, 0x10000, v24
	v_cmp_eq_u32_sdwa vcc, v24, v25 src0_sel:WORD_0 src1_sel:DWORD
	v_cndmask_b32_e32 v25, v26, v24, vcc
; %bb.219:
	s_or_b64 exec, exec, s[44:45]
	v_lshrrev_b32_e32 v24, 16, v25
.LBB52_220:
	s_or_b64 exec, exec, s[36:37]
	v_and_b32_e32 v23, 0x10000, v23
	v_mov_b32_e32 v25, 1
	v_and_b32_sdwa v22, v22, v25 dst_sel:DWORD dst_unused:UNUSED_PAD src0_sel:WORD_1 src1_sel:DWORD
	v_cmp_eq_u32_e32 vcc, 0, v23
	v_cndmask_b32_e32 v22, 1, v22, vcc
	v_cmp_lt_u32_e32 vcc, 1, v21
	v_cndmask_b32_e32 v19, v19, v24, vcc
	v_cndmask_b32_e32 v20, v20, v22, vcc
	ds_write_b16 v13, v19
	ds_write_b8 v13, v20 offset:2
.LBB52_221:
	s_or_b64 exec, exec, s[30:31]
	v_cmp_gt_u32_e32 vcc, 64, v0
	v_cmp_lt_u32_e64 s[30:31], 63, v0
	v_mov_b32_e32 v13, 0
	v_mov_b32_e32 v25, 0
	s_waitcnt lgkmcnt(0)
	s_barrier
	s_and_saveexec_b64 s[36:37], s[30:31]
	s_cbranch_execz .LBB52_229
; %bb.222:
	v_add_u32_e32 v13, -4, v18
	v_add_u32_e32 v18, -2, v18
	ds_read_u16 v25, v13
	ds_read_u8 v13, v18
	v_cmp_eq_u16_e64 s[30:31], 0, v15
	s_and_saveexec_b64 s[44:45], s[30:31]
	s_cbranch_execz .LBB52_228
; %bb.223:
	s_waitcnt lgkmcnt(1)
	v_lshlrev_b32_e32 v18, 16, v25
	v_lshlrev_b32_e32 v17, 16, v17
	v_add_f32_e32 v17, v17, v18
	s_mov_b32 s7, 0x7f800000
	v_and_b32_e32 v18, 0x7f800000, v17
	v_cmp_ne_u32_e64 s[30:31], s7, v18
                                        ; implicit-def: $vgpr18
	s_and_saveexec_b64 s[46:47], s[30:31]
	s_xor_b64 s[30:31], exec, s[46:47]
; %bb.224:
	v_bfe_u32 v18, v17, 16, 1
	s_movk_i32 s7, 0x7fff
	v_add3_u32 v18, v17, v18, s7
                                        ; implicit-def: $vgpr17
; %bb.225:
	s_andn2_saveexec_b64 s[46:47], s[30:31]
; %bb.226:
	v_mov_b32_e32 v18, 0
	v_or_b32_e32 v19, 0x10000, v17
	v_cmp_eq_u32_sdwa s[30:31], v17, v18 src0_sel:WORD_0 src1_sel:DWORD
	v_cndmask_b32_e64 v18, v19, v17, s[30:31]
; %bb.227:
	s_or_b64 exec, exec, s[46:47]
	v_lshrrev_b32_e32 v17, 16, v18
.LBB52_228:
	s_or_b64 exec, exec, s[44:45]
	v_and_b32_e32 v15, 1, v15
	v_cmp_eq_u32_e64 s[30:31], 1, v15
	s_waitcnt lgkmcnt(0)
	v_cndmask_b32_e64 v15, v13, 1, s[30:31]
.LBB52_229:
	s_or_b64 exec, exec, s[36:37]
	v_and_b32_e32 v15, 0xff, v15
	v_and_b32_e32 v17, 0xffff, v17
	v_lshl_or_b32 v15, v15, 16, v17
	v_subrev_co_u32_e64 v17, s[30:31], 1, v16
	v_and_b32_e32 v18, 64, v16
	v_cmp_lt_i32_e64 s[36:37], v17, v18
	v_cndmask_b32_e64 v17, v17, v16, s[36:37]
	v_lshlrev_b32_e32 v17, 2, v17
	ds_bpermute_b32 v26, v17, v15
	s_and_saveexec_b64 s[36:37], vcc
	s_cbranch_execz .LBB52_369
; %bb.230:
	v_mov_b32_e32 v19, 0
	ds_read_b32 v15, v19 offset:12
	s_waitcnt lgkmcnt(0)
	v_readfirstlane_b32 s7, v15
	s_and_saveexec_b64 s[44:45], s[30:31]
	s_cbranch_execz .LBB52_232
; %bb.231:
	s_add_i32 s46, s6, 64
	s_mov_b32 s47, 0
	s_lshl_b64 s[46:47], s[46:47], 3
	s_add_u32 s46, s40, s46
	v_mov_b32_e32 v17, s7
	v_mov_b32_e32 v18, 1
	s_addc_u32 s47, s41, s47
	global_store_dwordx2 v19, v[17:18], s[46:47]
.LBB52_232:
	s_or_b64 exec, exec, s[44:45]
	v_xad_u32 v15, v16, -1, s6
	v_add_u32_e32 v18, 64, v15
	v_lshlrev_b64 v[17:18], 3, v[18:19]
	v_mov_b32_e32 v20, s41
	v_add_co_u32_e32 v23, vcc, s40, v17
	v_addc_co_u32_e32 v24, vcc, v20, v18, vcc
	global_load_dwordx2 v[17:18], v[23:24], off glc
	s_waitcnt vmcnt(0)
	v_mov_b32_e32 v22, v18
	v_cmp_eq_u16_sdwa s[46:47], v18, v19 src0_sel:BYTE_0 src1_sel:DWORD
	v_mov_b32_e32 v21, v17
	s_and_saveexec_b64 s[44:45], s[46:47]
	s_cbranch_execz .LBB52_236
; %bb.233:
	s_mov_b64 s[46:47], 0
	v_mov_b32_e32 v19, 0
.LBB52_234:                             ; =>This Inner Loop Header: Depth=1
	global_load_dwordx2 v[17:18], v[23:24], off glc
	s_waitcnt vmcnt(0)
	v_cmp_ne_u16_sdwa s[50:51], v18, v19 src0_sel:BYTE_0 src1_sel:DWORD
	s_or_b64 s[46:47], s[50:51], s[46:47]
	s_andn2_b64 exec, exec, s[46:47]
	s_cbranch_execnz .LBB52_234
; %bb.235:
	s_or_b64 exec, exec, s[46:47]
	v_mov_b32_e32 v22, v18
	v_mov_b32_e32 v21, v17
.LBB52_236:
	s_or_b64 exec, exec, s[44:45]
	v_mov_b32_e32 v17, 2
	v_lshlrev_b64 v[19:20], v16, -1
	v_cmp_eq_u16_sdwa s[44:45], v18, v17 src0_sel:BYTE_0 src1_sel:DWORD
	v_and_b32_e32 v17, s45, v20
	v_or_b32_e32 v17, 0x80000000, v17
	v_and_b32_e32 v22, s44, v19
	v_ffbl_b32_e32 v17, v17
	v_and_b32_e32 v34, 63, v16
	v_add_u32_e32 v17, 32, v17
	v_ffbl_b32_e32 v22, v22
	v_cmp_ne_u32_e32 vcc, 63, v34
	v_min_u32_e32 v17, v22, v17
	v_addc_co_u32_e32 v22, vcc, 0, v16, vcc
	v_and_b32_e32 v36, 0xffffff, v21
	v_lshlrev_b32_e32 v23, 2, v22
	ds_bpermute_b32 v27, v23, v36
	v_add_u32_e32 v24, 1, v16
	v_lshrrev_b32_e32 v42, 16, v21
	v_cmp_le_u32_e32 vcc, v24, v17
	v_bfe_u32 v22, v21, 16, 8
	s_and_saveexec_b64 s[44:45], vcc
	s_cbranch_execz .LBB52_244
; %bb.237:
	v_and_b32_e32 v22, 0xff0000, v21
	v_cmp_eq_u32_e32 vcc, 0, v22
	s_and_saveexec_b64 s[46:47], vcc
	s_cbranch_execz .LBB52_243
; %bb.238:
	s_waitcnt lgkmcnt(0)
	v_lshlrev_b32_e32 v28, 16, v27
	v_lshlrev_b32_e32 v21, 16, v21
	v_add_f32_e32 v21, v21, v28
	s_mov_b32 s43, 0x7f800000
	v_and_b32_e32 v28, 0x7f800000, v21
	v_cmp_ne_u32_e32 vcc, s43, v28
                                        ; implicit-def: $vgpr28
	s_and_saveexec_b64 s[50:51], vcc
	s_xor_b64 s[50:51], exec, s[50:51]
; %bb.239:
	v_bfe_u32 v28, v21, 16, 1
	s_movk_i32 s43, 0x7fff
	v_add3_u32 v28, v21, v28, s43
                                        ; implicit-def: $vgpr21
; %bb.240:
	s_andn2_saveexec_b64 s[50:51], s[50:51]
; %bb.241:
	v_mov_b32_e32 v28, 0
	v_or_b32_e32 v29, 0x10000, v21
	v_cmp_eq_u32_sdwa vcc, v21, v28 src0_sel:WORD_0 src1_sel:DWORD
	v_cndmask_b32_e32 v28, v29, v21, vcc
; %bb.242:
	s_or_b64 exec, exec, s[50:51]
	v_lshrrev_b32_e32 v21, 16, v28
.LBB52_243:
	s_or_b64 exec, exec, s[46:47]
	v_and_b32_e32 v22, 0x10000, v22
	v_mov_b32_e32 v28, 1
	s_waitcnt lgkmcnt(0)
	v_and_b32_sdwa v27, v27, v28 dst_sel:DWORD dst_unused:UNUSED_PAD src0_sel:WORD_1 src1_sel:DWORD
	v_cmp_ne_u32_e32 vcc, 0, v22
	v_cndmask_b32_e64 v22, v27, 1, vcc
	v_lshlrev_b32_e32 v27, 16, v22
	v_or_b32_sdwa v36, v27, v21 dst_sel:DWORD dst_unused:UNUSED_PAD src0_sel:DWORD src1_sel:WORD_0
	v_mov_b32_e32 v42, v22
.LBB52_244:
	s_or_b64 exec, exec, s[44:45]
	v_cmp_gt_u32_e32 vcc, 62, v34
	s_waitcnt lgkmcnt(0)
	v_cndmask_b32_e64 v27, 0, 2, vcc
	v_add_lshl_u32 v27, v27, v16, 2
	ds_bpermute_b32 v29, v27, v36
	v_add_u32_e32 v28, 2, v16
	v_cmp_le_u32_e32 vcc, v28, v17
	s_and_saveexec_b64 s[44:45], vcc
	s_cbranch_execz .LBB52_252
; %bb.245:
	v_cmp_eq_u16_e32 vcc, 0, v22
	s_and_saveexec_b64 s[46:47], vcc
	s_cbranch_execz .LBB52_251
; %bb.246:
	s_waitcnt lgkmcnt(0)
	v_lshlrev_b32_e32 v30, 16, v29
	v_lshlrev_b32_e32 v21, 16, v21
	v_add_f32_e32 v21, v21, v30
	s_mov_b32 s43, 0x7f800000
	v_and_b32_e32 v30, 0x7f800000, v21
	v_cmp_ne_u32_e32 vcc, s43, v30
                                        ; implicit-def: $vgpr30
	s_and_saveexec_b64 s[50:51], vcc
	s_xor_b64 s[50:51], exec, s[50:51]
; %bb.247:
	v_bfe_u32 v30, v21, 16, 1
	s_movk_i32 s43, 0x7fff
	v_add3_u32 v30, v21, v30, s43
                                        ; implicit-def: $vgpr21
; %bb.248:
	s_andn2_saveexec_b64 s[50:51], s[50:51]
; %bb.249:
	v_mov_b32_e32 v30, 0
	v_or_b32_e32 v32, 0x10000, v21
	v_cmp_eq_u32_sdwa vcc, v21, v30 src0_sel:WORD_0 src1_sel:DWORD
	v_cndmask_b32_e32 v30, v32, v21, vcc
; %bb.250:
	s_or_b64 exec, exec, s[50:51]
	v_lshrrev_b32_e32 v21, 16, v30
.LBB52_251:
	s_or_b64 exec, exec, s[46:47]
	v_and_b32_e32 v22, 1, v22
	v_mov_b32_e32 v30, 1
	s_waitcnt lgkmcnt(0)
	v_and_b32_sdwa v29, v29, v30 dst_sel:DWORD dst_unused:UNUSED_PAD src0_sel:WORD_1 src1_sel:DWORD
	v_cmp_eq_u32_e32 vcc, 1, v22
	v_cndmask_b32_e64 v22, v29, 1, vcc
	v_lshlrev_b32_e32 v29, 16, v22
	v_or_b32_sdwa v36, v29, v21 dst_sel:DWORD dst_unused:UNUSED_PAD src0_sel:DWORD src1_sel:WORD_0
	v_mov_b32_e32 v42, v22
.LBB52_252:
	s_or_b64 exec, exec, s[44:45]
	v_cmp_gt_u32_e32 vcc, 60, v34
	s_waitcnt lgkmcnt(0)
	v_cndmask_b32_e64 v29, 0, 4, vcc
	v_add_lshl_u32 v29, v29, v16, 2
	ds_bpermute_b32 v32, v29, v36
	v_add_u32_e32 v30, 4, v16
	v_cmp_le_u32_e32 vcc, v30, v17
	s_and_saveexec_b64 s[44:45], vcc
	s_cbranch_execz .LBB52_260
; %bb.253:
	v_cmp_eq_u16_e32 vcc, 0, v22
	s_and_saveexec_b64 s[46:47], vcc
	s_cbranch_execz .LBB52_259
; %bb.254:
	s_waitcnt lgkmcnt(0)
	v_lshlrev_b32_e32 v33, 16, v32
	v_lshlrev_b32_e32 v21, 16, v21
	v_add_f32_e32 v21, v21, v33
	s_mov_b32 s43, 0x7f800000
	v_and_b32_e32 v33, 0x7f800000, v21
	v_cmp_ne_u32_e32 vcc, s43, v33
                                        ; implicit-def: $vgpr33
	s_and_saveexec_b64 s[50:51], vcc
	s_xor_b64 s[50:51], exec, s[50:51]
; %bb.255:
	v_bfe_u32 v33, v21, 16, 1
	s_movk_i32 s43, 0x7fff
	v_add3_u32 v33, v21, v33, s43
                                        ; implicit-def: $vgpr21
; %bb.256:
	s_andn2_saveexec_b64 s[50:51], s[50:51]
; %bb.257:
	v_mov_b32_e32 v33, 0
	v_or_b32_e32 v35, 0x10000, v21
	v_cmp_eq_u32_sdwa vcc, v21, v33 src0_sel:WORD_0 src1_sel:DWORD
	v_cndmask_b32_e32 v33, v35, v21, vcc
; %bb.258:
	s_or_b64 exec, exec, s[50:51]
	v_lshrrev_b32_e32 v21, 16, v33
.LBB52_259:
	s_or_b64 exec, exec, s[46:47]
	v_and_b32_e32 v22, 1, v22
	v_mov_b32_e32 v33, 1
	s_waitcnt lgkmcnt(0)
	v_and_b32_sdwa v32, v32, v33 dst_sel:DWORD dst_unused:UNUSED_PAD src0_sel:WORD_1 src1_sel:DWORD
	v_cmp_eq_u32_e32 vcc, 1, v22
	v_cndmask_b32_e64 v22, v32, 1, vcc
	v_lshlrev_b32_e32 v32, 16, v22
	v_or_b32_sdwa v36, v32, v21 dst_sel:DWORD dst_unused:UNUSED_PAD src0_sel:DWORD src1_sel:WORD_0
	v_mov_b32_e32 v42, v22
.LBB52_260:
	s_or_b64 exec, exec, s[44:45]
	v_cmp_gt_u32_e32 vcc, 56, v34
	s_waitcnt lgkmcnt(0)
	v_cndmask_b32_e64 v32, 0, 8, vcc
	v_add_lshl_u32 v32, v32, v16, 2
	ds_bpermute_b32 v35, v32, v36
	v_add_u32_e32 v33, 8, v16
	v_cmp_le_u32_e32 vcc, v33, v17
	s_and_saveexec_b64 s[44:45], vcc
	s_cbranch_execz .LBB52_268
; %bb.261:
	v_cmp_eq_u16_e32 vcc, 0, v22
	s_and_saveexec_b64 s[46:47], vcc
	s_cbranch_execz .LBB52_267
; %bb.262:
	s_waitcnt lgkmcnt(0)
	v_lshlrev_b32_e32 v36, 16, v35
	v_lshlrev_b32_e32 v21, 16, v21
	v_add_f32_e32 v21, v21, v36
	s_mov_b32 s43, 0x7f800000
	v_and_b32_e32 v36, 0x7f800000, v21
	v_cmp_ne_u32_e32 vcc, s43, v36
                                        ; implicit-def: $vgpr36
	s_and_saveexec_b64 s[50:51], vcc
	s_xor_b64 s[50:51], exec, s[50:51]
; %bb.263:
	v_bfe_u32 v36, v21, 16, 1
	s_movk_i32 s43, 0x7fff
	v_add3_u32 v36, v21, v36, s43
                                        ; implicit-def: $vgpr21
; %bb.264:
	s_andn2_saveexec_b64 s[50:51], s[50:51]
; %bb.265:
	v_mov_b32_e32 v36, 0
	v_or_b32_e32 v37, 0x10000, v21
	v_cmp_eq_u32_sdwa vcc, v21, v36 src0_sel:WORD_0 src1_sel:DWORD
	v_cndmask_b32_e32 v36, v37, v21, vcc
; %bb.266:
	s_or_b64 exec, exec, s[50:51]
	v_lshrrev_b32_e32 v21, 16, v36
.LBB52_267:
	s_or_b64 exec, exec, s[46:47]
	v_and_b32_e32 v22, 1, v22
	v_mov_b32_e32 v36, 1
	s_waitcnt lgkmcnt(0)
	v_and_b32_sdwa v35, v35, v36 dst_sel:DWORD dst_unused:UNUSED_PAD src0_sel:WORD_1 src1_sel:DWORD
	v_cmp_eq_u32_e32 vcc, 1, v22
	v_cndmask_b32_e64 v22, v35, 1, vcc
	v_lshlrev_b32_e32 v35, 16, v22
	v_or_b32_sdwa v36, v35, v21 dst_sel:DWORD dst_unused:UNUSED_PAD src0_sel:DWORD src1_sel:WORD_0
	v_mov_b32_e32 v42, v22
.LBB52_268:
	s_or_b64 exec, exec, s[44:45]
	v_cmp_gt_u32_e32 vcc, 48, v34
	v_cndmask_b32_e64 v34, 0, 16, vcc
	v_add_lshl_u32 v34, v34, v16, 2
	ds_bpermute_b32 v37, v34, v36
	s_waitcnt lgkmcnt(1)
	v_add_u32_e32 v35, 16, v16
	v_cmp_le_u32_e32 vcc, v35, v17
	s_and_saveexec_b64 s[44:45], vcc
	s_cbranch_execz .LBB52_276
; %bb.269:
	v_cmp_eq_u16_e32 vcc, 0, v22
	s_and_saveexec_b64 s[46:47], vcc
	s_cbranch_execz .LBB52_275
; %bb.270:
	s_waitcnt lgkmcnt(0)
	v_lshlrev_b32_e32 v36, 16, v37
	v_lshlrev_b32_e32 v21, 16, v21
	v_add_f32_e32 v21, v21, v36
	s_mov_b32 s43, 0x7f800000
	v_and_b32_e32 v36, 0x7f800000, v21
	v_cmp_ne_u32_e32 vcc, s43, v36
                                        ; implicit-def: $vgpr36
	s_and_saveexec_b64 s[50:51], vcc
	s_xor_b64 s[50:51], exec, s[50:51]
; %bb.271:
	v_bfe_u32 v36, v21, 16, 1
	s_movk_i32 s43, 0x7fff
	v_add3_u32 v36, v21, v36, s43
                                        ; implicit-def: $vgpr21
; %bb.272:
	s_andn2_saveexec_b64 s[50:51], s[50:51]
; %bb.273:
	v_mov_b32_e32 v36, 0
	v_or_b32_e32 v38, 0x10000, v21
	v_cmp_eq_u32_sdwa vcc, v21, v36 src0_sel:WORD_0 src1_sel:DWORD
	v_cndmask_b32_e32 v36, v38, v21, vcc
; %bb.274:
	s_or_b64 exec, exec, s[50:51]
	v_lshrrev_b32_e32 v21, 16, v36
.LBB52_275:
	s_or_b64 exec, exec, s[46:47]
	v_and_b32_e32 v22, 1, v22
	v_mov_b32_e32 v36, 1
	s_waitcnt lgkmcnt(0)
	v_and_b32_sdwa v36, v37, v36 dst_sel:DWORD dst_unused:UNUSED_PAD src0_sel:WORD_1 src1_sel:DWORD
	v_cmp_eq_u32_e32 vcc, 1, v22
	v_cndmask_b32_e64 v22, v36, 1, vcc
	v_lshlrev_b32_e32 v36, 16, v22
	v_or_b32_sdwa v36, v36, v21 dst_sel:DWORD dst_unused:UNUSED_PAD src0_sel:DWORD src1_sel:WORD_0
	v_mov_b32_e32 v42, v22
.LBB52_276:
	s_or_b64 exec, exec, s[44:45]
	s_waitcnt lgkmcnt(0)
	v_mov_b32_e32 v37, 0x80
	v_lshl_or_b32 v38, v16, 2, v37
	ds_bpermute_b32 v36, v38, v36
	v_add_u32_e32 v39, 32, v16
	v_cmp_le_u32_e32 vcc, v39, v17
	s_and_saveexec_b64 s[44:45], vcc
	s_cbranch_execz .LBB52_284
; %bb.277:
	v_cmp_eq_u16_e32 vcc, 0, v22
	s_and_saveexec_b64 s[46:47], vcc
	s_cbranch_execz .LBB52_283
; %bb.278:
	s_waitcnt lgkmcnt(0)
	v_lshlrev_b32_e32 v16, 16, v36
	v_lshlrev_b32_e32 v17, 16, v21
	v_add_f32_e32 v16, v17, v16
	s_mov_b32 s43, 0x7f800000
	v_and_b32_e32 v17, 0x7f800000, v16
	v_cmp_ne_u32_e32 vcc, s43, v17
                                        ; implicit-def: $vgpr17
	s_and_saveexec_b64 s[50:51], vcc
	s_xor_b64 s[50:51], exec, s[50:51]
; %bb.279:
	v_bfe_u32 v17, v16, 16, 1
	s_movk_i32 s43, 0x7fff
	v_add3_u32 v17, v16, v17, s43
                                        ; implicit-def: $vgpr16
; %bb.280:
	s_andn2_saveexec_b64 s[50:51], s[50:51]
; %bb.281:
	v_mov_b32_e32 v17, 0
	v_or_b32_e32 v21, 0x10000, v16
	v_cmp_eq_u32_sdwa vcc, v16, v17 src0_sel:WORD_0 src1_sel:DWORD
	v_cndmask_b32_e32 v17, v21, v16, vcc
; %bb.282:
	s_or_b64 exec, exec, s[50:51]
	v_lshrrev_b32_e32 v21, 16, v17
.LBB52_283:
	s_or_b64 exec, exec, s[46:47]
	v_and_b32_e32 v16, 1, v22
	v_mov_b32_e32 v17, 1
	s_waitcnt lgkmcnt(0)
	v_and_b32_sdwa v17, v36, v17 dst_sel:DWORD dst_unused:UNUSED_PAD src0_sel:WORD_1 src1_sel:DWORD
	v_cmp_eq_u32_e32 vcc, 1, v16
	v_cndmask_b32_e64 v42, v17, 1, vcc
.LBB52_284:
	s_or_b64 exec, exec, s[44:45]
	v_mov_b32_e32 v16, 0
	s_mov_b32 s43, 0x7f800000
	s_movk_i32 s52, 0x7fff
	v_mov_b32_e32 v40, 2
	v_mov_b32_e32 v41, 1
	s_branch .LBB52_288
.LBB52_285:                             ;   in Loop: Header=BB52_288 Depth=1
	s_or_b64 exec, exec, s[46:47]
	v_lshrrev_b32_e32 v21, 16, v21
.LBB52_286:                             ;   in Loop: Header=BB52_288 Depth=1
	s_or_b64 exec, exec, s[44:45]
	v_and_b32_e32 v17, 1, v36
	v_and_b32_e32 v22, 1, v42
	v_cmp_eq_u32_e32 vcc, 1, v17
	v_subrev_u32_e32 v15, 64, v15
	v_cndmask_b32_e64 v42, v22, 1, vcc
	s_mov_b64 s[44:45], 0
.LBB52_287:                             ;   in Loop: Header=BB52_288 Depth=1
	s_and_b64 vcc, exec, s[44:45]
	s_cbranch_vccnz .LBB52_359
.LBB52_288:                             ; =>This Loop Header: Depth=1
                                        ;     Child Loop BB52_291 Depth 2
	v_cmp_ne_u16_sdwa s[44:45], v18, v40 src0_sel:BYTE_0 src1_sel:DWORD
	s_waitcnt lgkmcnt(0)
	v_mov_b32_e32 v36, v42
	v_mov_b32_e32 v37, v21
	s_cmp_lg_u64 s[44:45], exec
	s_mov_b64 s[44:45], -1
                                        ; implicit-def: $vgpr42
                                        ; implicit-def: $vgpr21
                                        ; implicit-def: $vgpr18
	s_cbranch_scc1 .LBB52_287
; %bb.289:                              ;   in Loop: Header=BB52_288 Depth=1
	v_lshlrev_b64 v[17:18], 3, v[15:16]
	v_mov_b32_e32 v22, s41
	v_add_co_u32_e32 v21, vcc, s40, v17
	v_addc_co_u32_e32 v22, vcc, v22, v18, vcc
	global_load_dwordx2 v[17:18], v[21:22], off glc
	s_waitcnt vmcnt(0)
	v_cmp_eq_u16_sdwa s[46:47], v18, v16 src0_sel:BYTE_0 src1_sel:DWORD
	s_and_saveexec_b64 s[44:45], s[46:47]
	s_cbranch_execz .LBB52_293
; %bb.290:                              ;   in Loop: Header=BB52_288 Depth=1
	s_mov_b64 s[46:47], 0
.LBB52_291:                             ;   Parent Loop BB52_288 Depth=1
                                        ; =>  This Inner Loop Header: Depth=2
	global_load_dwordx2 v[17:18], v[21:22], off glc
	s_waitcnt vmcnt(0)
	v_cmp_ne_u16_sdwa s[50:51], v18, v16 src0_sel:BYTE_0 src1_sel:DWORD
	s_or_b64 s[46:47], s[50:51], s[46:47]
	s_andn2_b64 exec, exec, s[46:47]
	s_cbranch_execnz .LBB52_291
; %bb.292:                              ;   in Loop: Header=BB52_288 Depth=1
	s_or_b64 exec, exec, s[46:47]
.LBB52_293:                             ;   in Loop: Header=BB52_288 Depth=1
	s_or_b64 exec, exec, s[44:45]
	v_cmp_eq_u16_sdwa s[44:45], v18, v40 src0_sel:BYTE_0 src1_sel:DWORD
	v_and_b32_e32 v21, s45, v20
	v_and_b32_e32 v43, 0xffffff, v17
	v_or_b32_e32 v21, 0x80000000, v21
	ds_bpermute_b32 v44, v23, v43
	v_and_b32_e32 v22, s44, v19
	v_ffbl_b32_e32 v21, v21
	v_add_u32_e32 v21, 32, v21
	v_ffbl_b32_e32 v22, v22
	v_min_u32_e32 v21, v22, v21
	v_lshrrev_b32_e32 v42, 16, v17
	v_cmp_le_u32_e32 vcc, v24, v21
	v_bfe_u32 v22, v17, 16, 8
	s_and_saveexec_b64 s[44:45], vcc
	s_cbranch_execz .LBB52_301
; %bb.294:                              ;   in Loop: Header=BB52_288 Depth=1
	v_and_b32_e32 v22, 0xff0000, v17
	v_cmp_eq_u32_e32 vcc, 0, v22
	s_and_saveexec_b64 s[46:47], vcc
	s_cbranch_execz .LBB52_300
; %bb.295:                              ;   in Loop: Header=BB52_288 Depth=1
	s_waitcnt lgkmcnt(0)
	v_lshlrev_b32_e32 v42, 16, v44
	v_lshlrev_b32_e32 v17, 16, v17
	v_add_f32_e32 v17, v17, v42
	v_and_b32_e32 v42, 0x7f800000, v17
	v_cmp_ne_u32_e32 vcc, s43, v42
                                        ; implicit-def: $vgpr42
	s_and_saveexec_b64 s[50:51], vcc
	s_xor_b64 s[50:51], exec, s[50:51]
; %bb.296:                              ;   in Loop: Header=BB52_288 Depth=1
	v_bfe_u32 v42, v17, 16, 1
	v_add3_u32 v42, v17, v42, s52
                                        ; implicit-def: $vgpr17
; %bb.297:                              ;   in Loop: Header=BB52_288 Depth=1
	s_andn2_saveexec_b64 s[50:51], s[50:51]
; %bb.298:                              ;   in Loop: Header=BB52_288 Depth=1
	v_or_b32_e32 v42, 0x10000, v17
	v_cmp_eq_u32_sdwa vcc, v17, v16 src0_sel:WORD_0 src1_sel:DWORD
	v_cndmask_b32_e32 v42, v42, v17, vcc
; %bb.299:                              ;   in Loop: Header=BB52_288 Depth=1
	s_or_b64 exec, exec, s[50:51]
	v_lshrrev_b32_e32 v17, 16, v42
.LBB52_300:                             ;   in Loop: Header=BB52_288 Depth=1
	s_or_b64 exec, exec, s[46:47]
	v_and_b32_e32 v22, 0x10000, v22
	s_waitcnt lgkmcnt(0)
	v_and_b32_sdwa v42, v44, v41 dst_sel:DWORD dst_unused:UNUSED_PAD src0_sel:WORD_1 src1_sel:DWORD
	v_cmp_ne_u32_e32 vcc, 0, v22
	v_cndmask_b32_e64 v22, v42, 1, vcc
	v_lshlrev_b32_e32 v42, 16, v22
	v_or_b32_sdwa v43, v42, v17 dst_sel:DWORD dst_unused:UNUSED_PAD src0_sel:DWORD src1_sel:WORD_0
	v_mov_b32_e32 v42, v22
.LBB52_301:                             ;   in Loop: Header=BB52_288 Depth=1
	s_or_b64 exec, exec, s[44:45]
	s_waitcnt lgkmcnt(0)
	ds_bpermute_b32 v44, v27, v43
	v_cmp_le_u32_e32 vcc, v28, v21
	s_and_saveexec_b64 s[44:45], vcc
	s_cbranch_execz .LBB52_309
; %bb.302:                              ;   in Loop: Header=BB52_288 Depth=1
	v_cmp_eq_u16_e32 vcc, 0, v22
	s_and_saveexec_b64 s[46:47], vcc
	s_cbranch_execz .LBB52_308
; %bb.303:                              ;   in Loop: Header=BB52_288 Depth=1
	s_waitcnt lgkmcnt(0)
	v_lshlrev_b32_e32 v42, 16, v44
	v_lshlrev_b32_e32 v17, 16, v17
	v_add_f32_e32 v17, v17, v42
	v_and_b32_e32 v42, 0x7f800000, v17
	v_cmp_ne_u32_e32 vcc, s43, v42
                                        ; implicit-def: $vgpr42
	s_and_saveexec_b64 s[50:51], vcc
	s_xor_b64 s[50:51], exec, s[50:51]
; %bb.304:                              ;   in Loop: Header=BB52_288 Depth=1
	v_bfe_u32 v42, v17, 16, 1
	v_add3_u32 v42, v17, v42, s52
                                        ; implicit-def: $vgpr17
; %bb.305:                              ;   in Loop: Header=BB52_288 Depth=1
	s_andn2_saveexec_b64 s[50:51], s[50:51]
; %bb.306:                              ;   in Loop: Header=BB52_288 Depth=1
	v_or_b32_e32 v42, 0x10000, v17
	v_cmp_eq_u32_sdwa vcc, v17, v16 src0_sel:WORD_0 src1_sel:DWORD
	v_cndmask_b32_e32 v42, v42, v17, vcc
; %bb.307:                              ;   in Loop: Header=BB52_288 Depth=1
	s_or_b64 exec, exec, s[50:51]
	v_lshrrev_b32_e32 v17, 16, v42
.LBB52_308:                             ;   in Loop: Header=BB52_288 Depth=1
	s_or_b64 exec, exec, s[46:47]
	v_and_b32_e32 v22, 1, v22
	s_waitcnt lgkmcnt(0)
	v_and_b32_sdwa v42, v44, v41 dst_sel:DWORD dst_unused:UNUSED_PAD src0_sel:WORD_1 src1_sel:DWORD
	v_cmp_eq_u32_e32 vcc, 1, v22
	v_cndmask_b32_e64 v22, v42, 1, vcc
	v_lshlrev_b32_e32 v42, 16, v22
	v_or_b32_sdwa v43, v42, v17 dst_sel:DWORD dst_unused:UNUSED_PAD src0_sel:DWORD src1_sel:WORD_0
	v_mov_b32_e32 v42, v22
.LBB52_309:                             ;   in Loop: Header=BB52_288 Depth=1
	s_or_b64 exec, exec, s[44:45]
	s_waitcnt lgkmcnt(0)
	ds_bpermute_b32 v44, v29, v43
	v_cmp_le_u32_e32 vcc, v30, v21
	s_and_saveexec_b64 s[44:45], vcc
	s_cbranch_execz .LBB52_317
; %bb.310:                              ;   in Loop: Header=BB52_288 Depth=1
	v_cmp_eq_u16_e32 vcc, 0, v22
	s_and_saveexec_b64 s[46:47], vcc
	s_cbranch_execz .LBB52_316
; %bb.311:                              ;   in Loop: Header=BB52_288 Depth=1
	s_waitcnt lgkmcnt(0)
	v_lshlrev_b32_e32 v42, 16, v44
	v_lshlrev_b32_e32 v17, 16, v17
	v_add_f32_e32 v17, v17, v42
	v_and_b32_e32 v42, 0x7f800000, v17
	v_cmp_ne_u32_e32 vcc, s43, v42
                                        ; implicit-def: $vgpr42
	s_and_saveexec_b64 s[50:51], vcc
	s_xor_b64 s[50:51], exec, s[50:51]
; %bb.312:                              ;   in Loop: Header=BB52_288 Depth=1
	v_bfe_u32 v42, v17, 16, 1
	v_add3_u32 v42, v17, v42, s52
                                        ; implicit-def: $vgpr17
; %bb.313:                              ;   in Loop: Header=BB52_288 Depth=1
	s_andn2_saveexec_b64 s[50:51], s[50:51]
; %bb.314:                              ;   in Loop: Header=BB52_288 Depth=1
	v_or_b32_e32 v42, 0x10000, v17
	v_cmp_eq_u32_sdwa vcc, v17, v16 src0_sel:WORD_0 src1_sel:DWORD
	v_cndmask_b32_e32 v42, v42, v17, vcc
; %bb.315:                              ;   in Loop: Header=BB52_288 Depth=1
	s_or_b64 exec, exec, s[50:51]
	v_lshrrev_b32_e32 v17, 16, v42
.LBB52_316:                             ;   in Loop: Header=BB52_288 Depth=1
	s_or_b64 exec, exec, s[46:47]
	v_and_b32_e32 v22, 1, v22
	s_waitcnt lgkmcnt(0)
	v_and_b32_sdwa v42, v44, v41 dst_sel:DWORD dst_unused:UNUSED_PAD src0_sel:WORD_1 src1_sel:DWORD
	v_cmp_eq_u32_e32 vcc, 1, v22
	v_cndmask_b32_e64 v22, v42, 1, vcc
	v_lshlrev_b32_e32 v42, 16, v22
	v_or_b32_sdwa v43, v42, v17 dst_sel:DWORD dst_unused:UNUSED_PAD src0_sel:DWORD src1_sel:WORD_0
	v_mov_b32_e32 v42, v22
.LBB52_317:                             ;   in Loop: Header=BB52_288 Depth=1
	;; [unrolled: 44-line block ×4, first 2 shown]
	s_or_b64 exec, exec, s[44:45]
	ds_bpermute_b32 v43, v38, v43
	v_cmp_le_u32_e32 vcc, v39, v21
	s_and_saveexec_b64 s[44:45], vcc
	s_cbranch_execz .LBB52_341
; %bb.334:                              ;   in Loop: Header=BB52_288 Depth=1
	v_cmp_eq_u16_e32 vcc, 0, v22
	s_and_saveexec_b64 s[46:47], vcc
	s_cbranch_execz .LBB52_340
; %bb.335:                              ;   in Loop: Header=BB52_288 Depth=1
	s_waitcnt lgkmcnt(0)
	v_lshlrev_b32_e32 v21, 16, v43
	v_lshlrev_b32_e32 v17, 16, v17
	v_add_f32_e32 v17, v17, v21
	v_and_b32_e32 v21, 0x7f800000, v17
	v_cmp_ne_u32_e32 vcc, s43, v21
                                        ; implicit-def: $vgpr21
	s_and_saveexec_b64 s[50:51], vcc
	s_xor_b64 s[50:51], exec, s[50:51]
; %bb.336:                              ;   in Loop: Header=BB52_288 Depth=1
	v_bfe_u32 v21, v17, 16, 1
	v_add3_u32 v21, v17, v21, s52
                                        ; implicit-def: $vgpr17
; %bb.337:                              ;   in Loop: Header=BB52_288 Depth=1
	s_andn2_saveexec_b64 s[50:51], s[50:51]
; %bb.338:                              ;   in Loop: Header=BB52_288 Depth=1
	v_or_b32_e32 v21, 0x10000, v17
	v_cmp_eq_u32_sdwa vcc, v17, v16 src0_sel:WORD_0 src1_sel:DWORD
	v_cndmask_b32_e32 v21, v21, v17, vcc
; %bb.339:                              ;   in Loop: Header=BB52_288 Depth=1
	s_or_b64 exec, exec, s[50:51]
	v_lshrrev_b32_e32 v17, 16, v21
.LBB52_340:                             ;   in Loop: Header=BB52_288 Depth=1
	s_or_b64 exec, exec, s[46:47]
	v_and_b32_e32 v21, 1, v22
	s_waitcnt lgkmcnt(0)
	v_lshrrev_b32_e32 v22, 16, v43
	v_cmp_eq_u32_e32 vcc, 1, v21
	v_cndmask_b32_e64 v42, v22, 1, vcc
.LBB52_341:                             ;   in Loop: Header=BB52_288 Depth=1
	s_or_b64 exec, exec, s[44:45]
	v_cmp_eq_u16_sdwa s[46:47], v36, v16 src0_sel:BYTE_0 src1_sel:DWORD
	v_mov_b32_e32 v21, v37
	s_and_saveexec_b64 s[44:45], s[46:47]
	s_cbranch_execz .LBB52_286
; %bb.342:                              ;   in Loop: Header=BB52_288 Depth=1
	v_lshlrev_b32_e32 v17, 16, v17
	v_lshlrev_b32_e32 v21, 16, v37
	v_add_f32_e32 v17, v21, v17
	v_and_b32_e32 v21, 0x7f800000, v17
	v_cmp_ne_u32_e32 vcc, s43, v21
                                        ; implicit-def: $vgpr21
	s_and_saveexec_b64 s[46:47], vcc
	s_xor_b64 s[46:47], exec, s[46:47]
; %bb.343:                              ;   in Loop: Header=BB52_288 Depth=1
	v_bfe_u32 v21, v17, 16, 1
	v_add3_u32 v21, v17, v21, s52
                                        ; implicit-def: $vgpr17
; %bb.344:                              ;   in Loop: Header=BB52_288 Depth=1
	s_andn2_saveexec_b64 s[46:47], s[46:47]
	s_cbranch_execz .LBB52_285
; %bb.345:                              ;   in Loop: Header=BB52_288 Depth=1
	v_or_b32_e32 v21, 0x10000, v17
	v_cmp_eq_u32_sdwa vcc, v17, v16 src0_sel:WORD_0 src1_sel:DWORD
	v_cndmask_b32_e32 v21, v21, v17, vcc
	s_branch .LBB52_285
.LBB52_346:
	s_or_b64 exec, exec, s[46:47]
                                        ; implicit-def: $vgpr6
	s_and_saveexec_b64 s[2:3], s[34:35]
	s_cbranch_execz .LBB52_33
.LBB52_347:
	global_load_ushort v6, v[1:2], off offset:512
	s_or_b64 exec, exec, s[2:3]
                                        ; implicit-def: $vgpr7
	s_and_saveexec_b64 s[2:3], s[8:9]
	s_cbranch_execnz .LBB52_34
.LBB52_348:
	s_or_b64 exec, exec, s[2:3]
                                        ; implicit-def: $vgpr8
	s_and_saveexec_b64 s[2:3], s[10:11]
	s_cbranch_execz .LBB52_35
.LBB52_349:
	global_load_ushort v8, v[1:2], off offset:1536
	s_or_b64 exec, exec, s[2:3]
                                        ; implicit-def: $vgpr9
	s_and_saveexec_b64 s[2:3], s[12:13]
	s_cbranch_execnz .LBB52_36
.LBB52_350:
	s_or_b64 exec, exec, s[2:3]
                                        ; implicit-def: $vgpr10
	s_and_saveexec_b64 s[2:3], s[14:15]
	s_cbranch_execz .LBB52_37
.LBB52_351:
	global_load_ushort v10, v[1:2], off offset:2560
	s_or_b64 exec, exec, s[2:3]
                                        ; implicit-def: $vgpr11
	s_and_saveexec_b64 s[2:3], s[16:17]
	s_cbranch_execnz .LBB52_38
.LBB52_352:
	s_or_b64 exec, exec, s[2:3]
                                        ; implicit-def: $vgpr12
	s_and_saveexec_b64 s[2:3], s[18:19]
	s_cbranch_execz .LBB52_39
.LBB52_353:
	global_load_ushort v12, v[1:2], off offset:3584
	s_or_b64 exec, exec, s[2:3]
                                        ; implicit-def: $vgpr26
	s_and_saveexec_b64 s[2:3], s[20:21]
	s_cbranch_execnz .LBB52_40
.LBB52_354:
	s_or_b64 exec, exec, s[2:3]
                                        ; implicit-def: $vgpr27
	s_and_saveexec_b64 s[2:3], s[22:23]
	s_cbranch_execz .LBB52_41
.LBB52_355:
	v_add_co_u32_e32 v27, vcc, 0x1000, v1
	v_addc_co_u32_e32 v28, vcc, 0, v2, vcc
	global_load_ushort v27, v[27:28], off offset:512
	s_or_b64 exec, exec, s[2:3]
                                        ; implicit-def: $vgpr28
	s_and_saveexec_b64 s[2:3], s[24:25]
	s_cbranch_execnz .LBB52_42
.LBB52_356:
	s_or_b64 exec, exec, s[2:3]
                                        ; implicit-def: $vgpr31
	s_and_saveexec_b64 s[2:3], s[26:27]
	s_cbranch_execz .LBB52_43
.LBB52_357:
	v_add_co_u32_e32 v31, vcc, 0x1000, v1
	v_addc_co_u32_e32 v32, vcc, 0, v2, vcc
	global_load_ushort v31, v[31:32], off offset:1536
	s_or_b64 exec, exec, s[2:3]
                                        ; implicit-def: $vgpr32
	s_and_saveexec_b64 s[2:3], s[28:29]
	s_cbranch_execz .LBB52_45
	s_branch .LBB52_44
.LBB52_358:
                                        ; implicit-def: $vgpr27_vgpr28
                                        ; implicit-def: $vgpr25_vgpr26
                                        ; implicit-def: $vgpr23_vgpr24
                                        ; implicit-def: $vgpr21_vgpr22
                                        ; implicit-def: $vgpr19_vgpr20
                                        ; implicit-def: $vgpr17_vgpr18
                                        ; implicit-def: $vgpr15_vgpr16
	s_cbranch_execnz .LBB52_462
	s_branch .LBB52_665
.LBB52_359:
	s_and_saveexec_b64 s[44:45], s[30:31]
	s_cbranch_execz .LBB52_367
; %bb.360:
	s_and_b32 s43, s7, 0xff0000
	s_cmp_lg_u32 s43, 0
	v_mov_b32_e32 v15, s7
	s_cbranch_scc1 .LBB52_366
; %bb.361:
	v_lshlrev_b32_e32 v15, 16, v37
	s_lshl_b32 s43, s7, 16
	v_add_f32_e32 v15, s43, v15
	s_mov_b32 s43, 0x7f800000
	v_and_b32_e32 v16, 0x7f800000, v15
	v_cmp_ne_u32_e32 vcc, s43, v16
                                        ; implicit-def: $vgpr16
	s_and_saveexec_b64 s[46:47], vcc
	s_xor_b64 s[46:47], exec, s[46:47]
; %bb.362:
	v_bfe_u32 v16, v15, 16, 1
	s_movk_i32 s43, 0x7fff
	v_add3_u32 v16, v15, v16, s43
                                        ; implicit-def: $vgpr15
; %bb.363:
	s_andn2_saveexec_b64 s[46:47], s[46:47]
; %bb.364:
	v_mov_b32_e32 v16, 0
	v_or_b32_e32 v17, 0x10000, v15
	v_cmp_eq_u32_sdwa vcc, v15, v16 src0_sel:WORD_0 src1_sel:DWORD
	v_cndmask_b32_e32 v16, v17, v15, vcc
; %bb.365:
	s_or_b64 exec, exec, s[46:47]
	v_lshrrev_b32_e32 v15, 16, v16
.LBB52_366:
	s_bitcmp0_b32 s7, 16
	s_mov_b32 s7, 0
	v_mov_b32_e32 v16, 1
	s_cselect_b64 vcc, -1, 0
	s_add_i32 s6, s6, 64
	v_and_b32_sdwa v16, v36, v16 dst_sel:WORD_1 dst_unused:UNUSED_PAD src0_sel:DWORD src1_sel:DWORD
	v_mov_b32_e32 v17, 0x10000
	s_lshl_b64 s[6:7], s[6:7], 3
	v_cndmask_b32_e32 v16, v17, v16, vcc
	s_mov_b32 s43, 0xffff
	s_add_u32 s6, s40, s6
	v_and_or_b32 v15, v15, s43, v16
	s_addc_u32 s7, s41, s7
	v_mov_b32_e32 v17, 0
	v_mov_b32_e32 v16, 2
	global_store_dwordx2 v17, v[15:16], s[6:7]
.LBB52_367:
	s_or_b64 exec, exec, s[44:45]
	v_cmp_eq_u32_e32 vcc, 0, v0
	s_and_b64 exec, exec, vcc
	s_cbranch_execz .LBB52_369
; %bb.368:
	v_mov_b32_e32 v15, 0
	ds_write_b16 v15, v37 offset:12
	ds_write_b8 v15, v36 offset:14
.LBB52_369:
	s_or_b64 exec, exec, s[36:37]
	v_mov_b32_e32 v15, 0
	s_waitcnt vmcnt(0) lgkmcnt(0)
	s_barrier
	ds_read_b32 v15, v15 offset:12
	v_lshrrev_b32_e32 v17, 16, v31
	v_cmp_ne_u32_e32 vcc, 0, v0
	v_mov_b32_e32 v16, v31
	s_and_saveexec_b64 s[6:7], vcc
	s_cbranch_execz .LBB52_377
; %bb.370:
	s_mov_b32 s36, 0x10000
	v_cmp_gt_u32_e32 vcc, s36, v31
	v_mov_b32_e32 v16, v31
	s_and_saveexec_b64 s[36:37], vcc
	s_cbranch_execz .LBB52_376
; %bb.371:
	s_mov_b64 vcc, s[30:31]
	v_cndmask_b32_sdwa v16, v26, v25, vcc dst_sel:WORD_1 dst_unused:UNUSED_PAD src0_sel:DWORD src1_sel:DWORD
	v_lshlrev_b32_e32 v17, 16, v31
	v_add_f32_e32 v16, v17, v16
	s_mov_b32 s43, 0x7f800000
	v_and_b32_e32 v17, 0x7f800000, v16
	v_cmp_ne_u32_e32 vcc, s43, v17
                                        ; implicit-def: $vgpr17
	s_and_saveexec_b64 s[44:45], vcc
	s_xor_b64 s[44:45], exec, s[44:45]
; %bb.372:
	v_bfe_u32 v17, v16, 16, 1
	s_movk_i32 s43, 0x7fff
	v_add3_u32 v17, v16, v17, s43
                                        ; implicit-def: $vgpr16
; %bb.373:
	s_andn2_saveexec_b64 s[44:45], s[44:45]
; %bb.374:
	v_mov_b32_e32 v17, 0
	v_or_b32_e32 v18, 0x10000, v16
	v_cmp_eq_u32_sdwa vcc, v16, v17 src0_sel:WORD_0 src1_sel:DWORD
	v_cndmask_b32_e32 v17, v18, v16, vcc
; %bb.375:
	s_or_b64 exec, exec, s[44:45]
	v_lshrrev_b32_e32 v16, 16, v17
.LBB52_376:
	s_or_b64 exec, exec, s[36:37]
	s_mov_b64 vcc, s[30:31]
	v_cndmask_b32_sdwa v13, v26, v13, vcc dst_sel:DWORD dst_unused:UNUSED_PAD src0_sel:WORD_1 src1_sel:DWORD
	v_and_b32_e32 v17, 0x10000, v31
	v_and_b32_e32 v13, 1, v13
	v_cmp_ne_u32_e32 vcc, 0, v17
	v_cndmask_b32_e64 v17, v13, 1, vcc
.LBB52_377:
	s_or_b64 exec, exec, s[6:7]
	v_mov_b32_e32 v13, 0
	v_cmp_eq_u16_sdwa s[30:31], v17, v13 src0_sel:BYTE_0 src1_sel:DWORD
	s_and_saveexec_b64 s[6:7], s[30:31]
	s_cbranch_execz .LBB52_383
; %bb.378:
	s_waitcnt lgkmcnt(0)
	v_lshlrev_b32_e32 v13, 16, v15
	v_lshlrev_b32_e32 v15, 16, v16
	v_add_f32_e32 v13, v13, v15
	s_mov_b32 s30, 0x7f800000
	v_and_b32_e32 v15, 0x7f800000, v13
	v_cmp_ne_u32_e32 vcc, s30, v15
                                        ; implicit-def: $vgpr15
	s_and_saveexec_b64 s[30:31], vcc
	s_xor_b64 s[30:31], exec, s[30:31]
; %bb.379:
	v_bfe_u32 v15, v13, 16, 1
	s_movk_i32 s36, 0x7fff
	v_add3_u32 v15, v13, v15, s36
                                        ; implicit-def: $vgpr13
; %bb.380:
	s_andn2_saveexec_b64 s[30:31], s[30:31]
; %bb.381:
	v_mov_b32_e32 v15, 0
	v_or_b32_e32 v16, 0x10000, v13
	v_cmp_eq_u32_sdwa vcc, v13, v15 src0_sel:WORD_0 src1_sel:DWORD
	v_cndmask_b32_e32 v15, v16, v13, vcc
; %bb.382:
	s_or_b64 exec, exec, s[30:31]
	v_lshrrev_b32_e32 v16, 16, v15
.LBB52_383:
	s_or_b64 exec, exec, s[6:7]
	s_waitcnt lgkmcnt(0)
	v_and_b32_e32 v15, 0xffff, v16
	v_mov_b32_e32 v13, v9
	s_and_saveexec_b64 s[6:7], s[2:3]
	s_cbranch_execz .LBB52_389
; %bb.384:
	v_lshlrev_b32_e32 v13, 16, v15
	v_lshlrev_b32_e32 v16, 16, v9
	v_add_f32_e32 v13, v16, v13
	s_mov_b32 s2, 0x7f800000
	v_and_b32_e32 v16, 0x7f800000, v13
	v_cmp_ne_u32_e32 vcc, s2, v16
                                        ; implicit-def: $vgpr16
	s_and_saveexec_b64 s[2:3], vcc
	s_xor_b64 s[2:3], exec, s[2:3]
; %bb.385:
	v_bfe_u32 v16, v13, 16, 1
	s_movk_i32 s30, 0x7fff
	v_add3_u32 v16, v13, v16, s30
                                        ; implicit-def: $vgpr13
; %bb.386:
	s_andn2_saveexec_b64 s[2:3], s[2:3]
; %bb.387:
	v_mov_b32_e32 v16, 0
	v_or_b32_e32 v17, 0x10000, v13
	v_cmp_eq_u32_sdwa vcc, v13, v16 src0_sel:WORD_0 src1_sel:DWORD
	v_cndmask_b32_e32 v16, v17, v13, vcc
; %bb.388:
	s_or_b64 exec, exec, s[2:3]
	v_lshrrev_b32_e32 v13, 16, v16
.LBB52_389:
	s_or_b64 exec, exec, s[6:7]
	v_and_b32_e32 v16, 0xffff, v13
	v_mov_b32_e32 v13, v10
	s_and_saveexec_b64 s[2:3], s[34:35]
	s_cbranch_execz .LBB52_395
; %bb.390:
	v_lshlrev_b32_e32 v13, 16, v16
	v_lshlrev_b32_e32 v17, 16, v10
	v_add_f32_e32 v13, v17, v13
	s_mov_b32 s6, 0x7f800000
	v_and_b32_e32 v17, 0x7f800000, v13
	v_cmp_ne_u32_e32 vcc, s6, v17
                                        ; implicit-def: $vgpr17
	s_and_saveexec_b64 s[6:7], vcc
	s_xor_b64 s[6:7], exec, s[6:7]
; %bb.391:
	v_bfe_u32 v17, v13, 16, 1
	s_movk_i32 s30, 0x7fff
	v_add3_u32 v17, v13, v17, s30
                                        ; implicit-def: $vgpr13
; %bb.392:
	s_andn2_saveexec_b64 s[6:7], s[6:7]
; %bb.393:
	v_mov_b32_e32 v17, 0
	v_or_b32_e32 v18, 0x10000, v13
	v_cmp_eq_u32_sdwa vcc, v13, v17 src0_sel:WORD_0 src1_sel:DWORD
	v_cndmask_b32_e32 v17, v18, v13, vcc
; %bb.394:
	s_or_b64 exec, exec, s[6:7]
	v_lshrrev_b32_e32 v13, 16, v17
.LBB52_395:
	s_or_b64 exec, exec, s[2:3]
	v_and_b32_e32 v17, 0xffff, v13
	v_mov_b32_e32 v13, v11
	s_and_saveexec_b64 s[2:3], s[8:9]
	s_cbranch_execz .LBB52_401
; %bb.396:
	v_lshlrev_b32_e32 v13, 16, v17
	v_lshlrev_b32_e32 v18, 16, v11
	v_add_f32_e32 v13, v18, v13
	s_mov_b32 s6, 0x7f800000
	v_and_b32_e32 v18, 0x7f800000, v13
	v_cmp_ne_u32_e32 vcc, s6, v18
                                        ; implicit-def: $vgpr18
	s_and_saveexec_b64 s[6:7], vcc
	s_xor_b64 s[6:7], exec, s[6:7]
; %bb.397:
	v_bfe_u32 v18, v13, 16, 1
	s_movk_i32 s8, 0x7fff
	v_add3_u32 v18, v13, v18, s8
                                        ; implicit-def: $vgpr13
; %bb.398:
	s_andn2_saveexec_b64 s[6:7], s[6:7]
; %bb.399:
	v_mov_b32_e32 v18, 0
	v_or_b32_e32 v19, 0x10000, v13
	v_cmp_eq_u32_sdwa vcc, v13, v18 src0_sel:WORD_0 src1_sel:DWORD
	v_cndmask_b32_e32 v18, v19, v13, vcc
; %bb.400:
	s_or_b64 exec, exec, s[6:7]
	v_lshrrev_b32_e32 v13, 16, v18
.LBB52_401:
	s_or_b64 exec, exec, s[2:3]
	v_and_b32_e32 v18, 0xffff, v13
	v_mov_b32_e32 v13, v12
	s_and_saveexec_b64 s[2:3], s[10:11]
	s_cbranch_execz .LBB52_407
; %bb.402:
	v_lshlrev_b32_e32 v13, 16, v18
	v_lshlrev_b32_e32 v19, 16, v12
	v_add_f32_e32 v13, v19, v13
	s_mov_b32 s6, 0x7f800000
	v_and_b32_e32 v19, 0x7f800000, v13
	v_cmp_ne_u32_e32 vcc, s6, v19
                                        ; implicit-def: $vgpr19
	s_and_saveexec_b64 s[6:7], vcc
	s_xor_b64 s[6:7], exec, s[6:7]
; %bb.403:
	v_bfe_u32 v19, v13, 16, 1
	s_movk_i32 s8, 0x7fff
	v_add3_u32 v19, v13, v19, s8
                                        ; implicit-def: $vgpr13
; %bb.404:
	s_andn2_saveexec_b64 s[6:7], s[6:7]
; %bb.405:
	v_mov_b32_e32 v19, 0
	v_or_b32_e32 v20, 0x10000, v13
	v_cmp_eq_u32_sdwa vcc, v13, v19 src0_sel:WORD_0 src1_sel:DWORD
	v_cndmask_b32_e32 v19, v20, v13, vcc
; %bb.406:
	s_or_b64 exec, exec, s[6:7]
	v_lshrrev_b32_e32 v13, 16, v19
.LBB52_407:
	s_or_b64 exec, exec, s[2:3]
	v_and_b32_e32 v19, 0xffff, v13
	v_mov_b32_e32 v13, v5
	s_and_saveexec_b64 s[2:3], s[12:13]
	s_cbranch_execz .LBB52_413
; %bb.408:
	v_lshlrev_b32_e32 v13, 16, v19
	v_lshlrev_b32_e32 v20, 16, v5
	v_add_f32_e32 v13, v20, v13
	s_mov_b32 s6, 0x7f800000
	v_and_b32_e32 v20, 0x7f800000, v13
	v_cmp_ne_u32_e32 vcc, s6, v20
                                        ; implicit-def: $vgpr20
	s_and_saveexec_b64 s[6:7], vcc
	s_xor_b64 s[6:7], exec, s[6:7]
; %bb.409:
	v_bfe_u32 v20, v13, 16, 1
	s_movk_i32 s8, 0x7fff
	v_add3_u32 v20, v13, v20, s8
                                        ; implicit-def: $vgpr13
; %bb.410:
	s_andn2_saveexec_b64 s[6:7], s[6:7]
; %bb.411:
	v_mov_b32_e32 v20, 0
	v_or_b32_e32 v21, 0x10000, v13
	v_cmp_eq_u32_sdwa vcc, v13, v20 src0_sel:WORD_0 src1_sel:DWORD
	v_cndmask_b32_e32 v20, v21, v13, vcc
; %bb.412:
	s_or_b64 exec, exec, s[6:7]
	v_lshrrev_b32_e32 v13, 16, v20
.LBB52_413:
	s_or_b64 exec, exec, s[2:3]
	v_and_b32_e32 v20, 0xffff, v13
	v_mov_b32_e32 v13, v6
	s_and_saveexec_b64 s[2:3], s[14:15]
	s_cbranch_execz .LBB52_419
; %bb.414:
	v_lshlrev_b32_e32 v13, 16, v20
	v_lshlrev_b32_e32 v21, 16, v6
	v_add_f32_e32 v13, v21, v13
	s_mov_b32 s6, 0x7f800000
	v_and_b32_e32 v21, 0x7f800000, v13
	v_cmp_ne_u32_e32 vcc, s6, v21
                                        ; implicit-def: $vgpr21
	s_and_saveexec_b64 s[6:7], vcc
	s_xor_b64 s[6:7], exec, s[6:7]
; %bb.415:
	v_bfe_u32 v21, v13, 16, 1
	s_movk_i32 s8, 0x7fff
	v_add3_u32 v21, v13, v21, s8
                                        ; implicit-def: $vgpr13
; %bb.416:
	s_andn2_saveexec_b64 s[6:7], s[6:7]
; %bb.417:
	v_mov_b32_e32 v21, 0
	v_or_b32_e32 v22, 0x10000, v13
	v_cmp_eq_u32_sdwa vcc, v13, v21 src0_sel:WORD_0 src1_sel:DWORD
	v_cndmask_b32_e32 v21, v22, v13, vcc
; %bb.418:
	s_or_b64 exec, exec, s[6:7]
	v_lshrrev_b32_e32 v13, 16, v21
.LBB52_419:
	s_or_b64 exec, exec, s[2:3]
	v_and_b32_e32 v21, 0xffff, v13
	v_mov_b32_e32 v13, v7
	s_and_saveexec_b64 s[2:3], s[16:17]
	s_cbranch_execz .LBB52_425
; %bb.420:
	v_lshlrev_b32_e32 v13, 16, v21
	v_lshlrev_b32_e32 v22, 16, v7
	v_add_f32_e32 v13, v22, v13
	s_mov_b32 s6, 0x7f800000
	v_and_b32_e32 v22, 0x7f800000, v13
	v_cmp_ne_u32_e32 vcc, s6, v22
                                        ; implicit-def: $vgpr22
	s_and_saveexec_b64 s[6:7], vcc
	s_xor_b64 s[6:7], exec, s[6:7]
; %bb.421:
	v_bfe_u32 v22, v13, 16, 1
	s_movk_i32 s8, 0x7fff
	v_add3_u32 v22, v13, v22, s8
                                        ; implicit-def: $vgpr13
; %bb.422:
	s_andn2_saveexec_b64 s[6:7], s[6:7]
; %bb.423:
	v_mov_b32_e32 v22, 0
	v_or_b32_e32 v23, 0x10000, v13
	v_cmp_eq_u32_sdwa vcc, v13, v22 src0_sel:WORD_0 src1_sel:DWORD
	v_cndmask_b32_e32 v22, v23, v13, vcc
; %bb.424:
	s_or_b64 exec, exec, s[6:7]
	v_lshrrev_b32_e32 v13, 16, v22
.LBB52_425:
	s_or_b64 exec, exec, s[2:3]
	v_and_b32_e32 v22, 0xffff, v13
	v_mov_b32_e32 v13, v8
	s_and_saveexec_b64 s[2:3], s[18:19]
	s_cbranch_execz .LBB52_431
; %bb.426:
	v_lshlrev_b32_e32 v13, 16, v22
	v_lshlrev_b32_e32 v23, 16, v8
	v_add_f32_e32 v13, v23, v13
	s_mov_b32 s6, 0x7f800000
	v_and_b32_e32 v23, 0x7f800000, v13
	v_cmp_ne_u32_e32 vcc, s6, v23
                                        ; implicit-def: $vgpr23
	s_and_saveexec_b64 s[6:7], vcc
	s_xor_b64 s[6:7], exec, s[6:7]
; %bb.427:
	v_bfe_u32 v23, v13, 16, 1
	s_movk_i32 s8, 0x7fff
	v_add3_u32 v23, v13, v23, s8
                                        ; implicit-def: $vgpr13
; %bb.428:
	s_andn2_saveexec_b64 s[6:7], s[6:7]
; %bb.429:
	v_mov_b32_e32 v23, 0
	v_or_b32_e32 v24, 0x10000, v13
	v_cmp_eq_u32_sdwa vcc, v13, v23 src0_sel:WORD_0 src1_sel:DWORD
	v_cndmask_b32_e32 v23, v24, v13, vcc
; %bb.430:
	s_or_b64 exec, exec, s[6:7]
	v_lshrrev_b32_e32 v13, 16, v23
.LBB52_431:
	s_or_b64 exec, exec, s[2:3]
	v_and_b32_e32 v23, 0xffff, v13
	v_mov_b32_e32 v13, v1
	s_and_saveexec_b64 s[2:3], s[20:21]
	s_cbranch_execz .LBB52_437
; %bb.432:
	v_lshlrev_b32_e32 v13, 16, v23
	v_lshlrev_b32_e32 v24, 16, v1
	v_add_f32_e32 v13, v24, v13
	s_mov_b32 s6, 0x7f800000
	v_and_b32_e32 v24, 0x7f800000, v13
	v_cmp_ne_u32_e32 vcc, s6, v24
                                        ; implicit-def: $vgpr24
	s_and_saveexec_b64 s[6:7], vcc
	s_xor_b64 s[6:7], exec, s[6:7]
; %bb.433:
	v_bfe_u32 v24, v13, 16, 1
	s_movk_i32 s8, 0x7fff
	v_add3_u32 v24, v13, v24, s8
                                        ; implicit-def: $vgpr13
; %bb.434:
	s_andn2_saveexec_b64 s[6:7], s[6:7]
; %bb.435:
	v_mov_b32_e32 v24, 0
	v_or_b32_e32 v25, 0x10000, v13
	v_cmp_eq_u32_sdwa vcc, v13, v24 src0_sel:WORD_0 src1_sel:DWORD
	v_cndmask_b32_e32 v24, v25, v13, vcc
; %bb.436:
	s_or_b64 exec, exec, s[6:7]
	v_lshrrev_b32_e32 v13, 16, v24
.LBB52_437:
	s_or_b64 exec, exec, s[2:3]
	v_and_b32_e32 v24, 0xffff, v13
	v_mov_b32_e32 v13, v2
	s_and_saveexec_b64 s[2:3], s[22:23]
	s_cbranch_execz .LBB52_443
; %bb.438:
	v_lshlrev_b32_e32 v13, 16, v24
	v_lshlrev_b32_e32 v25, 16, v2
	v_add_f32_e32 v13, v25, v13
	s_mov_b32 s6, 0x7f800000
	v_and_b32_e32 v25, 0x7f800000, v13
	v_cmp_ne_u32_e32 vcc, s6, v25
                                        ; implicit-def: $vgpr25
	s_and_saveexec_b64 s[6:7], vcc
	s_xor_b64 s[6:7], exec, s[6:7]
; %bb.439:
	v_bfe_u32 v25, v13, 16, 1
	s_movk_i32 s8, 0x7fff
	v_add3_u32 v25, v13, v25, s8
                                        ; implicit-def: $vgpr13
; %bb.440:
	s_andn2_saveexec_b64 s[6:7], s[6:7]
; %bb.441:
	v_mov_b32_e32 v25, 0
	v_or_b32_e32 v26, 0x10000, v13
	v_cmp_eq_u32_sdwa vcc, v13, v25 src0_sel:WORD_0 src1_sel:DWORD
	v_cndmask_b32_e32 v25, v26, v13, vcc
; %bb.442:
	s_or_b64 exec, exec, s[6:7]
	v_lshrrev_b32_e32 v13, 16, v25
.LBB52_443:
	s_or_b64 exec, exec, s[2:3]
	v_and_b32_e32 v25, 0xffff, v13
	v_mov_b32_e32 v13, v3
	s_and_saveexec_b64 s[2:3], s[24:25]
	s_cbranch_execz .LBB52_449
; %bb.444:
	v_lshlrev_b32_e32 v13, 16, v25
	v_lshlrev_b32_e32 v26, 16, v3
	v_add_f32_e32 v13, v26, v13
	s_mov_b32 s6, 0x7f800000
	v_and_b32_e32 v26, 0x7f800000, v13
	v_cmp_ne_u32_e32 vcc, s6, v26
                                        ; implicit-def: $vgpr26
	s_and_saveexec_b64 s[6:7], vcc
	s_xor_b64 s[6:7], exec, s[6:7]
; %bb.445:
	v_bfe_u32 v26, v13, 16, 1
	s_movk_i32 s8, 0x7fff
	v_add3_u32 v26, v13, v26, s8
                                        ; implicit-def: $vgpr13
; %bb.446:
	s_andn2_saveexec_b64 s[6:7], s[6:7]
; %bb.447:
	v_mov_b32_e32 v26, 0
	v_or_b32_e32 v27, 0x10000, v13
	v_cmp_eq_u32_sdwa vcc, v13, v26 src0_sel:WORD_0 src1_sel:DWORD
	v_cndmask_b32_e32 v26, v27, v13, vcc
; %bb.448:
	s_or_b64 exec, exec, s[6:7]
	v_lshrrev_b32_e32 v13, 16, v26
.LBB52_449:
	s_or_b64 exec, exec, s[2:3]
	v_and_b32_e32 v26, 0xffff, v13
	v_mov_b32_e32 v13, v4
	s_and_saveexec_b64 s[2:3], s[28:29]
	s_cbranch_execz .LBB52_455
; %bb.450:
	v_lshlrev_b32_e32 v13, 16, v26
	v_lshlrev_b32_e32 v27, 16, v4
	v_add_f32_e32 v13, v27, v13
	s_mov_b32 s6, 0x7f800000
	v_and_b32_e32 v27, 0x7f800000, v13
	v_cmp_ne_u32_e32 vcc, s6, v27
                                        ; implicit-def: $vgpr27
	s_and_saveexec_b64 s[6:7], vcc
	s_xor_b64 s[6:7], exec, s[6:7]
; %bb.451:
	v_bfe_u32 v27, v13, 16, 1
	s_movk_i32 s8, 0x7fff
	v_add3_u32 v27, v13, v27, s8
                                        ; implicit-def: $vgpr13
; %bb.452:
	s_andn2_saveexec_b64 s[6:7], s[6:7]
; %bb.453:
	v_mov_b32_e32 v27, 0
	v_or_b32_e32 v28, 0x10000, v13
	v_cmp_eq_u32_sdwa vcc, v13, v27 src0_sel:WORD_0 src1_sel:DWORD
	v_cndmask_b32_e32 v27, v28, v13, vcc
; %bb.454:
	s_or_b64 exec, exec, s[6:7]
	v_lshrrev_b32_e32 v13, 16, v27
.LBB52_455:
	s_or_b64 exec, exec, s[2:3]
	v_and_b32_e32 v13, 0xffff, v13
	v_mov_b32_e32 v28, v14
	v_mov_b32_e32 v27, v13
	s_and_saveexec_b64 s[2:3], s[26:27]
	s_cbranch_execz .LBB52_461
; %bb.456:
	v_lshlrev_b32_e32 v27, 16, v13
	v_lshlrev_b32_e32 v28, 16, v14
	v_add_f32_e32 v27, v28, v27
	s_mov_b32 s6, 0x7f800000
	v_and_b32_e32 v28, 0x7f800000, v27
	v_cmp_ne_u32_e32 vcc, s6, v28
                                        ; implicit-def: $vgpr28
	s_and_saveexec_b64 s[6:7], vcc
	s_xor_b64 s[6:7], exec, s[6:7]
; %bb.457:
	v_bfe_u32 v28, v27, 16, 1
	s_movk_i32 s8, 0x7fff
	v_add3_u32 v28, v27, v28, s8
                                        ; implicit-def: $vgpr27
; %bb.458:
	s_andn2_saveexec_b64 s[6:7], s[6:7]
; %bb.459:
	v_mov_b32_e32 v28, 0
	v_or_b32_e32 v29, 0x10000, v27
	v_cmp_eq_u32_sdwa vcc, v27, v28 src0_sel:WORD_0 src1_sel:DWORD
	v_cndmask_b32_e32 v28, v29, v27, vcc
; %bb.460:
	s_or_b64 exec, exec, s[6:7]
	v_lshrrev_b32_e32 v28, 16, v28
	v_mov_b32_e32 v27, v13
.LBB52_461:
	s_or_b64 exec, exec, s[2:3]
	s_branch .LBB52_665
.LBB52_462:
	s_cmp_lg_u64 s[48:49], 0
	s_cselect_b64 s[8:9], -1, 0
	v_cmp_eq_u32_e64 s[2:3], 0, v0
	v_cmp_ne_u32_e64 s[6:7], 0, v0
	s_and_b64 s[10:11], s[2:3], s[8:9]
	s_and_saveexec_b64 s[8:9], s[10:11]
	s_cbranch_execz .LBB52_470
; %bb.463:
	v_mov_b32_e32 v16, 0
	global_load_ubyte v13, v16, s[48:49] offset:2
	s_mov_b32 s10, 0x10000
	v_cmp_gt_u32_e32 vcc, s10, v31
	v_mov_b32_e32 v15, v31
	s_and_saveexec_b64 s[10:11], vcc
	s_cbranch_execz .LBB52_469
; %bb.464:
	global_load_ushort v15, v16, s[48:49]
	v_lshlrev_b32_e32 v16, 16, v31
	s_mov_b32 s12, 0x7f800000
	s_waitcnt vmcnt(0)
	v_lshlrev_b32_e32 v15, 16, v15
	v_add_f32_e32 v15, v16, v15
	v_and_b32_e32 v16, 0x7f800000, v15
	v_cmp_ne_u32_e32 vcc, s12, v16
                                        ; implicit-def: $vgpr16
	s_and_saveexec_b64 s[12:13], vcc
	s_xor_b64 s[12:13], exec, s[12:13]
; %bb.465:
	v_bfe_u32 v16, v15, 16, 1
	s_movk_i32 s14, 0x7fff
	v_add3_u32 v16, v15, v16, s14
                                        ; implicit-def: $vgpr15
; %bb.466:
	s_andn2_saveexec_b64 s[12:13], s[12:13]
; %bb.467:
	v_mov_b32_e32 v16, 0
	v_or_b32_e32 v17, 0x10000, v15
	v_cmp_eq_u32_sdwa vcc, v15, v16 src0_sel:WORD_0 src1_sel:DWORD
	v_cndmask_b32_e32 v16, v17, v15, vcc
; %bb.468:
	s_or_b64 exec, exec, s[12:13]
	v_lshrrev_b32_e32 v15, 16, v16
.LBB52_469:
	s_or_b64 exec, exec, s[10:11]
	v_and_b32_e32 v16, 0x10000, v31
	v_mov_b32_e32 v17, 1
	s_waitcnt vmcnt(0)
	v_and_b32_sdwa v13, v13, v17 dst_sel:WORD_1 dst_unused:UNUSED_PAD src0_sel:DWORD src1_sel:DWORD
	v_mov_b32_e32 v17, 0x10000
	v_cmp_eq_u32_e32 vcc, 0, v16
	v_cndmask_b32_e32 v13, v17, v13, vcc
	s_mov_b32 s10, 0xffff
	v_and_or_b32 v31, v15, s10, v13
.LBB52_470:
	s_or_b64 exec, exec, s[8:9]
	s_mov_b32 s8, 0x10000
	v_cmp_gt_u32_e64 s[8:9], s8, v9
	v_lshlrev_b32_e32 v13, 16, v9
	v_mov_b32_e32 v15, v9
	s_and_saveexec_b64 s[10:11], s[8:9]
	s_cbranch_execz .LBB52_476
; %bb.471:
	v_lshlrev_b32_e32 v15, 16, v31
	v_add_f32_e32 v15, v13, v15
	s_mov_b32 s12, 0x7f800000
	v_and_b32_e32 v16, 0x7f800000, v15
	v_cmp_ne_u32_e32 vcc, s12, v16
                                        ; implicit-def: $vgpr16
	s_and_saveexec_b64 s[12:13], vcc
	s_xor_b64 s[12:13], exec, s[12:13]
; %bb.472:
	v_bfe_u32 v16, v15, 16, 1
	s_movk_i32 s14, 0x7fff
	v_add3_u32 v16, v15, v16, s14
                                        ; implicit-def: $vgpr15
; %bb.473:
	s_andn2_saveexec_b64 s[12:13], s[12:13]
; %bb.474:
	v_mov_b32_e32 v16, 0
	v_or_b32_e32 v17, 0x10000, v15
	v_cmp_eq_u32_sdwa vcc, v15, v16 src0_sel:WORD_0 src1_sel:DWORD
	v_cndmask_b32_e32 v16, v17, v15, vcc
; %bb.475:
	s_or_b64 exec, exec, s[12:13]
	v_lshrrev_b32_e32 v15, 16, v16
.LBB52_476:
	s_or_b64 exec, exec, s[10:11]
	s_mov_b32 s10, 0x10000
	v_cmp_gt_u32_e64 s[10:11], s10, v10
	v_lshlrev_b32_e32 v17, 16, v10
	v_mov_b32_e32 v16, v10
	s_and_saveexec_b64 s[12:13], s[10:11]
	s_cbranch_execz .LBB52_482
; %bb.477:
	v_lshlrev_b32_e32 v15, 16, v15
	v_add_f32_e32 v15, v17, v15
	s_mov_b32 s14, 0x7f800000
	v_and_b32_e32 v16, 0x7f800000, v15
	v_cmp_ne_u32_e32 vcc, s14, v16
                                        ; implicit-def: $vgpr16
	s_and_saveexec_b64 s[14:15], vcc
	s_xor_b64 s[14:15], exec, s[14:15]
; %bb.478:
	v_bfe_u32 v16, v15, 16, 1
	s_movk_i32 s16, 0x7fff
	v_add3_u32 v16, v15, v16, s16
                                        ; implicit-def: $vgpr15
; %bb.479:
	s_andn2_saveexec_b64 s[14:15], s[14:15]
; %bb.480:
	v_mov_b32_e32 v16, 0
	v_or_b32_e32 v18, 0x10000, v15
	v_cmp_eq_u32_sdwa vcc, v15, v16 src0_sel:WORD_0 src1_sel:DWORD
	v_cndmask_b32_e32 v16, v18, v15, vcc
; %bb.481:
	s_or_b64 exec, exec, s[14:15]
	v_lshrrev_b32_e32 v16, 16, v16
.LBB52_482:
	;; [unrolled: 32-line block ×13, first 2 shown]
	s_or_b64 exec, exec, s[36:37]
	v_or_b32_e32 v32, v8, v12
	v_or_b32_e32 v15, v2, v4
	;; [unrolled: 1-line block ×4, first 2 shown]
	v_or3_b32 v32, v6, v10, v32
	v_or3_b32 v15, v1, v3, v15
	;; [unrolled: 1-line block ×4, first 2 shown]
	v_and_b32_e32 v15, 0xff0000, v15
	v_and_b32_e32 v30, 0x10000, v31
	v_mov_b32_e32 v16, 0x10000
	v_cmp_eq_u32_e32 vcc, 0, v15
	v_cndmask_b32_e32 v32, v16, v30, vcc
	v_or_b32_sdwa v16, v29, v32 dst_sel:DWORD dst_unused:UNUSED_PAD src0_sel:WORD_0 src1_sel:DWORD
	v_cmp_eq_u32_e32 vcc, 0, v32
	v_mov_b32_e32 v30, v29
	v_mov_b32_dpp v33, v16 row_shr:1 row_mask:0xf bank_mask:0xf
	s_and_saveexec_b64 s[36:37], vcc
	s_xor_b64 s[36:37], exec, s[36:37]
	s_cbranch_execz .LBB52_554
; %bb.549:
	v_mov_b32_e32 v30, 16
	v_lshlrev_b32_e32 v15, 16, v33
	v_lshlrev_b32_sdwa v30, v30, v29 dst_sel:DWORD dst_unused:UNUSED_PAD src0_sel:DWORD src1_sel:WORD_0
	v_add_f32_e32 v15, v30, v15
	s_mov_b32 s43, 0x7f800000
	v_and_b32_e32 v30, 0x7f800000, v15
	v_cmp_ne_u32_e32 vcc, s43, v30
                                        ; implicit-def: $vgpr30
	s_and_saveexec_b64 s[44:45], vcc
	s_xor_b64 s[44:45], exec, s[44:45]
; %bb.550:
	v_bfe_u32 v30, v15, 16, 1
	s_movk_i32 s43, 0x7fff
	v_add3_u32 v30, v15, v30, s43
                                        ; implicit-def: $vgpr15
; %bb.551:
	s_andn2_saveexec_b64 s[44:45], s[44:45]
; %bb.552:
	v_mov_b32_e32 v30, 0
	v_or_b32_e32 v34, 0x10000, v15
	v_cmp_eq_u32_sdwa vcc, v15, v30 src0_sel:WORD_0 src1_sel:DWORD
	v_cndmask_b32_e32 v30, v34, v15, vcc
; %bb.553:
	s_or_b64 exec, exec, s[44:45]
	v_lshrrev_b32_e32 v30, 16, v30
.LBB52_554:
	s_or_b64 exec, exec, s[36:37]
	v_and_b32_e32 v35, 0x10000, v32
	v_mov_b32_e32 v36, 1
	v_mbcnt_lo_u32_b32 v15, -1, 0
	v_and_b32_sdwa v33, v33, v36 dst_sel:DWORD dst_unused:UNUSED_PAD src0_sel:WORD_1 src1_sel:DWORD
	v_cmp_ne_u32_e32 vcc, 0, v35
	v_mbcnt_hi_u32_b32 v15, -1, v15
	v_cndmask_b32_e64 v33, v33, 1, vcc
	v_and_b32_e32 v34, 15, v15
	v_lshlrev_b32_e32 v35, 16, v33
	v_or_b32_sdwa v35, v35, v30 dst_sel:DWORD dst_unused:UNUSED_PAD src0_sel:DWORD src1_sel:WORD_0
	v_cmp_eq_u32_e32 vcc, 0, v34
	v_cndmask_b32_e32 v16, v35, v16, vcc
	s_mov_b32 s36, 0x10000
	v_cmp_gt_u32_e64 s[36:37], s36, v16
	v_mov_b32_dpp v35, v16 row_shr:2 row_mask:0xf bank_mask:0xf
	v_mov_b32_e32 v36, v16
	s_and_saveexec_b64 s[44:45], s[36:37]
	s_cbranch_execz .LBB52_560
; %bb.555:
	v_lshlrev_b32_e32 v36, 16, v35
	v_lshlrev_b32_e32 v37, 16, v16
	v_add_f32_e32 v36, v36, v37
	s_mov_b32 s36, 0x7f800000
	v_and_b32_e32 v37, 0x7f800000, v36
	v_cmp_ne_u32_e64 s[36:37], s36, v37
                                        ; implicit-def: $vgpr37
	s_and_saveexec_b64 s[46:47], s[36:37]
	s_xor_b64 s[36:37], exec, s[46:47]
; %bb.556:
	v_bfe_u32 v37, v36, 16, 1
	s_movk_i32 s43, 0x7fff
	v_add3_u32 v37, v36, v37, s43
                                        ; implicit-def: $vgpr36
; %bb.557:
	s_andn2_saveexec_b64 s[46:47], s[36:37]
; %bb.558:
	v_mov_b32_e32 v37, 0
	v_or_b32_e32 v38, 0x10000, v36
	v_cmp_eq_u32_sdwa s[36:37], v36, v37 src0_sel:WORD_0 src1_sel:DWORD
	v_cndmask_b32_e64 v37, v38, v36, s[36:37]
; %bb.559:
	s_or_b64 exec, exec, s[46:47]
	v_lshrrev_b32_e32 v36, 16, v37
.LBB52_560:
	s_or_b64 exec, exec, s[44:45]
	v_cndmask_b32_e32 v30, v30, v29, vcc
	v_cndmask_b32_sdwa v29, v33, v32, vcc dst_sel:DWORD dst_unused:UNUSED_PAD src0_sel:DWORD src1_sel:WORD_1
	v_lshrrev_b32_e32 v32, 16, v16
	v_cmp_lt_u32_e32 vcc, 1, v34
	v_mov_b32_e32 v33, v16
	s_and_saveexec_b64 s[36:37], vcc
	s_cbranch_execz .LBB52_562
; %bb.561:
	v_and_b32_e32 v16, 0x10000, v16
	v_mov_b32_e32 v29, 1
	v_and_b32_sdwa v29, v35, v29 dst_sel:DWORD dst_unused:UNUSED_PAD src0_sel:WORD_1 src1_sel:DWORD
	v_cmp_ne_u32_e32 vcc, 0, v16
	v_cndmask_b32_e64 v29, v29, 1, vcc
	v_lshlrev_b32_e32 v16, 16, v29
	v_or_b32_sdwa v33, v16, v36 dst_sel:DWORD dst_unused:UNUSED_PAD src0_sel:DWORD src1_sel:WORD_0
	v_mov_b32_e32 v30, v36
	v_mov_b32_e32 v32, v29
	;; [unrolled: 1-line block ×3, first 2 shown]
.LBB52_562:
	s_or_b64 exec, exec, s[36:37]
	v_mov_b32_dpp v35, v33 row_shr:4 row_mask:0xf bank_mask:0xf
	v_cmp_eq_u16_e32 vcc, 0, v32
	v_mov_b32_e32 v36, v16
	s_and_saveexec_b64 s[36:37], vcc
	s_cbranch_execz .LBB52_568
; %bb.563:
	v_lshlrev_b32_e32 v36, 16, v35
	v_lshlrev_b32_e32 v37, 16, v16
	v_add_f32_e32 v36, v37, v36
	s_mov_b32 s43, 0x7f800000
	v_and_b32_e32 v37, 0x7f800000, v36
	v_cmp_ne_u32_e32 vcc, s43, v37
                                        ; implicit-def: $vgpr37
	s_and_saveexec_b64 s[44:45], vcc
	s_xor_b64 s[44:45], exec, s[44:45]
; %bb.564:
	v_bfe_u32 v37, v36, 16, 1
	s_movk_i32 s43, 0x7fff
	v_add3_u32 v37, v36, v37, s43
                                        ; implicit-def: $vgpr36
; %bb.565:
	s_andn2_saveexec_b64 s[44:45], s[44:45]
; %bb.566:
	v_mov_b32_e32 v37, 0
	v_or_b32_e32 v38, 0x10000, v36
	v_cmp_eq_u32_sdwa vcc, v36, v37 src0_sel:WORD_0 src1_sel:DWORD
	v_cndmask_b32_e32 v37, v38, v36, vcc
; %bb.567:
	s_or_b64 exec, exec, s[44:45]
	v_lshrrev_b32_e32 v36, 16, v37
.LBB52_568:
	s_or_b64 exec, exec, s[36:37]
	v_cmp_lt_u32_e32 vcc, 3, v34
	s_and_saveexec_b64 s[36:37], vcc
	s_cbranch_execz .LBB52_570
; %bb.569:
	v_and_b32_e32 v16, 1, v32
	v_mov_b32_e32 v29, 1
	v_and_b32_sdwa v29, v35, v29 dst_sel:DWORD dst_unused:UNUSED_PAD src0_sel:WORD_1 src1_sel:DWORD
	v_cmp_eq_u32_e32 vcc, 1, v16
	v_cndmask_b32_e64 v29, v29, 1, vcc
	v_lshlrev_b32_e32 v16, 16, v29
	v_or_b32_sdwa v33, v16, v36 dst_sel:DWORD dst_unused:UNUSED_PAD src0_sel:DWORD src1_sel:WORD_0
	v_mov_b32_e32 v30, v36
	v_mov_b32_e32 v32, v29
	;; [unrolled: 1-line block ×3, first 2 shown]
.LBB52_570:
	s_or_b64 exec, exec, s[36:37]
	v_mov_b32_dpp v35, v33 row_shr:8 row_mask:0xf bank_mask:0xf
	v_cmp_eq_u16_e32 vcc, 0, v32
	v_mov_b32_e32 v36, v16
	s_and_saveexec_b64 s[36:37], vcc
	s_cbranch_execz .LBB52_576
; %bb.571:
	v_lshlrev_b32_e32 v36, 16, v35
	v_lshlrev_b32_e32 v37, 16, v16
	v_add_f32_e32 v36, v37, v36
	s_mov_b32 s43, 0x7f800000
	v_and_b32_e32 v37, 0x7f800000, v36
	v_cmp_ne_u32_e32 vcc, s43, v37
                                        ; implicit-def: $vgpr37
	s_and_saveexec_b64 s[44:45], vcc
	s_xor_b64 s[44:45], exec, s[44:45]
; %bb.572:
	v_bfe_u32 v37, v36, 16, 1
	s_movk_i32 s43, 0x7fff
	v_add3_u32 v37, v36, v37, s43
                                        ; implicit-def: $vgpr36
; %bb.573:
	s_andn2_saveexec_b64 s[44:45], s[44:45]
; %bb.574:
	v_mov_b32_e32 v37, 0
	v_or_b32_e32 v38, 0x10000, v36
	v_cmp_eq_u32_sdwa vcc, v36, v37 src0_sel:WORD_0 src1_sel:DWORD
	v_cndmask_b32_e32 v37, v38, v36, vcc
; %bb.575:
	s_or_b64 exec, exec, s[44:45]
	v_lshrrev_b32_e32 v36, 16, v37
.LBB52_576:
	s_or_b64 exec, exec, s[36:37]
	v_cmp_lt_u32_e32 vcc, 7, v34
	s_and_saveexec_b64 s[36:37], vcc
	s_cbranch_execz .LBB52_578
; %bb.577:
	v_and_b32_e32 v16, 1, v32
	v_mov_b32_e32 v29, 1
	v_and_b32_sdwa v29, v35, v29 dst_sel:DWORD dst_unused:UNUSED_PAD src0_sel:WORD_1 src1_sel:DWORD
	v_cmp_eq_u32_e32 vcc, 1, v16
	v_cndmask_b32_e64 v29, v29, 1, vcc
	v_lshlrev_b32_e32 v16, 16, v29
	v_or_b32_sdwa v33, v16, v36 dst_sel:DWORD dst_unused:UNUSED_PAD src0_sel:DWORD src1_sel:WORD_0
	v_mov_b32_e32 v30, v36
	v_mov_b32_e32 v32, v29
	;; [unrolled: 1-line block ×3, first 2 shown]
.LBB52_578:
	s_or_b64 exec, exec, s[36:37]
	v_mov_b32_dpp v34, v33 row_bcast:15 row_mask:0xf bank_mask:0xf
	v_cmp_eq_u16_e32 vcc, 0, v32
	v_mov_b32_e32 v35, v16
	s_and_saveexec_b64 s[36:37], vcc
	s_cbranch_execz .LBB52_584
; %bb.579:
	v_lshlrev_b32_e32 v35, 16, v34
	v_lshlrev_b32_e32 v36, 16, v16
	v_add_f32_e32 v35, v36, v35
	s_mov_b32 s43, 0x7f800000
	v_and_b32_e32 v36, 0x7f800000, v35
	v_cmp_ne_u32_e32 vcc, s43, v36
                                        ; implicit-def: $vgpr36
	s_and_saveexec_b64 s[44:45], vcc
	s_xor_b64 s[44:45], exec, s[44:45]
; %bb.580:
	v_bfe_u32 v36, v35, 16, 1
	s_movk_i32 s43, 0x7fff
	v_add3_u32 v36, v35, v36, s43
                                        ; implicit-def: $vgpr35
; %bb.581:
	s_andn2_saveexec_b64 s[44:45], s[44:45]
; %bb.582:
	v_mov_b32_e32 v36, 0
	v_or_b32_e32 v37, 0x10000, v35
	v_cmp_eq_u32_sdwa vcc, v35, v36 src0_sel:WORD_0 src1_sel:DWORD
	v_cndmask_b32_e32 v36, v37, v35, vcc
; %bb.583:
	s_or_b64 exec, exec, s[44:45]
	v_lshrrev_b32_e32 v35, 16, v36
.LBB52_584:
	s_or_b64 exec, exec, s[36:37]
	v_and_b32_e32 v36, 16, v15
	v_cmp_ne_u32_e32 vcc, 0, v36
	s_and_saveexec_b64 s[36:37], vcc
	s_cbranch_execz .LBB52_586
; %bb.585:
	v_and_b32_e32 v16, 1, v32
	v_mov_b32_e32 v29, 1
	v_and_b32_sdwa v29, v34, v29 dst_sel:DWORD dst_unused:UNUSED_PAD src0_sel:WORD_1 src1_sel:DWORD
	v_cmp_eq_u32_e32 vcc, 1, v16
	v_cndmask_b32_e64 v29, v29, 1, vcc
	v_lshlrev_b32_e32 v16, 16, v29
	v_or_b32_sdwa v33, v16, v35 dst_sel:DWORD dst_unused:UNUSED_PAD src0_sel:DWORD src1_sel:WORD_0
	v_mov_b32_e32 v30, v35
	v_mov_b32_e32 v32, v29
	;; [unrolled: 1-line block ×3, first 2 shown]
.LBB52_586:
	s_or_b64 exec, exec, s[36:37]
	v_mov_b32_dpp v33, v33 row_bcast:31 row_mask:0xf bank_mask:0xf
	v_cmp_eq_u16_e32 vcc, 0, v32
	s_and_saveexec_b64 s[36:37], vcc
	s_cbranch_execz .LBB52_592
; %bb.587:
	v_lshlrev_b32_e32 v34, 16, v33
	v_lshlrev_b32_e32 v16, 16, v16
	v_add_f32_e32 v16, v16, v34
	s_mov_b32 s43, 0x7f800000
	v_and_b32_e32 v34, 0x7f800000, v16
	v_cmp_ne_u32_e32 vcc, s43, v34
                                        ; implicit-def: $vgpr34
	s_and_saveexec_b64 s[44:45], vcc
	s_xor_b64 s[44:45], exec, s[44:45]
; %bb.588:
	v_bfe_u32 v34, v16, 16, 1
	s_movk_i32 s43, 0x7fff
	v_add3_u32 v34, v16, v34, s43
                                        ; implicit-def: $vgpr16
; %bb.589:
	s_andn2_saveexec_b64 s[44:45], s[44:45]
; %bb.590:
	v_mov_b32_e32 v34, 0
	v_or_b32_e32 v35, 0x10000, v16
	v_cmp_eq_u32_sdwa vcc, v16, v34 src0_sel:WORD_0 src1_sel:DWORD
	v_cndmask_b32_e32 v34, v35, v16, vcc
; %bb.591:
	s_or_b64 exec, exec, s[44:45]
	v_lshrrev_b32_e32 v16, 16, v34
.LBB52_592:
	s_or_b64 exec, exec, s[36:37]
	v_and_b32_e32 v32, 1, v32
	v_mov_b32_e32 v34, 1
	v_and_b32_sdwa v33, v33, v34 dst_sel:DWORD dst_unused:UNUSED_PAD src0_sel:WORD_1 src1_sel:DWORD
	v_cmp_eq_u32_e32 vcc, 1, v32
	v_cndmask_b32_e64 v32, v33, 1, vcc
	v_cmp_lt_u32_e32 vcc, 31, v15
	v_cndmask_b32_e32 v30, v30, v16, vcc
	v_cndmask_b32_e32 v16, v29, v32, vcc
	v_lshrrev_b32_e32 v29, 6, v0
	v_or_b32_e32 v32, 63, v0
	v_cmp_eq_u32_e32 vcc, v0, v32
	v_lshlrev_b32_e32 v29, 2, v29
	s_and_saveexec_b64 s[36:37], vcc
	s_cbranch_execz .LBB52_594
; %bb.593:
	ds_write_b16 v29, v30
	ds_write_b8 v29, v16 offset:2
.LBB52_594:
	s_or_b64 exec, exec, s[36:37]
	v_cmp_gt_u32_e32 vcc, 4, v0
	s_waitcnt lgkmcnt(0)
	s_barrier
	s_and_saveexec_b64 s[36:37], vcc
	s_cbranch_execz .LBB52_610
; %bb.595:
	v_lshlrev_b32_e32 v32, 2, v0
	ds_read_b32 v33, v32
	v_mov_b32_e32 v35, 0
	s_waitcnt lgkmcnt(0)
	v_lshrrev_b32_e32 v34, 16, v33
	v_mov_b32_dpp v36, v33 row_shr:1 row_mask:0xf bank_mask:0xf
	v_cmp_eq_u16_sdwa s[46:47], v34, v35 src0_sel:BYTE_0 src1_sel:DWORD
	v_mov_b32_e32 v38, v33
	s_and_saveexec_b64 s[44:45], s[46:47]
	s_cbranch_execz .LBB52_601
; %bb.596:
	v_lshlrev_b32_e32 v35, 16, v36
	v_lshlrev_b32_e32 v37, 16, v33
	v_add_f32_e32 v35, v37, v35
	s_mov_b32 s43, 0x7f800000
	v_and_b32_e32 v37, 0x7f800000, v35
	v_cmp_ne_u32_e32 vcc, s43, v37
                                        ; implicit-def: $vgpr37
	s_and_saveexec_b64 s[46:47], vcc
	s_xor_b64 s[46:47], exec, s[46:47]
; %bb.597:
	v_bfe_u32 v37, v35, 16, 1
	s_movk_i32 s43, 0x7fff
	v_add3_u32 v37, v35, v37, s43
                                        ; implicit-def: $vgpr35
; %bb.598:
	s_andn2_saveexec_b64 s[46:47], s[46:47]
; %bb.599:
	v_mov_b32_e32 v37, 0
	v_or_b32_e32 v38, 0x10000, v35
	v_cmp_eq_u32_sdwa vcc, v35, v37 src0_sel:WORD_0 src1_sel:DWORD
	v_cndmask_b32_e32 v37, v38, v35, vcc
; %bb.600:
	s_or_b64 exec, exec, s[46:47]
	v_lshrrev_b32_e32 v38, 16, v37
.LBB52_601:
	s_or_b64 exec, exec, s[44:45]
	v_and_b32_e32 v35, 3, v15
	v_cmp_ne_u32_e32 vcc, 0, v35
	v_mov_b32_e32 v37, v33
	s_and_saveexec_b64 s[44:45], vcc
	s_cbranch_execz .LBB52_603
; %bb.602:
	v_and_b32_e32 v37, 0xff000000, v33
	v_and_b32_e32 v33, 0x10000, v33
	v_mov_b32_e32 v34, 1
	v_and_b32_sdwa v34, v36, v34 dst_sel:DWORD dst_unused:UNUSED_PAD src0_sel:WORD_1 src1_sel:DWORD
	v_cmp_ne_u32_e32 vcc, 0, v33
	v_cndmask_b32_e64 v34, v34, 1, vcc
	v_lshlrev_b32_e32 v33, 16, v34
	v_and_b32_e32 v36, 0xffff, v38
	v_or3_b32 v37, v33, v37, v36
	v_mov_b32_e32 v33, v38
.LBB52_603:
	s_or_b64 exec, exec, s[44:45]
	v_and_b32_e32 v38, 0xff0000, v37
	v_mov_b32_dpp v36, v37 row_shr:2 row_mask:0xf bank_mask:0xf
	v_cmp_eq_u32_e32 vcc, 0, v38
	v_mov_b32_e32 v38, v37
	s_and_saveexec_b64 s[44:45], vcc
	s_cbranch_execz .LBB52_609
; %bb.604:
	v_lshlrev_b32_e32 v38, 16, v36
	v_lshlrev_b32_e32 v39, 16, v37
	v_add_f32_e32 v38, v39, v38
	s_mov_b32 s43, 0x7f800000
	v_and_b32_e32 v39, 0x7f800000, v38
	v_cmp_ne_u32_e32 vcc, s43, v39
                                        ; implicit-def: $vgpr39
	s_and_saveexec_b64 s[46:47], vcc
	s_xor_b64 s[46:47], exec, s[46:47]
; %bb.605:
	v_bfe_u32 v39, v38, 16, 1
	s_movk_i32 s43, 0x7fff
	v_add3_u32 v39, v38, v39, s43
                                        ; implicit-def: $vgpr38
; %bb.606:
	s_andn2_saveexec_b64 s[46:47], s[46:47]
; %bb.607:
	v_mov_b32_e32 v39, 0
	v_or_b32_e32 v40, 0x10000, v38
	v_cmp_eq_u32_sdwa vcc, v38, v39 src0_sel:WORD_0 src1_sel:DWORD
	v_cndmask_b32_e32 v39, v40, v38, vcc
; %bb.608:
	s_or_b64 exec, exec, s[46:47]
	v_lshrrev_b32_e32 v38, 16, v39
.LBB52_609:
	s_or_b64 exec, exec, s[44:45]
	v_and_b32_e32 v37, 0x10000, v37
	v_mov_b32_e32 v39, 1
	v_and_b32_sdwa v36, v36, v39 dst_sel:DWORD dst_unused:UNUSED_PAD src0_sel:WORD_1 src1_sel:DWORD
	v_cmp_eq_u32_e32 vcc, 0, v37
	v_cndmask_b32_e32 v36, 1, v36, vcc
	v_cmp_lt_u32_e32 vcc, 1, v35
	v_cndmask_b32_e32 v33, v33, v38, vcc
	v_cndmask_b32_e32 v34, v34, v36, vcc
	ds_write_b16 v32, v33
	ds_write_b8 v32, v34 offset:2
.LBB52_610:
	s_or_b64 exec, exec, s[36:37]
	v_cmp_lt_u32_e32 vcc, 63, v0
	v_mov_b32_e32 v32, 0
	s_waitcnt lgkmcnt(0)
	s_barrier
	s_and_saveexec_b64 s[36:37], vcc
	s_cbranch_execz .LBB52_618
; %bb.611:
	v_add_u32_e32 v32, -4, v29
	v_add_u32_e32 v29, -2, v29
	ds_read_u16 v32, v32
	ds_read_u8 v29, v29
	v_cmp_eq_u16_e32 vcc, 0, v16
	s_and_saveexec_b64 s[44:45], vcc
	s_cbranch_execz .LBB52_617
; %bb.612:
	s_waitcnt lgkmcnt(1)
	v_lshlrev_b32_e32 v33, 16, v32
	v_lshlrev_b32_e32 v30, 16, v30
	v_add_f32_e32 v30, v30, v33
	s_mov_b32 s43, 0x7f800000
	v_and_b32_e32 v33, 0x7f800000, v30
	v_cmp_ne_u32_e32 vcc, s43, v33
                                        ; implicit-def: $vgpr33
	s_and_saveexec_b64 s[46:47], vcc
	s_xor_b64 s[46:47], exec, s[46:47]
; %bb.613:
	v_bfe_u32 v33, v30, 16, 1
	s_movk_i32 s43, 0x7fff
	v_add3_u32 v33, v30, v33, s43
                                        ; implicit-def: $vgpr30
; %bb.614:
	s_andn2_saveexec_b64 s[46:47], s[46:47]
; %bb.615:
	v_mov_b32_e32 v33, 0
	v_or_b32_e32 v34, 0x10000, v30
	v_cmp_eq_u32_sdwa vcc, v30, v33 src0_sel:WORD_0 src1_sel:DWORD
	v_cndmask_b32_e32 v33, v34, v30, vcc
; %bb.616:
	s_or_b64 exec, exec, s[46:47]
	v_lshrrev_b32_e32 v30, 16, v33
.LBB52_617:
	s_or_b64 exec, exec, s[44:45]
	v_and_b32_e32 v16, 1, v16
	v_cmp_eq_u32_e32 vcc, 1, v16
	s_waitcnt lgkmcnt(0)
	v_cndmask_b32_e64 v16, v29, 1, vcc
.LBB52_618:
	s_or_b64 exec, exec, s[36:37]
	v_and_b32_e32 v16, 0xff, v16
	v_and_b32_e32 v29, 0xffff, v30
	v_lshl_or_b32 v16, v16, 16, v29
	v_subrev_co_u32_e32 v29, vcc, 1, v15
	v_and_b32_e32 v30, 64, v15
	v_cmp_lt_i32_e64 s[36:37], v29, v30
	v_cndmask_b32_e64 v15, v29, v15, s[36:37]
	v_lshlrev_b32_e32 v15, 2, v15
	ds_bpermute_b32 v16, v15, v16
	v_mov_b32_e32 v15, v31
	s_and_saveexec_b64 s[36:37], s[6:7]
	s_cbranch_execz .LBB52_715
; %bb.619:
	v_and_b32_e32 v15, 0xff0000, v31
	v_cmp_eq_u32_e64 s[6:7], 0, v15
	s_and_saveexec_b64 s[44:45], s[6:7]
	s_cbranch_execz .LBB52_625
; %bb.620:
	s_waitcnt lgkmcnt(0)
	v_cndmask_b32_sdwa v15, v16, v32, vcc dst_sel:WORD_1 dst_unused:UNUSED_PAD src0_sel:DWORD src1_sel:DWORD
	v_lshlrev_b32_e32 v16, 16, v31
	v_add_f32_e32 v15, v16, v15
	s_mov_b32 s6, 0x7f800000
	v_and_b32_e32 v16, 0x7f800000, v15
	v_cmp_ne_u32_e32 vcc, s6, v16
                                        ; implicit-def: $vgpr16
	s_and_saveexec_b64 s[6:7], vcc
	s_xor_b64 s[6:7], exec, s[6:7]
; %bb.621:
	v_bfe_u32 v16, v15, 16, 1
	s_movk_i32 s43, 0x7fff
	v_add3_u32 v16, v15, v16, s43
                                        ; implicit-def: $vgpr15
; %bb.622:
	s_andn2_saveexec_b64 s[6:7], s[6:7]
; %bb.623:
	v_mov_b32_e32 v16, 0
	v_or_b32_e32 v29, 0x10000, v15
	v_cmp_eq_u32_sdwa vcc, v15, v16 src0_sel:WORD_0 src1_sel:DWORD
	v_cndmask_b32_e32 v16, v29, v15, vcc
; %bb.624:
	s_or_b64 exec, exec, s[6:7]
	v_lshrrev_b32_e32 v31, 16, v16
.LBB52_625:
	s_or_b64 exec, exec, s[44:45]
	v_and_b32_e32 v15, 0xffff, v31
	s_or_b64 exec, exec, s[36:37]
	s_and_saveexec_b64 s[6:7], s[8:9]
	s_cbranch_execnz .LBB52_716
.LBB52_626:
	s_or_b64 exec, exec, s[6:7]
	s_waitcnt lgkmcnt(0)
	v_and_b32_e32 v16, 0xffff, v9
	s_and_saveexec_b64 s[6:7], s[10:11]
	s_cbranch_execz .LBB52_721
.LBB52_627:
	v_lshlrev_b32_e32 v9, 16, v16
	v_add_f32_e32 v9, v17, v9
	s_mov_b32 s8, 0x7f800000
	v_and_b32_e32 v10, 0x7f800000, v9
	v_cmp_ne_u32_e32 vcc, s8, v10
                                        ; implicit-def: $vgpr10
	s_and_saveexec_b64 s[8:9], vcc
	s_xor_b64 s[8:9], exec, s[8:9]
; %bb.628:
	v_bfe_u32 v10, v9, 16, 1
	s_movk_i32 s10, 0x7fff
	v_add3_u32 v10, v9, v10, s10
                                        ; implicit-def: $vgpr9
; %bb.629:
	s_andn2_saveexec_b64 s[8:9], s[8:9]
; %bb.630:
	v_mov_b32_e32 v10, 0
	v_or_b32_e32 v13, 0x10000, v9
	v_cmp_eq_u32_sdwa vcc, v9, v10 src0_sel:WORD_0 src1_sel:DWORD
	v_cndmask_b32_e32 v10, v13, v9, vcc
; %bb.631:
	s_or_b64 exec, exec, s[8:9]
	v_lshrrev_b32_e32 v10, 16, v10
	s_or_b64 exec, exec, s[6:7]
	v_and_b32_e32 v17, 0xffff, v10
	s_and_saveexec_b64 s[6:7], s[12:13]
	s_cbranch_execnz .LBB52_722
.LBB52_632:
	s_or_b64 exec, exec, s[6:7]
	v_and_b32_e32 v18, 0xffff, v11
	s_and_saveexec_b64 s[6:7], s[14:15]
	s_cbranch_execz .LBB52_727
.LBB52_633:
	v_lshlrev_b32_e32 v9, 16, v18
	v_add_f32_e32 v9, v19, v9
	s_mov_b32 s8, 0x7f800000
	v_and_b32_e32 v10, 0x7f800000, v9
	v_cmp_ne_u32_e32 vcc, s8, v10
                                        ; implicit-def: $vgpr10
	s_and_saveexec_b64 s[8:9], vcc
	s_xor_b64 s[8:9], exec, s[8:9]
; %bb.634:
	v_bfe_u32 v10, v9, 16, 1
	s_movk_i32 s10, 0x7fff
	v_add3_u32 v10, v9, v10, s10
                                        ; implicit-def: $vgpr9
; %bb.635:
	s_andn2_saveexec_b64 s[8:9], s[8:9]
; %bb.636:
	v_mov_b32_e32 v10, 0
	v_or_b32_e32 v11, 0x10000, v9
	v_cmp_eq_u32_sdwa vcc, v9, v10 src0_sel:WORD_0 src1_sel:DWORD
	v_cndmask_b32_e32 v10, v11, v9, vcc
; %bb.637:
	s_or_b64 exec, exec, s[8:9]
	v_lshrrev_b32_e32 v12, 16, v10
	s_or_b64 exec, exec, s[6:7]
	v_and_b32_e32 v19, 0xffff, v12
	s_and_saveexec_b64 s[6:7], s[16:17]
	s_cbranch_execnz .LBB52_728
.LBB52_638:
	s_or_b64 exec, exec, s[6:7]
	v_and_b32_e32 v20, 0xffff, v5
	s_and_saveexec_b64 s[6:7], s[18:19]
	s_cbranch_execz .LBB52_733
.LBB52_639:
	v_lshlrev_b32_e32 v5, 16, v20
	v_add_f32_e32 v5, v21, v5
	s_mov_b32 s8, 0x7f800000
	v_and_b32_e32 v6, 0x7f800000, v5
	v_cmp_ne_u32_e32 vcc, s8, v6
                                        ; implicit-def: $vgpr6
	s_and_saveexec_b64 s[8:9], vcc
	s_xor_b64 s[8:9], exec, s[8:9]
; %bb.640:
	v_bfe_u32 v6, v5, 16, 1
	s_movk_i32 s10, 0x7fff
	v_add3_u32 v6, v5, v6, s10
                                        ; implicit-def: $vgpr5
; %bb.641:
	s_andn2_saveexec_b64 s[8:9], s[8:9]
; %bb.642:
	v_mov_b32_e32 v6, 0
	v_or_b32_e32 v9, 0x10000, v5
	v_cmp_eq_u32_sdwa vcc, v5, v6 src0_sel:WORD_0 src1_sel:DWORD
	v_cndmask_b32_e32 v6, v9, v5, vcc
; %bb.643:
	s_or_b64 exec, exec, s[8:9]
	v_lshrrev_b32_e32 v6, 16, v6
	s_or_b64 exec, exec, s[6:7]
	v_and_b32_e32 v21, 0xffff, v6
	s_and_saveexec_b64 s[6:7], s[20:21]
	s_cbranch_execnz .LBB52_734
.LBB52_644:
	s_or_b64 exec, exec, s[6:7]
	v_and_b32_e32 v22, 0xffff, v7
	s_and_saveexec_b64 s[6:7], s[22:23]
	s_cbranch_execz .LBB52_739
.LBB52_645:
	v_lshlrev_b32_e32 v5, 16, v22
	v_add_f32_e32 v5, v23, v5
	s_mov_b32 s8, 0x7f800000
	v_and_b32_e32 v6, 0x7f800000, v5
	v_cmp_ne_u32_e32 vcc, s8, v6
                                        ; implicit-def: $vgpr6
	s_and_saveexec_b64 s[8:9], vcc
	s_xor_b64 s[8:9], exec, s[8:9]
; %bb.646:
	v_bfe_u32 v6, v5, 16, 1
	s_movk_i32 s10, 0x7fff
	v_add3_u32 v6, v5, v6, s10
                                        ; implicit-def: $vgpr5
; %bb.647:
	s_andn2_saveexec_b64 s[8:9], s[8:9]
; %bb.648:
	v_mov_b32_e32 v6, 0
	v_or_b32_e32 v7, 0x10000, v5
	v_cmp_eq_u32_sdwa vcc, v5, v6 src0_sel:WORD_0 src1_sel:DWORD
	v_cndmask_b32_e32 v6, v7, v5, vcc
; %bb.649:
	s_or_b64 exec, exec, s[8:9]
	v_lshrrev_b32_e32 v8, 16, v6
	s_or_b64 exec, exec, s[6:7]
	v_and_b32_e32 v23, 0xffff, v8
	s_and_saveexec_b64 s[6:7], s[24:25]
	s_cbranch_execnz .LBB52_740
.LBB52_650:
	s_or_b64 exec, exec, s[6:7]
	v_and_b32_e32 v24, 0xffff, v1
	s_and_saveexec_b64 s[6:7], s[26:27]
	s_cbranch_execz .LBB52_745
.LBB52_651:
	v_lshlrev_b32_e32 v1, 16, v24
	v_add_f32_e32 v1, v25, v1
	s_mov_b32 s8, 0x7f800000
	v_and_b32_e32 v2, 0x7f800000, v1
	v_cmp_ne_u32_e32 vcc, s8, v2
                                        ; implicit-def: $vgpr2
	s_and_saveexec_b64 s[8:9], vcc
	s_xor_b64 s[8:9], exec, s[8:9]
; %bb.652:
	v_bfe_u32 v2, v1, 16, 1
	s_movk_i32 s10, 0x7fff
	v_add3_u32 v2, v1, v2, s10
                                        ; implicit-def: $vgpr1
; %bb.653:
	s_andn2_saveexec_b64 s[8:9], s[8:9]
; %bb.654:
	v_mov_b32_e32 v2, 0
	v_or_b32_e32 v5, 0x10000, v1
	v_cmp_eq_u32_sdwa vcc, v1, v2 src0_sel:WORD_0 src1_sel:DWORD
	v_cndmask_b32_e32 v2, v5, v1, vcc
; %bb.655:
	s_or_b64 exec, exec, s[8:9]
	v_lshrrev_b32_e32 v2, 16, v2
	s_or_b64 exec, exec, s[6:7]
	v_and_b32_e32 v25, 0xffff, v2
	s_and_saveexec_b64 s[6:7], s[28:29]
	s_cbranch_execnz .LBB52_746
.LBB52_656:
	s_or_b64 exec, exec, s[6:7]
	v_and_b32_e32 v26, 0xffff, v3
	s_and_saveexec_b64 s[6:7], s[30:31]
	s_cbranch_execz .LBB52_751
.LBB52_657:
	v_lshlrev_b32_e32 v1, 16, v26
	v_add_f32_e32 v1, v27, v1
	s_mov_b32 s8, 0x7f800000
	v_and_b32_e32 v2, 0x7f800000, v1
	v_cmp_ne_u32_e32 vcc, s8, v2
                                        ; implicit-def: $vgpr2
	s_and_saveexec_b64 s[8:9], vcc
	s_xor_b64 s[8:9], exec, s[8:9]
; %bb.658:
	v_bfe_u32 v2, v1, 16, 1
	s_movk_i32 s10, 0x7fff
	v_add3_u32 v2, v1, v2, s10
                                        ; implicit-def: $vgpr1
; %bb.659:
	s_andn2_saveexec_b64 s[8:9], s[8:9]
; %bb.660:
	v_mov_b32_e32 v2, 0
	v_or_b32_e32 v3, 0x10000, v1
	v_cmp_eq_u32_sdwa vcc, v1, v2 src0_sel:WORD_0 src1_sel:DWORD
	v_cndmask_b32_e32 v2, v3, v1, vcc
; %bb.661:
	s_or_b64 exec, exec, s[8:9]
	v_lshrrev_b32_e32 v4, 16, v2
	s_or_b64 exec, exec, s[6:7]
	v_and_b32_e32 v13, 0xffff, v4
	s_and_saveexec_b64 s[6:7], s[34:35]
	s_cbranch_execnz .LBB52_752
.LBB52_662:
	s_or_b64 exec, exec, s[6:7]
	s_and_saveexec_b64 s[6:7], s[2:3]
	s_cbranch_execz .LBB52_664
.LBB52_663:
	v_mov_b32_e32 v3, 0
	ds_read_u8 v1, v3 offset:14
	ds_read_u16 v2, v3 offset:12
	s_waitcnt lgkmcnt(1)
	v_lshlrev_b32_e32 v1, 16, v1
	s_waitcnt lgkmcnt(0)
	v_or_b32_e32 v1, v1, v2
	v_mov_b32_e32 v2, 2
	global_store_dwordx2 v3, v[1:2], s[40:41] offset:512
.LBB52_664:
	s_or_b64 exec, exec, s[6:7]
	v_mov_b32_e32 v28, v14
	v_mov_b32_e32 v27, v13
.LBB52_665:
	s_load_dwordx2 s[2:3], s[4:5], 0x18
	s_waitcnt lgkmcnt(0)
	s_add_u32 s2, s2, s38
	s_addc_u32 s3, s3, s39
	s_and_b64 vcc, exec, s[0:1]
	s_cbranch_vccz .LBB52_757
; %bb.666:
	s_add_i32 s33, s33, s42
	v_mul_u32_u24_e32 v1, 14, v0
	v_cmp_gt_u32_e32 vcc, s33, v1
	s_and_saveexec_b64 s[0:1], vcc
	s_cbranch_execz .LBB52_688
; %bb.667:
	v_or_b32_e32 v2, 1, v1
	v_cmp_gt_u32_e32 vcc, s33, v2
	s_and_saveexec_b64 s[4:5], vcc
	s_cbranch_execz .LBB52_687
; %bb.668:
	v_add_u32_e32 v2, 2, v1
	v_cmp_gt_u32_e32 vcc, s33, v2
	s_and_saveexec_b64 s[6:7], vcc
	s_cbranch_execz .LBB52_686
; %bb.669:
	v_add_u32_e32 v2, 3, v1
	;; [unrolled: 5-line block ×9, first 2 shown]
	v_cmp_gt_u32_e32 vcc, s33, v2
	s_and_saveexec_b64 s[22:23], vcc
; %bb.677:
	v_add_u32_e32 v2, 11, v1
	v_cmp_gt_u32_e32 vcc, s33, v2
	s_and_saveexec_b64 s[24:25], vcc
	s_or_b64 exec, exec, s[24:25]
; %bb.678:
	s_or_b64 exec, exec, s[22:23]
.LBB52_679:
	s_or_b64 exec, exec, s[20:21]
.LBB52_680:
	s_or_b64 exec, exec, s[18:19]
.LBB52_681:
	s_or_b64 exec, exec, s[16:17]
.LBB52_682:
	s_or_b64 exec, exec, s[14:15]
.LBB52_683:
	s_or_b64 exec, exec, s[12:13]
.LBB52_684:
	s_or_b64 exec, exec, s[10:11]
.LBB52_685:
	s_or_b64 exec, exec, s[8:9]
.LBB52_686:
	s_or_b64 exec, exec, s[6:7]
.LBB52_687:
	s_or_b64 exec, exec, s[4:5]
.LBB52_688:
	s_or_b64 exec, exec, s[0:1]
	s_mov_b32 s0, 0x5040100
	v_lshlrev_b32_e32 v29, 1, v1
	v_perm_b32 v1, v18, v17, s0
	v_perm_b32 v2, v16, v15, s0
	s_waitcnt vmcnt(0)
	s_barrier
	ds_write2_b32 v29, v2, v1 offset1:1
	v_perm_b32 v1, v22, v21, s0
	v_perm_b32 v2, v20, v19, s0
	ds_write2_b32 v29, v2, v1 offset0:2 offset1:3
	v_perm_b32 v1, v26, v25, s0
	v_perm_b32 v2, v24, v23, s0
	ds_write2_b32 v29, v2, v1 offset0:4 offset1:5
	v_perm_b32 v1, v28, v27, s0
	s_movk_i32 s0, 0xffe6
	ds_write_b32 v29, v1 offset:24
	v_mad_i32_i24 v1, v0, s0, v29
	s_waitcnt lgkmcnt(0)
	s_barrier
	ds_read_u16 v30, v1 offset:512
	ds_read_u16 v14, v1 offset:1024
	;; [unrolled: 1-line block ×13, first 2 shown]
	v_lshlrev_b32_e32 v1, 1, v0
	v_mov_b32_e32 v2, s3
	v_add_co_u32_e32 v1, vcc, s2, v1
	v_addc_co_u32_e32 v2, vcc, 0, v2, vcc
	v_cmp_gt_u32_e32 vcc, s33, v0
	s_and_saveexec_b64 s[0:1], vcc
	s_cbranch_execz .LBB52_690
; %bb.689:
	v_mul_i32_i24_e32 v31, 0xffffffe6, v0
	v_add_u32_e32 v29, v29, v31
	ds_read_u16 v29, v29
	s_waitcnt lgkmcnt(0)
	global_store_short v[1:2], v29, off
.LBB52_690:
	s_or_b64 exec, exec, s[0:1]
	v_or_b32_e32 v29, 0x100, v0
	v_cmp_gt_u32_e32 vcc, s33, v29
	s_and_saveexec_b64 s[0:1], vcc
	s_cbranch_execz .LBB52_692
; %bb.691:
	s_waitcnt lgkmcnt(12)
	global_store_short v[1:2], v30, off offset:512
.LBB52_692:
	s_or_b64 exec, exec, s[0:1]
	v_or_b32_e32 v29, 0x200, v0
	v_cmp_gt_u32_e32 vcc, s33, v29
	s_and_saveexec_b64 s[0:1], vcc
	s_cbranch_execz .LBB52_694
; %bb.693:
	s_waitcnt lgkmcnt(11)
	global_store_short v[1:2], v14, off offset:1024
.LBB52_694:
	s_or_b64 exec, exec, s[0:1]
	s_waitcnt lgkmcnt(11)
	v_or_b32_e32 v14, 0x300, v0
	v_cmp_gt_u32_e32 vcc, s33, v14
	s_and_saveexec_b64 s[0:1], vcc
	s_cbranch_execz .LBB52_696
; %bb.695:
	s_waitcnt lgkmcnt(10)
	global_store_short v[1:2], v13, off offset:1536
.LBB52_696:
	s_or_b64 exec, exec, s[0:1]
	s_waitcnt lgkmcnt(10)
	;; [unrolled: 10-line block ×6, first 2 shown]
	v_or_b32_e32 v9, 0x800, v0
	v_cmp_gt_u32_e32 vcc, s33, v9
	s_and_saveexec_b64 s[0:1], vcc
	s_cbranch_execz .LBB52_706
; %bb.705:
	v_add_co_u32_e32 v9, vcc, 0x1000, v1
	v_addc_co_u32_e32 v10, vcc, 0, v2, vcc
	s_waitcnt lgkmcnt(5)
	global_store_short v[9:10], v8, off
.LBB52_706:
	s_or_b64 exec, exec, s[0:1]
	s_waitcnt lgkmcnt(5)
	v_or_b32_e32 v8, 0x900, v0
	v_cmp_gt_u32_e32 vcc, s33, v8
	s_and_saveexec_b64 s[0:1], vcc
	s_cbranch_execz .LBB52_708
; %bb.707:
	v_add_co_u32_e32 v8, vcc, 0x1000, v1
	v_addc_co_u32_e32 v9, vcc, 0, v2, vcc
	s_waitcnt lgkmcnt(4)
	global_store_short v[8:9], v7, off offset:512
.LBB52_708:
	s_or_b64 exec, exec, s[0:1]
	s_waitcnt lgkmcnt(4)
	v_or_b32_e32 v7, 0xa00, v0
	v_cmp_gt_u32_e32 vcc, s33, v7
	s_and_saveexec_b64 s[0:1], vcc
	s_cbranch_execz .LBB52_710
; %bb.709:
	v_add_co_u32_e32 v7, vcc, 0x1000, v1
	v_addc_co_u32_e32 v8, vcc, 0, v2, vcc
	s_waitcnt lgkmcnt(3)
	global_store_short v[7:8], v6, off offset:1024
.LBB52_710:
	;; [unrolled: 12-line block ×4, first 2 shown]
	s_or_b64 exec, exec, s[0:1]
	v_or_b32_e32 v1, 0xd00, v0
	v_cmp_gt_u32_e64 s[0:1], s33, v1
	s_branch .LBB52_759
.LBB52_715:
	s_or_b64 exec, exec, s[36:37]
	s_and_saveexec_b64 s[6:7], s[8:9]
	s_cbranch_execz .LBB52_626
.LBB52_716:
	v_lshlrev_b32_e32 v9, 16, v31
	v_add_f32_e32 v9, v13, v9
	s_mov_b32 s8, 0x7f800000
	v_and_b32_e32 v13, 0x7f800000, v9
	v_cmp_ne_u32_e32 vcc, s8, v13
                                        ; implicit-def: $vgpr13
	s_and_saveexec_b64 s[8:9], vcc
	s_xor_b64 s[8:9], exec, s[8:9]
; %bb.717:
	v_bfe_u32 v13, v9, 16, 1
	s_movk_i32 s36, 0x7fff
	v_add3_u32 v13, v9, v13, s36
                                        ; implicit-def: $vgpr9
; %bb.718:
	s_andn2_saveexec_b64 s[8:9], s[8:9]
	s_cbranch_execz .LBB52_720
; %bb.719:
	v_mov_b32_e32 v13, 0
	s_waitcnt lgkmcnt(0)
	v_or_b32_e32 v16, 0x10000, v9
	v_cmp_eq_u32_sdwa vcc, v9, v13 src0_sel:WORD_0 src1_sel:DWORD
	v_cndmask_b32_e32 v13, v16, v9, vcc
.LBB52_720:
	s_or_b64 exec, exec, s[8:9]
	v_lshrrev_b32_e32 v9, 16, v13
	s_or_b64 exec, exec, s[6:7]
	s_waitcnt lgkmcnt(0)
	v_and_b32_e32 v16, 0xffff, v9
	s_and_saveexec_b64 s[6:7], s[10:11]
	s_cbranch_execnz .LBB52_627
.LBB52_721:
	s_or_b64 exec, exec, s[6:7]
	v_and_b32_e32 v17, 0xffff, v10
	s_and_saveexec_b64 s[6:7], s[12:13]
	s_cbranch_execz .LBB52_632
.LBB52_722:
	v_lshlrev_b32_e32 v9, 16, v17
	v_add_f32_e32 v9, v18, v9
	s_mov_b32 s8, 0x7f800000
	v_and_b32_e32 v10, 0x7f800000, v9
	v_cmp_ne_u32_e32 vcc, s8, v10
                                        ; implicit-def: $vgpr10
	s_and_saveexec_b64 s[8:9], vcc
	s_xor_b64 s[8:9], exec, s[8:9]
; %bb.723:
	v_bfe_u32 v10, v9, 16, 1
	s_movk_i32 s10, 0x7fff
	v_add3_u32 v10, v9, v10, s10
                                        ; implicit-def: $vgpr9
; %bb.724:
	s_andn2_saveexec_b64 s[8:9], s[8:9]
; %bb.725:
	v_mov_b32_e32 v10, 0
	v_or_b32_e32 v11, 0x10000, v9
	v_cmp_eq_u32_sdwa vcc, v9, v10 src0_sel:WORD_0 src1_sel:DWORD
	v_cndmask_b32_e32 v10, v11, v9, vcc
; %bb.726:
	s_or_b64 exec, exec, s[8:9]
	v_lshrrev_b32_e32 v11, 16, v10
	s_or_b64 exec, exec, s[6:7]
	v_and_b32_e32 v18, 0xffff, v11
	s_and_saveexec_b64 s[6:7], s[14:15]
	s_cbranch_execnz .LBB52_633
.LBB52_727:
	s_or_b64 exec, exec, s[6:7]
	v_and_b32_e32 v19, 0xffff, v12
	s_and_saveexec_b64 s[6:7], s[16:17]
	s_cbranch_execz .LBB52_638
.LBB52_728:
	v_lshlrev_b32_e32 v5, 16, v19
	v_add_f32_e32 v5, v20, v5
	s_mov_b32 s8, 0x7f800000
	v_and_b32_e32 v9, 0x7f800000, v5
	v_cmp_ne_u32_e32 vcc, s8, v9
                                        ; implicit-def: $vgpr9
	s_and_saveexec_b64 s[8:9], vcc
	s_xor_b64 s[8:9], exec, s[8:9]
; %bb.729:
	v_bfe_u32 v9, v5, 16, 1
	s_movk_i32 s10, 0x7fff
	v_add3_u32 v9, v5, v9, s10
                                        ; implicit-def: $vgpr5
; %bb.730:
	s_andn2_saveexec_b64 s[8:9], s[8:9]
; %bb.731:
	v_mov_b32_e32 v9, 0
	v_or_b32_e32 v10, 0x10000, v5
	v_cmp_eq_u32_sdwa vcc, v5, v9 src0_sel:WORD_0 src1_sel:DWORD
	v_cndmask_b32_e32 v9, v10, v5, vcc
; %bb.732:
	s_or_b64 exec, exec, s[8:9]
	v_lshrrev_b32_e32 v5, 16, v9
	s_or_b64 exec, exec, s[6:7]
	v_and_b32_e32 v20, 0xffff, v5
	s_and_saveexec_b64 s[6:7], s[18:19]
	s_cbranch_execnz .LBB52_639
.LBB52_733:
	s_or_b64 exec, exec, s[6:7]
	v_and_b32_e32 v21, 0xffff, v6
	s_and_saveexec_b64 s[6:7], s[20:21]
	s_cbranch_execz .LBB52_644
.LBB52_734:
	v_lshlrev_b32_e32 v5, 16, v21
	v_add_f32_e32 v5, v22, v5
	s_mov_b32 s8, 0x7f800000
	v_and_b32_e32 v6, 0x7f800000, v5
	v_cmp_ne_u32_e32 vcc, s8, v6
                                        ; implicit-def: $vgpr6
	s_and_saveexec_b64 s[8:9], vcc
	s_xor_b64 s[8:9], exec, s[8:9]
; %bb.735:
	v_bfe_u32 v6, v5, 16, 1
	s_movk_i32 s10, 0x7fff
	v_add3_u32 v6, v5, v6, s10
                                        ; implicit-def: $vgpr5
; %bb.736:
	s_andn2_saveexec_b64 s[8:9], s[8:9]
; %bb.737:
	v_mov_b32_e32 v6, 0
	v_or_b32_e32 v7, 0x10000, v5
	v_cmp_eq_u32_sdwa vcc, v5, v6 src0_sel:WORD_0 src1_sel:DWORD
	v_cndmask_b32_e32 v6, v7, v5, vcc
; %bb.738:
	s_or_b64 exec, exec, s[8:9]
	v_lshrrev_b32_e32 v7, 16, v6
	s_or_b64 exec, exec, s[6:7]
	v_and_b32_e32 v22, 0xffff, v7
	s_and_saveexec_b64 s[6:7], s[22:23]
	s_cbranch_execnz .LBB52_645
.LBB52_739:
	s_or_b64 exec, exec, s[6:7]
	v_and_b32_e32 v23, 0xffff, v8
	s_and_saveexec_b64 s[6:7], s[24:25]
	s_cbranch_execz .LBB52_650
.LBB52_740:
	v_lshlrev_b32_e32 v1, 16, v23
	v_add_f32_e32 v1, v24, v1
	s_mov_b32 s8, 0x7f800000
	v_and_b32_e32 v5, 0x7f800000, v1
	v_cmp_ne_u32_e32 vcc, s8, v5
                                        ; implicit-def: $vgpr5
	s_and_saveexec_b64 s[8:9], vcc
	s_xor_b64 s[8:9], exec, s[8:9]
; %bb.741:
	v_bfe_u32 v5, v1, 16, 1
	s_movk_i32 s10, 0x7fff
	v_add3_u32 v5, v1, v5, s10
                                        ; implicit-def: $vgpr1
; %bb.742:
	s_andn2_saveexec_b64 s[8:9], s[8:9]
; %bb.743:
	v_mov_b32_e32 v5, 0
	v_or_b32_e32 v6, 0x10000, v1
	v_cmp_eq_u32_sdwa vcc, v1, v5 src0_sel:WORD_0 src1_sel:DWORD
	v_cndmask_b32_e32 v5, v6, v1, vcc
; %bb.744:
	s_or_b64 exec, exec, s[8:9]
	v_lshrrev_b32_e32 v1, 16, v5
	s_or_b64 exec, exec, s[6:7]
	v_and_b32_e32 v24, 0xffff, v1
	s_and_saveexec_b64 s[6:7], s[26:27]
	s_cbranch_execnz .LBB52_651
.LBB52_745:
	s_or_b64 exec, exec, s[6:7]
	v_and_b32_e32 v25, 0xffff, v2
	s_and_saveexec_b64 s[6:7], s[28:29]
	s_cbranch_execz .LBB52_656
.LBB52_746:
	v_lshlrev_b32_e32 v1, 16, v25
	v_add_f32_e32 v1, v26, v1
	s_mov_b32 s8, 0x7f800000
	v_and_b32_e32 v2, 0x7f800000, v1
	v_cmp_ne_u32_e32 vcc, s8, v2
                                        ; implicit-def: $vgpr2
	s_and_saveexec_b64 s[8:9], vcc
	s_xor_b64 s[8:9], exec, s[8:9]
; %bb.747:
	v_bfe_u32 v2, v1, 16, 1
	s_movk_i32 s10, 0x7fff
	v_add3_u32 v2, v1, v2, s10
                                        ; implicit-def: $vgpr1
; %bb.748:
	s_andn2_saveexec_b64 s[8:9], s[8:9]
; %bb.749:
	v_mov_b32_e32 v2, 0
	v_or_b32_e32 v3, 0x10000, v1
	v_cmp_eq_u32_sdwa vcc, v1, v2 src0_sel:WORD_0 src1_sel:DWORD
	v_cndmask_b32_e32 v2, v3, v1, vcc
; %bb.750:
	s_or_b64 exec, exec, s[8:9]
	v_lshrrev_b32_e32 v3, 16, v2
	s_or_b64 exec, exec, s[6:7]
	v_and_b32_e32 v26, 0xffff, v3
	s_and_saveexec_b64 s[6:7], s[30:31]
	s_cbranch_execnz .LBB52_657
.LBB52_751:
	s_or_b64 exec, exec, s[6:7]
	v_and_b32_e32 v13, 0xffff, v4
	s_and_saveexec_b64 s[6:7], s[34:35]
	s_cbranch_execz .LBB52_662
.LBB52_752:
	v_lshlrev_b32_e32 v1, 16, v13
	v_add_f32_e32 v1, v28, v1
	s_mov_b32 s8, 0x7f800000
	v_and_b32_e32 v2, 0x7f800000, v1
	v_cmp_ne_u32_e32 vcc, s8, v2
                                        ; implicit-def: $vgpr2
	s_and_saveexec_b64 s[8:9], vcc
	s_xor_b64 s[8:9], exec, s[8:9]
; %bb.753:
	v_bfe_u32 v2, v1, 16, 1
	s_movk_i32 s10, 0x7fff
	v_add3_u32 v2, v1, v2, s10
                                        ; implicit-def: $vgpr1
; %bb.754:
	s_andn2_saveexec_b64 s[8:9], s[8:9]
; %bb.755:
	v_mov_b32_e32 v2, 0
	v_or_b32_e32 v3, 0x10000, v1
	v_cmp_eq_u32_sdwa vcc, v1, v2 src0_sel:WORD_0 src1_sel:DWORD
	v_cndmask_b32_e32 v2, v3, v1, vcc
; %bb.756:
	s_or_b64 exec, exec, s[8:9]
	v_lshrrev_b32_e32 v14, 16, v2
	s_or_b64 exec, exec, s[6:7]
	s_and_saveexec_b64 s[6:7], s[2:3]
	s_cbranch_execnz .LBB52_663
	s_branch .LBB52_664
.LBB52_757:
	s_mov_b64 s[0:1], 0
                                        ; implicit-def: $vgpr3
	s_cbranch_execz .LBB52_759
; %bb.758:
	s_mov_b32 s4, 0x5040100
	v_mul_u32_u24_e32 v2, 28, v0
	s_waitcnt lgkmcnt(0)
	v_perm_b32 v3, v18, v17, s4
	v_perm_b32 v4, v16, v15, s4
	s_waitcnt vmcnt(0)
	s_barrier
	ds_write2_b32 v2, v4, v3 offset1:1
	v_perm_b32 v3, v22, v21, s4
	v_perm_b32 v4, v20, v19, s4
	;; [unrolled: 1-line block ×3, first 2 shown]
	ds_write2_b32 v2, v4, v3 offset0:2 offset1:3
	v_perm_b32 v3, v26, v25, s4
	v_perm_b32 v4, v24, v23, s4
	ds_write2_b32 v2, v4, v3 offset0:4 offset1:5
	ds_write_b32 v2, v1 offset:24
	v_mul_i32_i24_e32 v1, 0xffffffe6, v0
	v_mad_u32_u24 v1, v0, 28, v1
	s_waitcnt lgkmcnt(0)
	s_barrier
	ds_read_u16 v2, v1
	ds_read_u16 v4, v1 offset:512
	ds_read_u16 v5, v1 offset:1024
	;; [unrolled: 1-line block ×13, first 2 shown]
	v_lshlrev_b32_e32 v1, 1, v0
	v_mov_b32_e32 v16, s3
	v_add_co_u32_e32 v17, vcc, s2, v1
	v_addc_co_u32_e32 v16, vcc, 0, v16, vcc
	s_waitcnt lgkmcnt(13)
	global_store_short v1, v2, s[2:3]
	s_waitcnt lgkmcnt(12)
	global_store_short v1, v4, s[2:3] offset:512
	s_waitcnt lgkmcnt(11)
	global_store_short v1, v5, s[2:3] offset:1024
	;; [unrolled: 2-line block ×7, first 2 shown]
	v_add_co_u32_e32 v1, vcc, 0x1000, v17
	v_addc_co_u32_e32 v2, vcc, 0, v16, vcc
	s_or_b64 s[0:1], s[0:1], exec
	s_waitcnt lgkmcnt(5)
	global_store_short v[1:2], v11, off
	s_waitcnt lgkmcnt(4)
	global_store_short v[1:2], v12, off offset:512
	s_waitcnt lgkmcnt(3)
	global_store_short v[1:2], v13, off offset:1024
	;; [unrolled: 2-line block ×4, first 2 shown]
.LBB52_759:
	s_and_saveexec_b64 s[4:5], s[0:1]
	s_cbranch_execz .LBB52_761
; %bb.760:
	v_lshlrev_b32_e32 v0, 1, v0
	v_mov_b32_e32 v1, s3
	v_add_co_u32_e32 v0, vcc, s2, v0
	v_addc_co_u32_e32 v1, vcc, 0, v1, vcc
	v_add_co_u32_e32 v0, vcc, 0x1000, v0
	v_addc_co_u32_e32 v1, vcc, 0, v1, vcc
	s_waitcnt lgkmcnt(0)
	global_store_short v[0:1], v3, off offset:2560
	s_endpgm
.LBB52_761:
	s_endpgm
	.section	.rodata,"a",@progbits
	.p2align	6, 0x0
	.amdhsa_kernel _ZN7rocprim6detail25device_scan_by_key_kernelILNS0_25lookback_scan_determinismE0ELb0ENS0_26wrapped_scan_by_key_configINS_14default_configEi12hip_bfloat16EEPiN6hipcub22TransformInputIteratorIS5_NS8_6CastOpIS5_EEPS5_lEESC_S5_NS8_8EqualityENS8_3SumENS0_19lookback_scan_stateINS_5tupleIJS5_bEEELb0ELb1EEES5_EEvT2_T3_T4_T5_T6_T7_T8_mmmPKNSH_IJT9_bEEE
		.amdhsa_group_segment_fixed_size 16384
		.amdhsa_private_segment_fixed_size 0
		.amdhsa_kernarg_size 80
		.amdhsa_user_sgpr_count 6
		.amdhsa_user_sgpr_private_segment_buffer 1
		.amdhsa_user_sgpr_dispatch_ptr 0
		.amdhsa_user_sgpr_queue_ptr 0
		.amdhsa_user_sgpr_kernarg_segment_ptr 1
		.amdhsa_user_sgpr_dispatch_id 0
		.amdhsa_user_sgpr_flat_scratch_init 0
		.amdhsa_user_sgpr_private_segment_size 0
		.amdhsa_uses_dynamic_stack 0
		.amdhsa_system_sgpr_private_segment_wavefront_offset 0
		.amdhsa_system_sgpr_workgroup_id_x 1
		.amdhsa_system_sgpr_workgroup_id_y 0
		.amdhsa_system_sgpr_workgroup_id_z 0
		.amdhsa_system_sgpr_workgroup_info 0
		.amdhsa_system_vgpr_workitem_id 0
		.amdhsa_next_free_vgpr 49
		.amdhsa_next_free_sgpr 98
		.amdhsa_reserve_vcc 1
		.amdhsa_reserve_flat_scratch 0
		.amdhsa_float_round_mode_32 0
		.amdhsa_float_round_mode_16_64 0
		.amdhsa_float_denorm_mode_32 3
		.amdhsa_float_denorm_mode_16_64 3
		.amdhsa_dx10_clamp 1
		.amdhsa_ieee_mode 1
		.amdhsa_fp16_overflow 0
		.amdhsa_exception_fp_ieee_invalid_op 0
		.amdhsa_exception_fp_denorm_src 0
		.amdhsa_exception_fp_ieee_div_zero 0
		.amdhsa_exception_fp_ieee_overflow 0
		.amdhsa_exception_fp_ieee_underflow 0
		.amdhsa_exception_fp_ieee_inexact 0
		.amdhsa_exception_int_div_zero 0
	.end_amdhsa_kernel
	.section	.text._ZN7rocprim6detail25device_scan_by_key_kernelILNS0_25lookback_scan_determinismE0ELb0ENS0_26wrapped_scan_by_key_configINS_14default_configEi12hip_bfloat16EEPiN6hipcub22TransformInputIteratorIS5_NS8_6CastOpIS5_EEPS5_lEESC_S5_NS8_8EqualityENS8_3SumENS0_19lookback_scan_stateINS_5tupleIJS5_bEEELb0ELb1EEES5_EEvT2_T3_T4_T5_T6_T7_T8_mmmPKNSH_IJT9_bEEE,"axG",@progbits,_ZN7rocprim6detail25device_scan_by_key_kernelILNS0_25lookback_scan_determinismE0ELb0ENS0_26wrapped_scan_by_key_configINS_14default_configEi12hip_bfloat16EEPiN6hipcub22TransformInputIteratorIS5_NS8_6CastOpIS5_EEPS5_lEESC_S5_NS8_8EqualityENS8_3SumENS0_19lookback_scan_stateINS_5tupleIJS5_bEEELb0ELb1EEES5_EEvT2_T3_T4_T5_T6_T7_T8_mmmPKNSH_IJT9_bEEE,comdat
.Lfunc_end52:
	.size	_ZN7rocprim6detail25device_scan_by_key_kernelILNS0_25lookback_scan_determinismE0ELb0ENS0_26wrapped_scan_by_key_configINS_14default_configEi12hip_bfloat16EEPiN6hipcub22TransformInputIteratorIS5_NS8_6CastOpIS5_EEPS5_lEESC_S5_NS8_8EqualityENS8_3SumENS0_19lookback_scan_stateINS_5tupleIJS5_bEEELb0ELb1EEES5_EEvT2_T3_T4_T5_T6_T7_T8_mmmPKNSH_IJT9_bEEE, .Lfunc_end52-_ZN7rocprim6detail25device_scan_by_key_kernelILNS0_25lookback_scan_determinismE0ELb0ENS0_26wrapped_scan_by_key_configINS_14default_configEi12hip_bfloat16EEPiN6hipcub22TransformInputIteratorIS5_NS8_6CastOpIS5_EEPS5_lEESC_S5_NS8_8EqualityENS8_3SumENS0_19lookback_scan_stateINS_5tupleIJS5_bEEELb0ELb1EEES5_EEvT2_T3_T4_T5_T6_T7_T8_mmmPKNSH_IJT9_bEEE
                                        ; -- End function
	.set _ZN7rocprim6detail25device_scan_by_key_kernelILNS0_25lookback_scan_determinismE0ELb0ENS0_26wrapped_scan_by_key_configINS_14default_configEi12hip_bfloat16EEPiN6hipcub22TransformInputIteratorIS5_NS8_6CastOpIS5_EEPS5_lEESC_S5_NS8_8EqualityENS8_3SumENS0_19lookback_scan_stateINS_5tupleIJS5_bEEELb0ELb1EEES5_EEvT2_T3_T4_T5_T6_T7_T8_mmmPKNSH_IJT9_bEEE.num_vgpr, 45
	.set _ZN7rocprim6detail25device_scan_by_key_kernelILNS0_25lookback_scan_determinismE0ELb0ENS0_26wrapped_scan_by_key_configINS_14default_configEi12hip_bfloat16EEPiN6hipcub22TransformInputIteratorIS5_NS8_6CastOpIS5_EEPS5_lEESC_S5_NS8_8EqualityENS8_3SumENS0_19lookback_scan_stateINS_5tupleIJS5_bEEELb0ELb1EEES5_EEvT2_T3_T4_T5_T6_T7_T8_mmmPKNSH_IJT9_bEEE.num_agpr, 0
	.set _ZN7rocprim6detail25device_scan_by_key_kernelILNS0_25lookback_scan_determinismE0ELb0ENS0_26wrapped_scan_by_key_configINS_14default_configEi12hip_bfloat16EEPiN6hipcub22TransformInputIteratorIS5_NS8_6CastOpIS5_EEPS5_lEESC_S5_NS8_8EqualityENS8_3SumENS0_19lookback_scan_stateINS_5tupleIJS5_bEEELb0ELb1EEES5_EEvT2_T3_T4_T5_T6_T7_T8_mmmPKNSH_IJT9_bEEE.numbered_sgpr, 54
	.set _ZN7rocprim6detail25device_scan_by_key_kernelILNS0_25lookback_scan_determinismE0ELb0ENS0_26wrapped_scan_by_key_configINS_14default_configEi12hip_bfloat16EEPiN6hipcub22TransformInputIteratorIS5_NS8_6CastOpIS5_EEPS5_lEESC_S5_NS8_8EqualityENS8_3SumENS0_19lookback_scan_stateINS_5tupleIJS5_bEEELb0ELb1EEES5_EEvT2_T3_T4_T5_T6_T7_T8_mmmPKNSH_IJT9_bEEE.num_named_barrier, 0
	.set _ZN7rocprim6detail25device_scan_by_key_kernelILNS0_25lookback_scan_determinismE0ELb0ENS0_26wrapped_scan_by_key_configINS_14default_configEi12hip_bfloat16EEPiN6hipcub22TransformInputIteratorIS5_NS8_6CastOpIS5_EEPS5_lEESC_S5_NS8_8EqualityENS8_3SumENS0_19lookback_scan_stateINS_5tupleIJS5_bEEELb0ELb1EEES5_EEvT2_T3_T4_T5_T6_T7_T8_mmmPKNSH_IJT9_bEEE.private_seg_size, 0
	.set _ZN7rocprim6detail25device_scan_by_key_kernelILNS0_25lookback_scan_determinismE0ELb0ENS0_26wrapped_scan_by_key_configINS_14default_configEi12hip_bfloat16EEPiN6hipcub22TransformInputIteratorIS5_NS8_6CastOpIS5_EEPS5_lEESC_S5_NS8_8EqualityENS8_3SumENS0_19lookback_scan_stateINS_5tupleIJS5_bEEELb0ELb1EEES5_EEvT2_T3_T4_T5_T6_T7_T8_mmmPKNSH_IJT9_bEEE.uses_vcc, 1
	.set _ZN7rocprim6detail25device_scan_by_key_kernelILNS0_25lookback_scan_determinismE0ELb0ENS0_26wrapped_scan_by_key_configINS_14default_configEi12hip_bfloat16EEPiN6hipcub22TransformInputIteratorIS5_NS8_6CastOpIS5_EEPS5_lEESC_S5_NS8_8EqualityENS8_3SumENS0_19lookback_scan_stateINS_5tupleIJS5_bEEELb0ELb1EEES5_EEvT2_T3_T4_T5_T6_T7_T8_mmmPKNSH_IJT9_bEEE.uses_flat_scratch, 0
	.set _ZN7rocprim6detail25device_scan_by_key_kernelILNS0_25lookback_scan_determinismE0ELb0ENS0_26wrapped_scan_by_key_configINS_14default_configEi12hip_bfloat16EEPiN6hipcub22TransformInputIteratorIS5_NS8_6CastOpIS5_EEPS5_lEESC_S5_NS8_8EqualityENS8_3SumENS0_19lookback_scan_stateINS_5tupleIJS5_bEEELb0ELb1EEES5_EEvT2_T3_T4_T5_T6_T7_T8_mmmPKNSH_IJT9_bEEE.has_dyn_sized_stack, 0
	.set _ZN7rocprim6detail25device_scan_by_key_kernelILNS0_25lookback_scan_determinismE0ELb0ENS0_26wrapped_scan_by_key_configINS_14default_configEi12hip_bfloat16EEPiN6hipcub22TransformInputIteratorIS5_NS8_6CastOpIS5_EEPS5_lEESC_S5_NS8_8EqualityENS8_3SumENS0_19lookback_scan_stateINS_5tupleIJS5_bEEELb0ELb1EEES5_EEvT2_T3_T4_T5_T6_T7_T8_mmmPKNSH_IJT9_bEEE.has_recursion, 0
	.set _ZN7rocprim6detail25device_scan_by_key_kernelILNS0_25lookback_scan_determinismE0ELb0ENS0_26wrapped_scan_by_key_configINS_14default_configEi12hip_bfloat16EEPiN6hipcub22TransformInputIteratorIS5_NS8_6CastOpIS5_EEPS5_lEESC_S5_NS8_8EqualityENS8_3SumENS0_19lookback_scan_stateINS_5tupleIJS5_bEEELb0ELb1EEES5_EEvT2_T3_T4_T5_T6_T7_T8_mmmPKNSH_IJT9_bEEE.has_indirect_call, 0
	.section	.AMDGPU.csdata,"",@progbits
; Kernel info:
; codeLenInByte = 20256
; TotalNumSgprs: 58
; NumVgprs: 45
; ScratchSize: 0
; MemoryBound: 0
; FloatMode: 240
; IeeeMode: 1
; LDSByteSize: 16384 bytes/workgroup (compile time only)
; SGPRBlocks: 12
; VGPRBlocks: 12
; NumSGPRsForWavesPerEU: 102
; NumVGPRsForWavesPerEU: 49
; Occupancy: 4
; WaveLimiterHint : 1
; COMPUTE_PGM_RSRC2:SCRATCH_EN: 0
; COMPUTE_PGM_RSRC2:USER_SGPR: 6
; COMPUTE_PGM_RSRC2:TRAP_HANDLER: 0
; COMPUTE_PGM_RSRC2:TGID_X_EN: 1
; COMPUTE_PGM_RSRC2:TGID_Y_EN: 0
; COMPUTE_PGM_RSRC2:TGID_Z_EN: 0
; COMPUTE_PGM_RSRC2:TIDIG_COMP_CNT: 0
	.section	.text._ZN7rocprim6detail25device_scan_by_key_kernelILNS0_25lookback_scan_determinismE0ELb0ENS0_26wrapped_scan_by_key_configINS_14default_configEi12hip_bfloat16EEPiN6hipcub22TransformInputIteratorIS5_NS8_6CastOpIS5_EEPS5_lEESC_S5_NS8_8EqualityENS8_3MaxENS0_19lookback_scan_stateINS_5tupleIJS5_bEEELb1ELb1EEES5_EEvT2_T3_T4_T5_T6_T7_T8_mmmPKNSH_IJT9_bEEE,"axG",@progbits,_ZN7rocprim6detail25device_scan_by_key_kernelILNS0_25lookback_scan_determinismE0ELb0ENS0_26wrapped_scan_by_key_configINS_14default_configEi12hip_bfloat16EEPiN6hipcub22TransformInputIteratorIS5_NS8_6CastOpIS5_EEPS5_lEESC_S5_NS8_8EqualityENS8_3MaxENS0_19lookback_scan_stateINS_5tupleIJS5_bEEELb1ELb1EEES5_EEvT2_T3_T4_T5_T6_T7_T8_mmmPKNSH_IJT9_bEEE,comdat
	.protected	_ZN7rocprim6detail25device_scan_by_key_kernelILNS0_25lookback_scan_determinismE0ELb0ENS0_26wrapped_scan_by_key_configINS_14default_configEi12hip_bfloat16EEPiN6hipcub22TransformInputIteratorIS5_NS8_6CastOpIS5_EEPS5_lEESC_S5_NS8_8EqualityENS8_3MaxENS0_19lookback_scan_stateINS_5tupleIJS5_bEEELb1ELb1EEES5_EEvT2_T3_T4_T5_T6_T7_T8_mmmPKNSH_IJT9_bEEE ; -- Begin function _ZN7rocprim6detail25device_scan_by_key_kernelILNS0_25lookback_scan_determinismE0ELb0ENS0_26wrapped_scan_by_key_configINS_14default_configEi12hip_bfloat16EEPiN6hipcub22TransformInputIteratorIS5_NS8_6CastOpIS5_EEPS5_lEESC_S5_NS8_8EqualityENS8_3MaxENS0_19lookback_scan_stateINS_5tupleIJS5_bEEELb1ELb1EEES5_EEvT2_T3_T4_T5_T6_T7_T8_mmmPKNSH_IJT9_bEEE
	.globl	_ZN7rocprim6detail25device_scan_by_key_kernelILNS0_25lookback_scan_determinismE0ELb0ENS0_26wrapped_scan_by_key_configINS_14default_configEi12hip_bfloat16EEPiN6hipcub22TransformInputIteratorIS5_NS8_6CastOpIS5_EEPS5_lEESC_S5_NS8_8EqualityENS8_3MaxENS0_19lookback_scan_stateINS_5tupleIJS5_bEEELb1ELb1EEES5_EEvT2_T3_T4_T5_T6_T7_T8_mmmPKNSH_IJT9_bEEE
	.p2align	8
	.type	_ZN7rocprim6detail25device_scan_by_key_kernelILNS0_25lookback_scan_determinismE0ELb0ENS0_26wrapped_scan_by_key_configINS_14default_configEi12hip_bfloat16EEPiN6hipcub22TransformInputIteratorIS5_NS8_6CastOpIS5_EEPS5_lEESC_S5_NS8_8EqualityENS8_3MaxENS0_19lookback_scan_stateINS_5tupleIJS5_bEEELb1ELb1EEES5_EEvT2_T3_T4_T5_T6_T7_T8_mmmPKNSH_IJT9_bEEE,@function
_ZN7rocprim6detail25device_scan_by_key_kernelILNS0_25lookback_scan_determinismE0ELb0ENS0_26wrapped_scan_by_key_configINS_14default_configEi12hip_bfloat16EEPiN6hipcub22TransformInputIteratorIS5_NS8_6CastOpIS5_EEPS5_lEESC_S5_NS8_8EqualityENS8_3MaxENS0_19lookback_scan_stateINS_5tupleIJS5_bEEELb1ELb1EEES5_EEvT2_T3_T4_T5_T6_T7_T8_mmmPKNSH_IJT9_bEEE: ; @_ZN7rocprim6detail25device_scan_by_key_kernelILNS0_25lookback_scan_determinismE0ELb0ENS0_26wrapped_scan_by_key_configINS_14default_configEi12hip_bfloat16EEPiN6hipcub22TransformInputIteratorIS5_NS8_6CastOpIS5_EEPS5_lEESC_S5_NS8_8EqualityENS8_3MaxENS0_19lookback_scan_stateINS_5tupleIJS5_bEEELb1ELb1EEES5_EEvT2_T3_T4_T5_T6_T7_T8_mmmPKNSH_IJT9_bEEE
; %bb.0:
	s_endpgm
	.section	.rodata,"a",@progbits
	.p2align	6, 0x0
	.amdhsa_kernel _ZN7rocprim6detail25device_scan_by_key_kernelILNS0_25lookback_scan_determinismE0ELb0ENS0_26wrapped_scan_by_key_configINS_14default_configEi12hip_bfloat16EEPiN6hipcub22TransformInputIteratorIS5_NS8_6CastOpIS5_EEPS5_lEESC_S5_NS8_8EqualityENS8_3MaxENS0_19lookback_scan_stateINS_5tupleIJS5_bEEELb1ELb1EEES5_EEvT2_T3_T4_T5_T6_T7_T8_mmmPKNSH_IJT9_bEEE
		.amdhsa_group_segment_fixed_size 0
		.amdhsa_private_segment_fixed_size 0
		.amdhsa_kernarg_size 80
		.amdhsa_user_sgpr_count 6
		.amdhsa_user_sgpr_private_segment_buffer 1
		.amdhsa_user_sgpr_dispatch_ptr 0
		.amdhsa_user_sgpr_queue_ptr 0
		.amdhsa_user_sgpr_kernarg_segment_ptr 1
		.amdhsa_user_sgpr_dispatch_id 0
		.amdhsa_user_sgpr_flat_scratch_init 0
		.amdhsa_user_sgpr_private_segment_size 0
		.amdhsa_uses_dynamic_stack 0
		.amdhsa_system_sgpr_private_segment_wavefront_offset 0
		.amdhsa_system_sgpr_workgroup_id_x 1
		.amdhsa_system_sgpr_workgroup_id_y 0
		.amdhsa_system_sgpr_workgroup_id_z 0
		.amdhsa_system_sgpr_workgroup_info 0
		.amdhsa_system_vgpr_workitem_id 0
		.amdhsa_next_free_vgpr 1
		.amdhsa_next_free_sgpr 0
		.amdhsa_reserve_vcc 0
		.amdhsa_reserve_flat_scratch 0
		.amdhsa_float_round_mode_32 0
		.amdhsa_float_round_mode_16_64 0
		.amdhsa_float_denorm_mode_32 3
		.amdhsa_float_denorm_mode_16_64 3
		.amdhsa_dx10_clamp 1
		.amdhsa_ieee_mode 1
		.amdhsa_fp16_overflow 0
		.amdhsa_exception_fp_ieee_invalid_op 0
		.amdhsa_exception_fp_denorm_src 0
		.amdhsa_exception_fp_ieee_div_zero 0
		.amdhsa_exception_fp_ieee_overflow 0
		.amdhsa_exception_fp_ieee_underflow 0
		.amdhsa_exception_fp_ieee_inexact 0
		.amdhsa_exception_int_div_zero 0
	.end_amdhsa_kernel
	.section	.text._ZN7rocprim6detail25device_scan_by_key_kernelILNS0_25lookback_scan_determinismE0ELb0ENS0_26wrapped_scan_by_key_configINS_14default_configEi12hip_bfloat16EEPiN6hipcub22TransformInputIteratorIS5_NS8_6CastOpIS5_EEPS5_lEESC_S5_NS8_8EqualityENS8_3MaxENS0_19lookback_scan_stateINS_5tupleIJS5_bEEELb1ELb1EEES5_EEvT2_T3_T4_T5_T6_T7_T8_mmmPKNSH_IJT9_bEEE,"axG",@progbits,_ZN7rocprim6detail25device_scan_by_key_kernelILNS0_25lookback_scan_determinismE0ELb0ENS0_26wrapped_scan_by_key_configINS_14default_configEi12hip_bfloat16EEPiN6hipcub22TransformInputIteratorIS5_NS8_6CastOpIS5_EEPS5_lEESC_S5_NS8_8EqualityENS8_3MaxENS0_19lookback_scan_stateINS_5tupleIJS5_bEEELb1ELb1EEES5_EEvT2_T3_T4_T5_T6_T7_T8_mmmPKNSH_IJT9_bEEE,comdat
.Lfunc_end53:
	.size	_ZN7rocprim6detail25device_scan_by_key_kernelILNS0_25lookback_scan_determinismE0ELb0ENS0_26wrapped_scan_by_key_configINS_14default_configEi12hip_bfloat16EEPiN6hipcub22TransformInputIteratorIS5_NS8_6CastOpIS5_EEPS5_lEESC_S5_NS8_8EqualityENS8_3MaxENS0_19lookback_scan_stateINS_5tupleIJS5_bEEELb1ELb1EEES5_EEvT2_T3_T4_T5_T6_T7_T8_mmmPKNSH_IJT9_bEEE, .Lfunc_end53-_ZN7rocprim6detail25device_scan_by_key_kernelILNS0_25lookback_scan_determinismE0ELb0ENS0_26wrapped_scan_by_key_configINS_14default_configEi12hip_bfloat16EEPiN6hipcub22TransformInputIteratorIS5_NS8_6CastOpIS5_EEPS5_lEESC_S5_NS8_8EqualityENS8_3MaxENS0_19lookback_scan_stateINS_5tupleIJS5_bEEELb1ELb1EEES5_EEvT2_T3_T4_T5_T6_T7_T8_mmmPKNSH_IJT9_bEEE
                                        ; -- End function
	.set _ZN7rocprim6detail25device_scan_by_key_kernelILNS0_25lookback_scan_determinismE0ELb0ENS0_26wrapped_scan_by_key_configINS_14default_configEi12hip_bfloat16EEPiN6hipcub22TransformInputIteratorIS5_NS8_6CastOpIS5_EEPS5_lEESC_S5_NS8_8EqualityENS8_3MaxENS0_19lookback_scan_stateINS_5tupleIJS5_bEEELb1ELb1EEES5_EEvT2_T3_T4_T5_T6_T7_T8_mmmPKNSH_IJT9_bEEE.num_vgpr, 0
	.set _ZN7rocprim6detail25device_scan_by_key_kernelILNS0_25lookback_scan_determinismE0ELb0ENS0_26wrapped_scan_by_key_configINS_14default_configEi12hip_bfloat16EEPiN6hipcub22TransformInputIteratorIS5_NS8_6CastOpIS5_EEPS5_lEESC_S5_NS8_8EqualityENS8_3MaxENS0_19lookback_scan_stateINS_5tupleIJS5_bEEELb1ELb1EEES5_EEvT2_T3_T4_T5_T6_T7_T8_mmmPKNSH_IJT9_bEEE.num_agpr, 0
	.set _ZN7rocprim6detail25device_scan_by_key_kernelILNS0_25lookback_scan_determinismE0ELb0ENS0_26wrapped_scan_by_key_configINS_14default_configEi12hip_bfloat16EEPiN6hipcub22TransformInputIteratorIS5_NS8_6CastOpIS5_EEPS5_lEESC_S5_NS8_8EqualityENS8_3MaxENS0_19lookback_scan_stateINS_5tupleIJS5_bEEELb1ELb1EEES5_EEvT2_T3_T4_T5_T6_T7_T8_mmmPKNSH_IJT9_bEEE.numbered_sgpr, 0
	.set _ZN7rocprim6detail25device_scan_by_key_kernelILNS0_25lookback_scan_determinismE0ELb0ENS0_26wrapped_scan_by_key_configINS_14default_configEi12hip_bfloat16EEPiN6hipcub22TransformInputIteratorIS5_NS8_6CastOpIS5_EEPS5_lEESC_S5_NS8_8EqualityENS8_3MaxENS0_19lookback_scan_stateINS_5tupleIJS5_bEEELb1ELb1EEES5_EEvT2_T3_T4_T5_T6_T7_T8_mmmPKNSH_IJT9_bEEE.num_named_barrier, 0
	.set _ZN7rocprim6detail25device_scan_by_key_kernelILNS0_25lookback_scan_determinismE0ELb0ENS0_26wrapped_scan_by_key_configINS_14default_configEi12hip_bfloat16EEPiN6hipcub22TransformInputIteratorIS5_NS8_6CastOpIS5_EEPS5_lEESC_S5_NS8_8EqualityENS8_3MaxENS0_19lookback_scan_stateINS_5tupleIJS5_bEEELb1ELb1EEES5_EEvT2_T3_T4_T5_T6_T7_T8_mmmPKNSH_IJT9_bEEE.private_seg_size, 0
	.set _ZN7rocprim6detail25device_scan_by_key_kernelILNS0_25lookback_scan_determinismE0ELb0ENS0_26wrapped_scan_by_key_configINS_14default_configEi12hip_bfloat16EEPiN6hipcub22TransformInputIteratorIS5_NS8_6CastOpIS5_EEPS5_lEESC_S5_NS8_8EqualityENS8_3MaxENS0_19lookback_scan_stateINS_5tupleIJS5_bEEELb1ELb1EEES5_EEvT2_T3_T4_T5_T6_T7_T8_mmmPKNSH_IJT9_bEEE.uses_vcc, 0
	.set _ZN7rocprim6detail25device_scan_by_key_kernelILNS0_25lookback_scan_determinismE0ELb0ENS0_26wrapped_scan_by_key_configINS_14default_configEi12hip_bfloat16EEPiN6hipcub22TransformInputIteratorIS5_NS8_6CastOpIS5_EEPS5_lEESC_S5_NS8_8EqualityENS8_3MaxENS0_19lookback_scan_stateINS_5tupleIJS5_bEEELb1ELb1EEES5_EEvT2_T3_T4_T5_T6_T7_T8_mmmPKNSH_IJT9_bEEE.uses_flat_scratch, 0
	.set _ZN7rocprim6detail25device_scan_by_key_kernelILNS0_25lookback_scan_determinismE0ELb0ENS0_26wrapped_scan_by_key_configINS_14default_configEi12hip_bfloat16EEPiN6hipcub22TransformInputIteratorIS5_NS8_6CastOpIS5_EEPS5_lEESC_S5_NS8_8EqualityENS8_3MaxENS0_19lookback_scan_stateINS_5tupleIJS5_bEEELb1ELb1EEES5_EEvT2_T3_T4_T5_T6_T7_T8_mmmPKNSH_IJT9_bEEE.has_dyn_sized_stack, 0
	.set _ZN7rocprim6detail25device_scan_by_key_kernelILNS0_25lookback_scan_determinismE0ELb0ENS0_26wrapped_scan_by_key_configINS_14default_configEi12hip_bfloat16EEPiN6hipcub22TransformInputIteratorIS5_NS8_6CastOpIS5_EEPS5_lEESC_S5_NS8_8EqualityENS8_3MaxENS0_19lookback_scan_stateINS_5tupleIJS5_bEEELb1ELb1EEES5_EEvT2_T3_T4_T5_T6_T7_T8_mmmPKNSH_IJT9_bEEE.has_recursion, 0
	.set _ZN7rocprim6detail25device_scan_by_key_kernelILNS0_25lookback_scan_determinismE0ELb0ENS0_26wrapped_scan_by_key_configINS_14default_configEi12hip_bfloat16EEPiN6hipcub22TransformInputIteratorIS5_NS8_6CastOpIS5_EEPS5_lEESC_S5_NS8_8EqualityENS8_3MaxENS0_19lookback_scan_stateINS_5tupleIJS5_bEEELb1ELb1EEES5_EEvT2_T3_T4_T5_T6_T7_T8_mmmPKNSH_IJT9_bEEE.has_indirect_call, 0
	.section	.AMDGPU.csdata,"",@progbits
; Kernel info:
; codeLenInByte = 4
; TotalNumSgprs: 4
; NumVgprs: 0
; ScratchSize: 0
; MemoryBound: 0
; FloatMode: 240
; IeeeMode: 1
; LDSByteSize: 0 bytes/workgroup (compile time only)
; SGPRBlocks: 0
; VGPRBlocks: 0
; NumSGPRsForWavesPerEU: 4
; NumVGPRsForWavesPerEU: 1
; Occupancy: 10
; WaveLimiterHint : 0
; COMPUTE_PGM_RSRC2:SCRATCH_EN: 0
; COMPUTE_PGM_RSRC2:USER_SGPR: 6
; COMPUTE_PGM_RSRC2:TRAP_HANDLER: 0
; COMPUTE_PGM_RSRC2:TGID_X_EN: 1
; COMPUTE_PGM_RSRC2:TGID_Y_EN: 0
; COMPUTE_PGM_RSRC2:TGID_Z_EN: 0
; COMPUTE_PGM_RSRC2:TIDIG_COMP_CNT: 0
	.section	.text._ZN7rocprim6detail25device_scan_by_key_kernelILNS0_25lookback_scan_determinismE0ELb0ENS0_26wrapped_scan_by_key_configINS_14default_configEi12hip_bfloat16EEPiN6hipcub22TransformInputIteratorIS5_NS8_6CastOpIS5_EEPS5_lEESC_S5_NS8_8EqualityENS8_3MaxENS0_19lookback_scan_stateINS_5tupleIJS5_bEEELb0ELb1EEES5_EEvT2_T3_T4_T5_T6_T7_T8_mmmPKNSH_IJT9_bEEE,"axG",@progbits,_ZN7rocprim6detail25device_scan_by_key_kernelILNS0_25lookback_scan_determinismE0ELb0ENS0_26wrapped_scan_by_key_configINS_14default_configEi12hip_bfloat16EEPiN6hipcub22TransformInputIteratorIS5_NS8_6CastOpIS5_EEPS5_lEESC_S5_NS8_8EqualityENS8_3MaxENS0_19lookback_scan_stateINS_5tupleIJS5_bEEELb0ELb1EEES5_EEvT2_T3_T4_T5_T6_T7_T8_mmmPKNSH_IJT9_bEEE,comdat
	.protected	_ZN7rocprim6detail25device_scan_by_key_kernelILNS0_25lookback_scan_determinismE0ELb0ENS0_26wrapped_scan_by_key_configINS_14default_configEi12hip_bfloat16EEPiN6hipcub22TransformInputIteratorIS5_NS8_6CastOpIS5_EEPS5_lEESC_S5_NS8_8EqualityENS8_3MaxENS0_19lookback_scan_stateINS_5tupleIJS5_bEEELb0ELb1EEES5_EEvT2_T3_T4_T5_T6_T7_T8_mmmPKNSH_IJT9_bEEE ; -- Begin function _ZN7rocprim6detail25device_scan_by_key_kernelILNS0_25lookback_scan_determinismE0ELb0ENS0_26wrapped_scan_by_key_configINS_14default_configEi12hip_bfloat16EEPiN6hipcub22TransformInputIteratorIS5_NS8_6CastOpIS5_EEPS5_lEESC_S5_NS8_8EqualityENS8_3MaxENS0_19lookback_scan_stateINS_5tupleIJS5_bEEELb0ELb1EEES5_EEvT2_T3_T4_T5_T6_T7_T8_mmmPKNSH_IJT9_bEEE
	.globl	_ZN7rocprim6detail25device_scan_by_key_kernelILNS0_25lookback_scan_determinismE0ELb0ENS0_26wrapped_scan_by_key_configINS_14default_configEi12hip_bfloat16EEPiN6hipcub22TransformInputIteratorIS5_NS8_6CastOpIS5_EEPS5_lEESC_S5_NS8_8EqualityENS8_3MaxENS0_19lookback_scan_stateINS_5tupleIJS5_bEEELb0ELb1EEES5_EEvT2_T3_T4_T5_T6_T7_T8_mmmPKNSH_IJT9_bEEE
	.p2align	8
	.type	_ZN7rocprim6detail25device_scan_by_key_kernelILNS0_25lookback_scan_determinismE0ELb0ENS0_26wrapped_scan_by_key_configINS_14default_configEi12hip_bfloat16EEPiN6hipcub22TransformInputIteratorIS5_NS8_6CastOpIS5_EEPS5_lEESC_S5_NS8_8EqualityENS8_3MaxENS0_19lookback_scan_stateINS_5tupleIJS5_bEEELb0ELb1EEES5_EEvT2_T3_T4_T5_T6_T7_T8_mmmPKNSH_IJT9_bEEE,@function
_ZN7rocprim6detail25device_scan_by_key_kernelILNS0_25lookback_scan_determinismE0ELb0ENS0_26wrapped_scan_by_key_configINS_14default_configEi12hip_bfloat16EEPiN6hipcub22TransformInputIteratorIS5_NS8_6CastOpIS5_EEPS5_lEESC_S5_NS8_8EqualityENS8_3MaxENS0_19lookback_scan_stateINS_5tupleIJS5_bEEELb0ELb1EEES5_EEvT2_T3_T4_T5_T6_T7_T8_mmmPKNSH_IJT9_bEEE: ; @_ZN7rocprim6detail25device_scan_by_key_kernelILNS0_25lookback_scan_determinismE0ELb0ENS0_26wrapped_scan_by_key_configINS_14default_configEi12hip_bfloat16EEPiN6hipcub22TransformInputIteratorIS5_NS8_6CastOpIS5_EEPS5_lEESC_S5_NS8_8EqualityENS8_3MaxENS0_19lookback_scan_stateINS_5tupleIJS5_bEEELb0ELb1EEES5_EEvT2_T3_T4_T5_T6_T7_T8_mmmPKNSH_IJT9_bEEE
; %bb.0:
	s_load_dwordx4 s[0:3], s[4:5], 0x0
	s_load_dwordx8 s[40:47], s[4:5], 0x28
	s_load_dwordx2 s[48:49], s[4:5], 0x48
	s_mul_i32 s8, s6, 0xe00
	s_mov_b32 s9, 0
	s_lshl_b64 s[10:11], s[8:9], 2
	s_waitcnt lgkmcnt(0)
	s_add_u32 s50, s0, s10
	s_addc_u32 s51, s1, s11
	s_lshl_b64 s[38:39], s[8:9], 1
	s_add_u32 s36, s2, s38
	s_addc_u32 s37, s3, s39
	s_add_u32 s0, s44, s6
	s_addc_u32 s1, s45, 0
	s_add_u32 s8, s46, -1
	s_addc_u32 s9, s47, -1
	v_mov_b32_e32 v1, s8
	v_mov_b32_e32 v2, s9
	v_cmp_ge_u64_e64 s[0:1], s[0:1], v[1:2]
	s_mov_b64 s[2:3], -1
	s_and_b64 vcc, exec, s[0:1]
	s_mul_i32 s33, s8, 0xfffff200
	s_cbranch_vccz .LBB54_74
; %bb.1:
	s_load_dword s43, s[50:51], 0x0
	v_lshlrev_b32_e32 v3, 2, v0
	s_add_i32 s7, s33, s42
	v_mov_b32_e32 v2, s51
	v_add_co_u32_e32 v1, vcc, s50, v3
	v_addc_co_u32_e32 v2, vcc, 0, v2, vcc
	v_cmp_gt_u32_e64 s[2:3], s7, v0
	s_waitcnt lgkmcnt(0)
	v_mov_b32_e32 v4, s43
	s_and_saveexec_b64 s[8:9], s[2:3]
	s_cbranch_execz .LBB54_3
; %bb.2:
	global_load_dword v4, v[1:2], off
.LBB54_3:
	s_or_b64 exec, exec, s[8:9]
	v_or_b32_e32 v5, 0x100, v0
	v_cmp_gt_u32_e64 s[34:35], s7, v5
	v_mov_b32_e32 v5, s43
	s_and_saveexec_b64 s[8:9], s[34:35]
	s_cbranch_execz .LBB54_5
; %bb.4:
	global_load_dword v5, v[1:2], off offset:1024
.LBB54_5:
	s_or_b64 exec, exec, s[8:9]
	v_or_b32_e32 v6, 0x200, v0
	v_cmp_gt_u32_e64 s[8:9], s7, v6
	v_mov_b32_e32 v6, s43
	s_and_saveexec_b64 s[10:11], s[8:9]
	s_cbranch_execz .LBB54_7
; %bb.6:
	global_load_dword v6, v[1:2], off offset:2048
.LBB54_7:
	;; [unrolled: 9-line block ×3, first 2 shown]
	s_or_b64 exec, exec, s[12:13]
	v_or_b32_e32 v8, 0x400, v0
	v_cmp_gt_u32_e64 s[12:13], s7, v8
	v_mov_b32_e32 v8, s43
	s_and_saveexec_b64 s[14:15], s[12:13]
	s_cbranch_execz .LBB54_11
; %bb.10:
	v_add_co_u32_e32 v8, vcc, 0x1000, v1
	v_addc_co_u32_e32 v9, vcc, 0, v2, vcc
	global_load_dword v8, v[8:9], off
.LBB54_11:
	s_or_b64 exec, exec, s[14:15]
	v_or_b32_e32 v9, 0x500, v0
	v_cmp_gt_u32_e64 s[14:15], s7, v9
	v_mov_b32_e32 v9, s43
	s_and_saveexec_b64 s[16:17], s[14:15]
	s_cbranch_execz .LBB54_13
; %bb.12:
	v_add_co_u32_e32 v9, vcc, 0x1000, v1
	v_addc_co_u32_e32 v10, vcc, 0, v2, vcc
	global_load_dword v9, v[9:10], off offset:1024
.LBB54_13:
	s_or_b64 exec, exec, s[16:17]
	v_or_b32_e32 v10, 0x600, v0
	v_cmp_gt_u32_e64 s[16:17], s7, v10
	v_mov_b32_e32 v10, s43
	s_and_saveexec_b64 s[18:19], s[16:17]
	s_cbranch_execz .LBB54_15
; %bb.14:
	v_add_co_u32_e32 v10, vcc, 0x1000, v1
	v_addc_co_u32_e32 v11, vcc, 0, v2, vcc
	global_load_dword v10, v[10:11], off offset:2048
.LBB54_15:
	;; [unrolled: 11-line block ×3, first 2 shown]
	s_or_b64 exec, exec, s[20:21]
	v_or_b32_e32 v12, 0x800, v0
	v_cmp_gt_u32_e64 s[20:21], s7, v12
	v_mov_b32_e32 v12, s43
	s_and_saveexec_b64 s[22:23], s[20:21]
	s_cbranch_execz .LBB54_19
; %bb.18:
	v_add_co_u32_e32 v12, vcc, 0x2000, v1
	v_addc_co_u32_e32 v13, vcc, 0, v2, vcc
	global_load_dword v12, v[12:13], off
.LBB54_19:
	s_or_b64 exec, exec, s[22:23]
	v_or_b32_e32 v13, 0x900, v0
	v_cmp_gt_u32_e64 s[22:23], s7, v13
	v_mov_b32_e32 v13, s43
	s_and_saveexec_b64 s[24:25], s[22:23]
	s_cbranch_execz .LBB54_21
; %bb.20:
	v_add_co_u32_e32 v13, vcc, 0x2000, v1
	v_addc_co_u32_e32 v14, vcc, 0, v2, vcc
	global_load_dword v13, v[13:14], off offset:1024
.LBB54_21:
	s_or_b64 exec, exec, s[24:25]
	v_or_b32_e32 v14, 0xa00, v0
	v_cmp_gt_u32_e64 s[24:25], s7, v14
	v_mov_b32_e32 v14, s43
	s_and_saveexec_b64 s[26:27], s[24:25]
	s_cbranch_execz .LBB54_23
; %bb.22:
	v_add_co_u32_e32 v14, vcc, 0x2000, v1
	v_addc_co_u32_e32 v15, vcc, 0, v2, vcc
	global_load_dword v14, v[14:15], off offset:2048
.LBB54_23:
	;; [unrolled: 11-line block ×3, first 2 shown]
	s_or_b64 exec, exec, s[28:29]
	v_or_b32_e32 v16, 0xc00, v0
	v_cmp_gt_u32_e64 s[28:29], s7, v16
	v_mov_b32_e32 v16, s43
	s_and_saveexec_b64 s[30:31], s[28:29]
	s_cbranch_execz .LBB54_27
; %bb.26:
	v_add_co_u32_e32 v16, vcc, 0x3000, v1
	v_addc_co_u32_e32 v17, vcc, 0, v2, vcc
	global_load_dword v16, v[16:17], off
.LBB54_27:
	s_or_b64 exec, exec, s[30:31]
	v_or_b32_e32 v17, 0xd00, v0
	v_cmp_gt_u32_e64 s[30:31], s7, v17
	v_mov_b32_e32 v17, s43
	s_and_saveexec_b64 s[46:47], s[30:31]
	s_cbranch_execz .LBB54_29
; %bb.28:
	v_add_co_u32_e32 v1, vcc, 0x3000, v1
	v_addc_co_u32_e32 v2, vcc, 0, v2, vcc
	global_load_dword v17, v[1:2], off offset:1024
.LBB54_29:
	s_or_b64 exec, exec, s[46:47]
	s_sub_u32 s46, 0, s6
	s_subb_u32 s47, 0, 0
	s_cmp_eq_u64 s[44:45], s[46:47]
	s_cselect_b32 s46, 0, -4
	s_cselect_b32 s43, 0, -1
	s_add_u32 s46, s50, s46
	v_mad_u32_u24 v1, v0, 52, v3
	s_addc_u32 s47, s51, s43
	s_waitcnt vmcnt(0)
	ds_write2st64_b32 v3, v4, v5 offset1:4
	ds_write2st64_b32 v3, v6, v7 offset0:8 offset1:12
	ds_write2st64_b32 v3, v8, v9 offset0:16 offset1:20
	;; [unrolled: 1-line block ×6, first 2 shown]
	s_waitcnt lgkmcnt(0)
	s_barrier
	ds_read2_b64 v[21:24], v1 offset1:1
	ds_read2_b64 v[17:20], v1 offset0:2 offset1:3
	ds_read2_b64 v[13:16], v1 offset0:4 offset1:5
	ds_read_b64 v[29:30], v1 offset:48
	s_load_dword s43, s[46:47], 0x0
	s_movk_i32 s46, 0xffcc
	v_mad_i32_i24 v3, v0, s46, v1
	v_cmp_ne_u32_e32 vcc, 0, v0
	s_waitcnt lgkmcnt(0)
	ds_write_b32 v3, v30 offset:14336
	v_mov_b32_e32 v26, s43
	s_waitcnt lgkmcnt(0)
	s_barrier
	s_and_saveexec_b64 s[46:47], vcc
; %bb.30:
	ds_read_b32 v26, v3 offset:14332
; %bb.31:
	s_or_b64 exec, exec, s[46:47]
	v_lshlrev_b32_e32 v4, 1, v0
	v_mov_b32_e32 v2, s37
	v_add_co_u32_e32 v1, vcc, s36, v4
	v_addc_co_u32_e32 v2, vcc, 0, v2, vcc
	s_waitcnt lgkmcnt(0)
	s_barrier
                                        ; implicit-def: $vgpr5
	s_and_saveexec_b64 s[46:47], s[2:3]
	s_cbranch_execz .LBB54_142
; %bb.32:
	global_load_ushort v5, v[1:2], off
	s_or_b64 exec, exec, s[46:47]
                                        ; implicit-def: $vgpr6
	s_and_saveexec_b64 s[2:3], s[34:35]
	s_cbranch_execnz .LBB54_143
.LBB54_33:
	s_or_b64 exec, exec, s[2:3]
                                        ; implicit-def: $vgpr7
	s_and_saveexec_b64 s[2:3], s[8:9]
	s_cbranch_execz .LBB54_144
.LBB54_34:
	global_load_ushort v7, v[1:2], off offset:1024
	s_or_b64 exec, exec, s[2:3]
                                        ; implicit-def: $vgpr8
	s_and_saveexec_b64 s[2:3], s[10:11]
	s_cbranch_execnz .LBB54_145
.LBB54_35:
	s_or_b64 exec, exec, s[2:3]
                                        ; implicit-def: $vgpr9
	s_and_saveexec_b64 s[2:3], s[12:13]
	s_cbranch_execz .LBB54_146
.LBB54_36:
	global_load_ushort v9, v[1:2], off offset:2048
	s_or_b64 exec, exec, s[2:3]
                                        ; implicit-def: $vgpr10
	s_and_saveexec_b64 s[2:3], s[14:15]
	s_cbranch_execnz .LBB54_147
.LBB54_37:
	s_or_b64 exec, exec, s[2:3]
                                        ; implicit-def: $vgpr11
	s_and_saveexec_b64 s[2:3], s[16:17]
	s_cbranch_execz .LBB54_148
.LBB54_38:
	global_load_ushort v11, v[1:2], off offset:3072
	s_or_b64 exec, exec, s[2:3]
                                        ; implicit-def: $vgpr12
	s_and_saveexec_b64 s[2:3], s[18:19]
	s_cbranch_execnz .LBB54_149
.LBB54_39:
	s_or_b64 exec, exec, s[2:3]
                                        ; implicit-def: $vgpr25
	s_and_saveexec_b64 s[2:3], s[20:21]
	s_cbranch_execz .LBB54_150
.LBB54_40:
	v_add_co_u32_e32 v27, vcc, 0x1000, v1
	v_addc_co_u32_e32 v28, vcc, 0, v2, vcc
	global_load_ushort v25, v[27:28], off
	s_or_b64 exec, exec, s[2:3]
                                        ; implicit-def: $vgpr27
	s_and_saveexec_b64 s[2:3], s[22:23]
	s_cbranch_execnz .LBB54_151
.LBB54_41:
	s_or_b64 exec, exec, s[2:3]
                                        ; implicit-def: $vgpr28
	s_and_saveexec_b64 s[2:3], s[24:25]
	s_cbranch_execz .LBB54_152
.LBB54_42:
	v_add_co_u32_e32 v31, vcc, 0x1000, v1
	v_addc_co_u32_e32 v32, vcc, 0, v2, vcc
	global_load_ushort v28, v[31:32], off offset:1024
	s_or_b64 exec, exec, s[2:3]
                                        ; implicit-def: $vgpr31
	s_and_saveexec_b64 s[2:3], s[26:27]
	s_cbranch_execnz .LBB54_153
.LBB54_43:
	s_or_b64 exec, exec, s[2:3]
                                        ; implicit-def: $vgpr32
	s_and_saveexec_b64 s[2:3], s[28:29]
	s_cbranch_execz .LBB54_45
.LBB54_44:
	v_add_co_u32_e32 v32, vcc, 0x1000, v1
	v_addc_co_u32_e32 v33, vcc, 0, v2, vcc
	global_load_ushort v32, v[32:33], off offset:2048
.LBB54_45:
	s_or_b64 exec, exec, s[2:3]
	v_mul_u32_u24_e32 v34, 14, v0
                                        ; implicit-def: $vgpr33
	s_and_saveexec_b64 s[2:3], s[30:31]
	s_cbranch_execz .LBB54_47
; %bb.46:
	v_add_co_u32_e32 v1, vcc, 0x1000, v1
	v_addc_co_u32_e32 v2, vcc, 0, v2, vcc
	global_load_ushort v33, v[1:2], off offset:2560
.LBB54_47:
	s_or_b64 exec, exec, s[2:3]
	v_mov_b32_e32 v1, 0
	v_sub_u32_e32 v35, v3, v4
	v_mov_b32_e32 v4, v1
	s_waitcnt vmcnt(0)
	ds_write_b16 v35, v5
	ds_write_b16 v35, v6 offset:512
	ds_write_b16 v35, v7 offset:1024
	;; [unrolled: 1-line block ×13, first 2 shown]
	v_mov_b32_e32 v2, v1
	v_mov_b32_e32 v3, v1
	;; [unrolled: 1-line block ×4, first 2 shown]
	v_cmp_gt_u32_e32 vcc, s7, v34
	s_mov_b64 s[2:3], 0
	s_mov_b64 s[12:13], 0
	v_mov_b32_e32 v7, v3
	v_mov_b32_e32 v6, v2
	;; [unrolled: 1-line block ×8, first 2 shown]
	s_waitcnt lgkmcnt(0)
	s_barrier
                                        ; implicit-def: $sgpr8_sgpr9
                                        ; implicit-def: $vgpr33
	s_and_saveexec_b64 s[10:11], vcc
	s_cbranch_execz .LBB54_73
; %bb.48:
	v_mad_u32_u24 v1, v0, 26, v35
	ds_read_u16 v31, v1
	v_mov_b32_e32 v3, 0
	v_mov_b32_e32 v36, 0x10000
	v_cmp_eq_u32_e32 vcc, v26, v21
	v_or_b32_e32 v1, 1, v34
	v_mov_b32_e32 v4, v3
	v_cndmask_b32_e64 v32, v36, 0, vcc
	v_cmp_gt_u32_e32 vcc, s7, v1
	v_mov_b32_e32 v1, v3
	v_mov_b32_e32 v2, v3
	;; [unrolled: 1-line block ×4, first 2 shown]
	s_mov_b64 s[14:15], 0
	v_mov_b32_e32 v7, v3
	v_mov_b32_e32 v6, v2
	;; [unrolled: 1-line block ×6, first 2 shown]
                                        ; implicit-def: $sgpr8_sgpr9
                                        ; implicit-def: $vgpr33
	s_and_saveexec_b64 s[12:13], vcc
	s_cbranch_execz .LBB54_72
; %bb.49:
	v_mul_u32_u24_e32 v1, 26, v0
	v_add_u32_e32 v35, v35, v1
	ds_read_b128 v[25:28], v35 offset:2
	v_cmp_eq_u32_e32 vcc, v21, v22
	v_mov_b32_e32 v8, v3
	v_cndmask_b32_e64 v1, v36, 0, vcc
	s_mov_b32 s8, 0xffff
	v_add_u32_e32 v2, 2, v34
	v_mov_b32_e32 v5, v3
	v_mov_b32_e32 v6, v3
	;; [unrolled: 1-line block ×4, first 2 shown]
	s_waitcnt lgkmcnt(0)
	v_and_or_b32 v1, v25, s8, v1
	v_cmp_gt_u32_e32 vcc, s7, v2
	v_mov_b32_e32 v2, v3
	v_mov_b32_e32 v4, v3
	s_mov_b64 s[16:17], 0
	v_mov_b32_e32 v11, v7
	v_mov_b32_e32 v10, v6
	;; [unrolled: 1-line block ×3, first 2 shown]
                                        ; implicit-def: $sgpr8_sgpr9
                                        ; implicit-def: $vgpr33
	s_and_saveexec_b64 s[14:15], vcc
	s_cbranch_execz .LBB54_71
; %bb.50:
	v_mov_b32_e32 v5, 0
	v_mov_b32_e32 v21, 0x10000
	v_cmp_eq_u32_e32 vcc, v22, v23
	v_mov_b32_e32 v8, v5
	v_cndmask_b32_e64 v2, v21, 0, vcc
	v_add_u32_e32 v4, 3, v34
	v_mov_b32_e32 v6, v5
	v_mov_b32_e32 v7, v5
	;; [unrolled: 1-line block ×3, first 2 shown]
	s_mov_b32 s20, 0
	v_or_b32_sdwa v2, v2, v25 dst_sel:DWORD dst_unused:UNUSED_PAD src0_sel:DWORD src1_sel:WORD_1
	v_cmp_gt_u32_e32 vcc, s7, v4
	v_mov_b32_e32 v4, v3
	s_mov_b64 s[18:19], 0
	v_mov_b32_e32 v11, v7
	v_mov_b32_e32 v10, v6
	;; [unrolled: 1-line block ×3, first 2 shown]
                                        ; implicit-def: $sgpr8_sgpr9
                                        ; implicit-def: $vgpr33
	s_and_saveexec_b64 s[16:17], vcc
	s_cbranch_execz .LBB54_70
; %bb.51:
	v_cmp_eq_u32_e32 vcc, v23, v24
	v_mov_b32_e32 v8, v5
	v_cndmask_b32_e64 v3, v21, 0, vcc
	s_mov_b32 s8, 0xffff
	v_add_u32_e32 v4, 4, v34
	v_mov_b32_e32 v6, v5
	v_mov_b32_e32 v7, v5
	;; [unrolled: 1-line block ×3, first 2 shown]
	v_and_or_b32 v3, v26, s8, v3
	v_cmp_gt_u32_e32 vcc, s7, v4
	v_mov_b32_e32 v4, s20
	s_mov_b64 s[20:21], 0
	v_mov_b32_e32 v11, v7
	v_mov_b32_e32 v10, v6
	;; [unrolled: 1-line block ×3, first 2 shown]
                                        ; implicit-def: $sgpr8_sgpr9
                                        ; implicit-def: $vgpr33
	s_and_saveexec_b64 s[18:19], vcc
	s_cbranch_execz .LBB54_69
; %bb.52:
	v_mov_b32_e32 v7, 0
	v_mov_b32_e32 v21, 0x10000
	v_cmp_eq_u32_e32 vcc, v24, v17
	v_add_u32_e32 v5, 5, v34
	v_mov_b32_e32 v8, v7
	v_cndmask_b32_e64 v4, v21, 0, vcc
	v_cmp_gt_u32_e32 vcc, s7, v5
	v_mov_b32_e32 v5, v7
	v_mov_b32_e32 v6, v7
	v_mov_b32_e32 v12, v8
	v_or_b32_sdwa v4, v4, v26 dst_sel:DWORD dst_unused:UNUSED_PAD src0_sel:DWORD src1_sel:WORD_1
	s_mov_b64 s[22:23], 0
	v_mov_b32_e32 v11, v7
	v_mov_b32_e32 v10, v6
	;; [unrolled: 1-line block ×3, first 2 shown]
                                        ; implicit-def: $sgpr8_sgpr9
                                        ; implicit-def: $vgpr33
	s_and_saveexec_b64 s[20:21], vcc
	s_cbranch_execz .LBB54_68
; %bb.53:
	v_cmp_eq_u32_e32 vcc, v17, v18
	v_cndmask_b32_e64 v5, v21, 0, vcc
	s_mov_b32 s8, 0xffff
	v_add_u32_e32 v6, 6, v34
	v_and_or_b32 v5, v27, s8, v5
	v_cmp_gt_u32_e32 vcc, s7, v6
	v_mov_b32_e32 v6, v7
	v_mov_b32_e32 v8, v7
	;; [unrolled: 1-line block ×6, first 2 shown]
	s_mov_b64 s[24:25], 0
                                        ; implicit-def: $sgpr8_sgpr9
                                        ; implicit-def: $vgpr33
	s_and_saveexec_b64 s[22:23], vcc
	s_cbranch_execz .LBB54_67
; %bb.54:
	v_mov_b32_e32 v17, 0x10000
	v_cmp_eq_u32_e32 vcc, v18, v19
	v_cndmask_b32_e64 v6, v17, 0, vcc
	v_add_u32_e32 v8, 7, v34
	v_mov_b32_e32 v9, 0
	s_mov_b32 s28, 0
	v_or_b32_sdwa v6, v6, v27 dst_sel:DWORD dst_unused:UNUSED_PAD src0_sel:DWORD src1_sel:WORD_1
	v_cmp_gt_u32_e32 vcc, s7, v8
	v_mov_b32_e32 v8, v7
	v_mov_b32_e32 v10, v9
	;; [unrolled: 1-line block ×4, first 2 shown]
	s_mov_b64 s[26:27], 0
                                        ; implicit-def: $sgpr8_sgpr9
                                        ; implicit-def: $vgpr33
	s_and_saveexec_b64 s[24:25], vcc
	s_cbranch_execz .LBB54_66
; %bb.55:
	v_cmp_eq_u32_e32 vcc, v19, v20
	v_cndmask_b32_e64 v7, v17, 0, vcc
	s_mov_b32 s8, 0xffff
	v_add_u32_e32 v8, 8, v34
	v_and_or_b32 v7, v28, s8, v7
	v_cmp_gt_u32_e32 vcc, s7, v8
	v_mov_b32_e32 v8, s28
	v_mov_b32_e32 v10, v9
	;; [unrolled: 1-line block ×4, first 2 shown]
	s_mov_b64 s[28:29], 0
                                        ; implicit-def: $sgpr8_sgpr9
                                        ; implicit-def: $vgpr33
	s_and_saveexec_b64 s[26:27], vcc
	s_cbranch_execz .LBB54_65
; %bb.56:
	v_mov_b32_e32 v19, 0x10000
	v_cmp_eq_u32_e32 vcc, v20, v13
	v_cndmask_b32_e64 v8, v19, 0, vcc
	v_add_u32_e32 v9, 9, v34
	v_mov_b32_e32 v11, 0
	v_or_b32_sdwa v8, v8, v28 dst_sel:DWORD dst_unused:UNUSED_PAD src0_sel:DWORD src1_sel:WORD_1
	v_cmp_gt_u32_e32 vcc, s7, v9
	v_mov_b32_e32 v9, v11
	v_mov_b32_e32 v10, v11
	;; [unrolled: 1-line block ×3, first 2 shown]
	s_mov_b64 s[30:31], 0
                                        ; implicit-def: $sgpr8_sgpr9
                                        ; implicit-def: $vgpr33
	s_and_saveexec_b64 s[28:29], vcc
	s_cbranch_execz .LBB54_64
; %bb.57:
	ds_read_b64 v[17:18], v35 offset:18
	v_cmp_eq_u32_e32 vcc, v13, v14
	v_cndmask_b32_e64 v9, v19, 0, vcc
	s_mov_b32 s8, 0xffff
	v_add_u32_e32 v10, 10, v34
	s_waitcnt lgkmcnt(0)
	v_and_or_b32 v9, v17, s8, v9
	v_cmp_gt_u32_e32 vcc, s7, v10
	v_mov_b32_e32 v10, v11
	v_mov_b32_e32 v12, v11
	s_mov_b64 s[34:35], 0
                                        ; implicit-def: $sgpr8_sgpr9
                                        ; implicit-def: $vgpr33
	s_and_saveexec_b64 s[30:31], vcc
	s_cbranch_execz .LBB54_63
; %bb.58:
	v_mov_b32_e32 v13, 0x10000
	v_cmp_eq_u32_e32 vcc, v14, v15
	v_cndmask_b32_e64 v10, v13, 0, vcc
	v_add_u32_e32 v12, 11, v34
	s_mov_b32 s43, 0
	v_or_b32_sdwa v10, v10, v17 dst_sel:DWORD dst_unused:UNUSED_PAD src0_sel:DWORD src1_sel:WORD_1
	v_cmp_gt_u32_e32 vcc, s7, v12
	v_mov_b32_e32 v12, v11
	s_mov_b64 s[46:47], 0
                                        ; implicit-def: $sgpr8_sgpr9
                                        ; implicit-def: $vgpr33
	s_and_saveexec_b64 s[34:35], vcc
	s_cbranch_execz .LBB54_62
; %bb.59:
	v_cmp_eq_u32_e32 vcc, v15, v16
	v_cndmask_b32_e64 v11, v13, 0, vcc
	s_mov_b32 s8, 0xffff
	v_add_u32_e32 v12, 12, v34
	v_and_or_b32 v11, v18, s8, v11
	v_cmp_gt_u32_e32 vcc, s7, v12
	v_mov_b32_e32 v12, s43
	s_mov_b64 s[52:53], 0
                                        ; implicit-def: $sgpr8_sgpr9
                                        ; implicit-def: $vgpr33
	s_and_saveexec_b64 s[46:47], vcc
	s_xor_b64 s[46:47], exec, s[46:47]
	s_cbranch_execz .LBB54_61
; %bb.60:
	ds_read_u16 v33, v35 offset:26
	v_mov_b32_e32 v12, 0x10000
	v_cmp_eq_u32_e32 vcc, v16, v29
	v_add_u32_e32 v13, 13, v34
	v_cndmask_b32_e64 v12, v12, 0, vcc
	v_cmp_gt_u32_e32 vcc, s7, v13
	v_cmp_ne_u32_e64 s[8:9], v29, v30
	v_or_b32_sdwa v12, v12, v18 dst_sel:DWORD dst_unused:UNUSED_PAD src0_sel:DWORD src1_sel:WORD_1
	s_and_b64 s[52:53], vcc, exec
.LBB54_61:
	s_or_b64 exec, exec, s[46:47]
	s_and_b64 s[46:47], s[52:53], exec
.LBB54_62:
	s_or_b64 exec, exec, s[34:35]
	s_and_b64 s[34:35], s[46:47], exec
.LBB54_63:
	s_or_b64 exec, exec, s[30:31]
	s_and_b64 s[30:31], s[34:35], exec
.LBB54_64:
	s_or_b64 exec, exec, s[28:29]
	s_and_b64 s[28:29], s[30:31], exec
.LBB54_65:
	s_or_b64 exec, exec, s[26:27]
	s_and_b64 s[26:27], s[28:29], exec
.LBB54_66:
	s_or_b64 exec, exec, s[24:25]
	s_and_b64 s[24:25], s[26:27], exec
.LBB54_67:
	s_or_b64 exec, exec, s[22:23]
	s_and_b64 s[22:23], s[24:25], exec
.LBB54_68:
	s_or_b64 exec, exec, s[20:21]
	s_and_b64 s[20:21], s[22:23], exec
.LBB54_69:
	s_or_b64 exec, exec, s[18:19]
	s_and_b64 s[18:19], s[20:21], exec
.LBB54_70:
	s_or_b64 exec, exec, s[16:17]
	s_and_b64 s[16:17], s[18:19], exec
.LBB54_71:
	s_or_b64 exec, exec, s[14:15]
	s_and_b64 s[14:15], s[16:17], exec
.LBB54_72:
	s_or_b64 exec, exec, s[12:13]
	s_waitcnt lgkmcnt(0)
	v_or_b32_e32 v27, v32, v31
	s_and_b64 s[12:13], s[14:15], exec
	v_mov_b32_e32 v25, v27
.LBB54_73:
	s_or_b64 exec, exec, s[10:11]
	s_and_b64 vcc, exec, s[2:3]
	v_cmp_ne_u32_e64 s[2:3], 0, v0
	s_cbranch_vccnz .LBB54_75
	s_branch .LBB54_78
.LBB54_74:
	s_mov_b64 s[12:13], 0
                                        ; implicit-def: $sgpr8_sgpr9
                                        ; implicit-def: $vgpr1_vgpr2_vgpr3_vgpr4
                                        ; implicit-def: $vgpr5_vgpr6_vgpr7_vgpr8
                                        ; implicit-def: $vgpr33
                                        ; implicit-def: $vgpr27
                                        ; implicit-def: $vgpr9_vgpr10_vgpr11_vgpr12
                                        ; implicit-def: $vgpr25
	s_and_b64 vcc, exec, s[2:3]
	v_cmp_ne_u32_e64 s[2:3], 0, v0
	s_cbranch_vccz .LBB54_78
.LBB54_75:
	v_lshlrev_b32_e32 v5, 2, v0
	v_mov_b32_e32 v1, s51
	v_add_co_u32_e32 v3, vcc, s50, v5
	v_addc_co_u32_e32 v4, vcc, 0, v1, vcc
	v_add_co_u32_e32 v1, vcc, 0x1000, v3
	v_addc_co_u32_e32 v2, vcc, 0, v4, vcc
	global_load_dword v6, v5, s[50:51]
	global_load_dword v7, v5, s[50:51] offset:1024
	global_load_dword v8, v5, s[50:51] offset:2048
	;; [unrolled: 1-line block ×3, first 2 shown]
	global_load_dword v10, v[1:2], off
	global_load_dword v11, v[1:2], off offset:1024
	global_load_dword v12, v[1:2], off offset:2048
	;; [unrolled: 1-line block ×3, first 2 shown]
	v_add_co_u32_e32 v1, vcc, 0x2000, v3
	v_addc_co_u32_e32 v2, vcc, 0, v4, vcc
	v_add_co_u32_e32 v3, vcc, 0x3000, v3
	v_addc_co_u32_e32 v4, vcc, 0, v4, vcc
	global_load_dword v14, v[1:2], off
	global_load_dword v15, v[1:2], off offset:1024
	global_load_dword v16, v[1:2], off offset:2048
	;; [unrolled: 1-line block ×3, first 2 shown]
	global_load_dword v19, v[3:4], off
	global_load_dword v20, v[3:4], off offset:1024
	s_sub_u32 s8, 0, s6
	s_subb_u32 s9, 0, 0
	s_cmp_eq_u64 s[44:45], s[8:9]
	s_cselect_b32 s8, 0, -4
	s_cselect_b32 s9, 0, -1
	s_add_u32 s8, s50, s8
	v_mad_u32_u24 v21, v0, 52, v5
	s_addc_u32 s9, s51, s9
	s_movk_i32 s10, 0xffcc
	s_movk_i32 s7, 0x1000
	v_mad_i32_i24 v17, v0, s10, v21
	s_waitcnt vmcnt(12)
	ds_write2st64_b32 v5, v6, v7 offset1:4
	s_waitcnt vmcnt(10)
	ds_write2st64_b32 v5, v8, v9 offset0:8 offset1:12
	s_waitcnt vmcnt(8)
	ds_write2st64_b32 v5, v10, v11 offset0:16 offset1:20
	;; [unrolled: 2-line block ×6, first 2 shown]
	s_waitcnt lgkmcnt(0)
	s_barrier
	ds_read2_b32 v[13:14], v21 offset0:11 offset1:12
	ds_read_b32 v19, v21 offset:52
	ds_read2_b64 v[9:12], v21 offset1:1
	ds_read2_b64 v[5:8], v21 offset0:2 offset1:3
	ds_read2_b64 v[1:4], v21 offset0:4 offset1:5
	ds_read2_b32 v[15:16], v21 offset0:9 offset1:10
	s_load_dword s8, s[8:9], 0x0
	s_waitcnt lgkmcnt(0)
	ds_write_b32 v17, v19 offset:14336
	s_waitcnt lgkmcnt(0)
	s_barrier
	v_mov_b32_e32 v18, s8
	s_and_saveexec_b64 s[8:9], s[2:3]
; %bb.76:
	ds_read_b32 v18, v17 offset:14332
; %bb.77:
	s_or_b64 exec, exec, s[8:9]
	v_lshlrev_b32_e32 v22, 1, v0
	v_mov_b32_e32 v20, s37
	v_add_co_u32_e32 v21, vcc, s36, v22
	v_addc_co_u32_e32 v23, vcc, 0, v20, vcc
	v_add_co_u32_e32 v20, vcc, s7, v21
	v_addc_co_u32_e32 v21, vcc, 0, v23, vcc
	s_waitcnt lgkmcnt(0)
	s_barrier
	global_load_ushort v24, v22, s[36:37]
	global_load_ushort v25, v22, s[36:37] offset:512
	global_load_ushort v26, v22, s[36:37] offset:1024
	;; [unrolled: 1-line block ×7, first 2 shown]
	global_load_ushort v23, v[20:21], off
	global_load_ushort v32, v[20:21], off offset:512
	global_load_ushort v33, v[20:21], off offset:1024
	;; [unrolled: 1-line block ×5, first 2 shown]
	v_cmp_ne_u32_e64 s[8:9], v14, v19
	v_mov_b32_e32 v19, 0x10000
	v_cmp_eq_u32_e32 vcc, v18, v9
	v_cndmask_b32_e64 v18, v19, 0, vcc
	v_cmp_ne_u32_e32 vcc, v10, v11
	v_cndmask_b32_e32 v20, 0, v19, vcc
	v_cmp_ne_u32_e32 vcc, v12, v5
	v_cndmask_b32_e32 v21, 0, v19, vcc
	v_cmp_ne_u32_e32 vcc, v9, v10
	v_sub_u32_e32 v17, v17, v22
	v_cndmask_b32_e32 v22, 0, v19, vcc
	v_cmp_ne_u32_e32 vcc, v11, v12
	v_cndmask_b32_e32 v11, 0, v19, vcc
	v_cmp_ne_u32_e32 vcc, v6, v7
	v_cndmask_b32_e32 v12, 0, v19, vcc
	v_cmp_ne_u32_e32 vcc, v8, v1
	v_cndmask_b32_e32 v37, 0, v19, vcc
	v_cmp_ne_u32_e32 vcc, v5, v6
	v_cndmask_b32_e32 v5, 0, v19, vcc
	v_cmp_ne_u32_e32 vcc, v7, v8
	v_cndmask_b32_e32 v6, 0, v19, vcc
	v_cmp_ne_u32_e32 vcc, v2, v16
	v_cndmask_b32_e32 v16, 0, v19, vcc
	v_cmp_ne_u32_e32 vcc, v4, v14
	v_cndmask_b32_e32 v38, 0, v19, vcc
	v_cmp_ne_u32_e32 vcc, v1, v15
	v_mad_u32_u24 v1, v0, 26, v17
	v_cndmask_b32_e32 v15, 0, v19, vcc
	v_cmp_ne_u32_e32 vcc, v3, v13
	s_mov_b32 s2, 0xffff
	s_mov_b64 s[12:13], -1
	s_waitcnt vmcnt(13)
	ds_write_b16 v17, v24
	s_waitcnt vmcnt(12)
	ds_write_b16 v17, v25 offset:512
	s_waitcnt vmcnt(11)
	ds_write_b16 v17, v26 offset:1024
	;; [unrolled: 2-line block ×13, first 2 shown]
	s_waitcnt lgkmcnt(0)
	s_barrier
	ds_read_u16 v2, v1
	ds_read_b128 v[7:10], v1 offset:2
	ds_read_b64 v[13:14], v1 offset:18
	ds_read_u16 v33, v1 offset:26
	v_cndmask_b32_e32 v17, 0, v19, vcc
	s_waitcnt lgkmcnt(3)
	v_or_b32_e32 v27, v18, v2
	s_waitcnt lgkmcnt(2)
	v_and_or_b32 v3, v8, s2, v11
	v_and_or_b32 v1, v7, s2, v22
	v_or_b32_sdwa v4, v21, v8 dst_sel:DWORD dst_unused:UNUSED_PAD src0_sel:DWORD src1_sel:WORD_1
	v_or_b32_sdwa v2, v20, v7 dst_sel:DWORD dst_unused:UNUSED_PAD src0_sel:DWORD src1_sel:WORD_1
	v_and_or_b32 v7, v10, s2, v6
	v_and_or_b32 v5, v9, s2, v5
	v_or_b32_sdwa v8, v37, v10 dst_sel:DWORD dst_unused:UNUSED_PAD src0_sel:DWORD src1_sel:WORD_1
	v_or_b32_sdwa v6, v12, v9 dst_sel:DWORD dst_unused:UNUSED_PAD src0_sel:DWORD src1_sel:WORD_1
	s_waitcnt lgkmcnt(1)
	v_and_or_b32 v11, v14, s2, v17
	v_and_or_b32 v9, v13, s2, v15
	v_or_b32_sdwa v12, v38, v14 dst_sel:DWORD dst_unused:UNUSED_PAD src0_sel:DWORD src1_sel:WORD_1
	v_or_b32_sdwa v10, v16, v13 dst_sel:DWORD dst_unused:UNUSED_PAD src0_sel:DWORD src1_sel:WORD_1
	v_mov_b32_e32 v25, v27
.LBB54_78:
	v_mov_b32_e32 v22, 0
	s_and_saveexec_b64 s[2:3], s[12:13]
	s_cbranch_execz .LBB54_80
; %bb.79:
	v_mov_b32_e32 v13, 0x10000
	v_cndmask_b32_e64 v13, 0, v13, s[8:9]
	s_waitcnt lgkmcnt(0)
	v_or_b32_sdwa v22, v13, v33 dst_sel:DWORD dst_unused:UNUSED_PAD src0_sel:DWORD src1_sel:WORD_0
	v_mov_b32_e32 v25, v27
.LBB54_80:
	s_or_b64 exec, exec, s[2:3]
	s_cmp_lg_u32 s6, 0
	v_lshlrev_b32_e32 v36, 16, v1
	v_lshlrev_b32_e32 v35, 16, v2
	;; [unrolled: 1-line block ×3, first 2 shown]
	s_waitcnt lgkmcnt(0)
	v_lshlrev_b32_e32 v33, 16, v4
	v_lshlrev_b32_e32 v32, 16, v5
	;; [unrolled: 1-line block ×10, first 2 shown]
	v_mbcnt_lo_u32_b32 v37, -1, 0
	s_barrier
	s_cbranch_scc0 .LBB54_154
; %bb.81:
	v_lshlrev_b32_e32 v38, 16, v25
	s_mov_b32 s7, 0x10000
	v_cmp_lt_f32_e32 vcc, v38, v36
	v_cndmask_b32_e32 v13, v25, v1, vcc
	v_cmp_gt_u32_e64 s[2:3], s7, v1
	v_cndmask_b32_e64 v13, v1, v13, s[2:3]
	v_lshlrev_b32_e32 v14, 16, v13
	v_cmp_lt_f32_e32 vcc, v14, v35
	v_cndmask_b32_e32 v13, v13, v2, vcc
	v_cmp_gt_u32_e64 s[34:35], s7, v2
	v_cndmask_b32_e64 v13, v2, v13, s[34:35]
	v_lshlrev_b32_e32 v14, 16, v13
	;; [unrolled: 5-line block ×7, first 2 shown]
	v_cmp_lt_f32_e32 vcc, v14, v29
	v_or_b32_e32 v14, v7, v8
	v_cndmask_b32_e32 v13, v13, v8, vcc
	v_cmp_gt_u32_e64 s[18:19], s7, v8
	v_or3_b32 v14, v14, v6, v5
	v_cndmask_b32_e64 v13, v8, v13, s[18:19]
	v_or3_b32 v14, v14, v4, v3
	v_or3_b32 v16, v14, v2, v1
	v_lshlrev_b32_e32 v14, 16, v13
	v_cmp_lt_f32_e32 vcc, v14, v28
	v_cndmask_b32_e32 v13, v13, v9, vcc
	v_cmp_gt_u32_e64 s[20:21], s7, v9
	v_cndmask_b32_e64 v13, v9, v13, s[20:21]
	v_lshlrev_b32_e32 v14, 16, v13
	v_cmp_lt_f32_e32 vcc, v14, v27
	v_cndmask_b32_e32 v13, v13, v10, vcc
	v_cmp_gt_u32_e64 s[22:23], s7, v10
	v_cndmask_b32_e64 v13, v10, v13, s[22:23]
	;; [unrolled: 5-line block ×4, first 2 shown]
	v_or_b32_e32 v14, v11, v12
	v_or3_b32 v17, v14, v10, v9
	v_lshlrev_b32_e32 v14, 16, v13
	v_cmp_lt_f32_e32 vcc, v14, v23
	v_cndmask_b32_e32 v13, v13, v22, vcc
	v_cmp_gt_u32_e64 s[28:29], s7, v22
	v_cndmask_b32_e64 v14, v22, v13, s[28:29]
	v_or3_b32 v13, v22, v17, v16
	v_and_b32_e32 v13, 0xff0000, v13
	v_and_b32_e32 v15, 0x10000, v25
	v_mov_b32_e32 v16, 0x10000
	v_cmp_eq_u32_e32 vcc, 0, v13
	v_cndmask_b32_e32 v16, v16, v15, vcc
	v_mbcnt_hi_u32_b32 v15, -1, v37
	v_and_b32_e32 v19, 15, v15
	v_or_b32_sdwa v18, v16, v14 dst_sel:DWORD dst_unused:UNUSED_PAD src0_sel:DWORD src1_sel:WORD_0
	v_lshrrev_b32_e32 v13, 16, v16
	v_cmp_ne_u32_e32 vcc, 0, v19
	v_mov_b32_dpp v17, v18 row_shr:1 row_mask:0xf bank_mask:0xf
	s_and_saveexec_b64 s[30:31], vcc
	s_cbranch_execz .LBB54_83
; %bb.82:
	v_and_b32_e32 v13, 0x10000, v16
	v_mov_b32_e32 v18, 1
	v_and_b32_sdwa v18, v17, v18 dst_sel:DWORD dst_unused:UNUSED_PAD src0_sel:WORD_1 src1_sel:DWORD
	v_cmp_ne_u32_e32 vcc, 0, v13
	v_mov_b32_e32 v20, 16
	v_cndmask_b32_e64 v13, v18, 1, vcc
	v_lshlrev_b32_e32 v18, 16, v17
	v_lshlrev_b32_sdwa v20, v20, v14 dst_sel:DWORD dst_unused:UNUSED_PAD src0_sel:DWORD src1_sel:WORD_0
	v_cmp_lt_f32_e32 vcc, v18, v20
	v_cndmask_b32_e32 v17, v17, v14, vcc
	v_cmp_eq_u32_e32 vcc, 0, v16
	v_cndmask_b32_e32 v14, v14, v17, vcc
	v_lshlrev_b32_e32 v16, 16, v13
	v_or_b32_sdwa v18, v16, v14 dst_sel:DWORD dst_unused:UNUSED_PAD src0_sel:DWORD src1_sel:WORD_0
.LBB54_83:
	s_or_b64 exec, exec, s[30:31]
	v_lshrrev_b32_e32 v17, 16, v18
	v_mov_b32_dpp v20, v18 row_shr:2 row_mask:0xf bank_mask:0xf
	v_cmp_lt_u32_e32 vcc, 1, v19
	v_mov_b32_e32 v16, v18
	s_and_saveexec_b64 s[30:31], vcc
	s_cbranch_execz .LBB54_85
; %bb.84:
	v_and_b32_e32 v13, 0x10000, v18
	v_mov_b32_e32 v14, 1
	v_and_b32_sdwa v14, v20, v14 dst_sel:DWORD dst_unused:UNUSED_PAD src0_sel:WORD_1 src1_sel:DWORD
	v_cmp_ne_u32_e32 vcc, 0, v13
	v_cndmask_b32_e64 v13, v14, 1, vcc
	v_lshlrev_b32_e32 v14, 16, v20
	v_lshlrev_b32_e32 v16, 16, v18
	v_cmp_lt_f32_e32 vcc, v14, v16
	v_cndmask_b32_e32 v14, v20, v18, vcc
	v_cmp_gt_u32_e32 vcc, s7, v18
	v_cndmask_b32_e32 v14, v18, v14, vcc
	v_lshlrev_b32_e32 v16, 16, v13
	v_or_b32_sdwa v18, v16, v14 dst_sel:DWORD dst_unused:UNUSED_PAD src0_sel:DWORD src1_sel:WORD_0
	v_mov_b32_e32 v16, v14
	v_mov_b32_e32 v17, v13
.LBB54_85:
	s_or_b64 exec, exec, s[30:31]
	v_mov_b32_dpp v20, v18 row_shr:4 row_mask:0xf bank_mask:0xf
	v_cmp_lt_u32_e32 vcc, 3, v19
	s_and_saveexec_b64 s[30:31], vcc
	s_cbranch_execz .LBB54_87
; %bb.86:
	v_and_b32_e32 v13, 1, v17
	v_mov_b32_e32 v14, 1
	v_and_b32_sdwa v14, v20, v14 dst_sel:DWORD dst_unused:UNUSED_PAD src0_sel:WORD_1 src1_sel:DWORD
	v_cmp_eq_u32_e32 vcc, 1, v13
	v_cndmask_b32_e64 v13, v14, 1, vcc
	v_lshlrev_b32_e32 v14, 16, v20
	v_lshlrev_b32_e32 v18, 16, v16
	v_cmp_lt_f32_e32 vcc, v14, v18
	v_cndmask_b32_e32 v14, v20, v16, vcc
	v_cmp_eq_u16_e32 vcc, 0, v17
	v_cndmask_b32_e32 v14, v16, v14, vcc
	v_lshlrev_b32_e32 v16, 16, v13
	v_or_b32_sdwa v18, v16, v14 dst_sel:DWORD dst_unused:UNUSED_PAD src0_sel:DWORD src1_sel:WORD_0
	v_mov_b32_e32 v16, v14
	v_mov_b32_e32 v17, v13
.LBB54_87:
	s_or_b64 exec, exec, s[30:31]
	v_mov_b32_dpp v20, v18 row_shr:8 row_mask:0xf bank_mask:0xf
	v_cmp_lt_u32_e32 vcc, 7, v19
	s_and_saveexec_b64 s[30:31], vcc
	s_cbranch_execz .LBB54_89
; %bb.88:
	v_and_b32_e32 v13, 1, v17
	v_mov_b32_e32 v14, 1
	v_and_b32_sdwa v14, v20, v14 dst_sel:DWORD dst_unused:UNUSED_PAD src0_sel:WORD_1 src1_sel:DWORD
	v_cmp_eq_u32_e32 vcc, 1, v13
	v_cndmask_b32_e64 v13, v14, 1, vcc
	v_lshlrev_b32_e32 v14, 16, v20
	v_lshlrev_b32_e32 v18, 16, v16
	v_cmp_lt_f32_e32 vcc, v14, v18
	v_cndmask_b32_e32 v14, v20, v16, vcc
	v_cmp_eq_u16_e32 vcc, 0, v17
	v_cndmask_b32_e32 v14, v16, v14, vcc
	v_lshlrev_b32_e32 v16, 16, v13
	v_or_b32_sdwa v18, v16, v14 dst_sel:DWORD dst_unused:UNUSED_PAD src0_sel:DWORD src1_sel:WORD_0
	v_mov_b32_e32 v16, v14
	v_mov_b32_e32 v17, v13
.LBB54_89:
	s_or_b64 exec, exec, s[30:31]
	v_and_b32_e32 v20, 16, v15
	v_mov_b32_dpp v19, v18 row_bcast:15 row_mask:0xf bank_mask:0xf
	v_cmp_ne_u32_e32 vcc, 0, v20
	s_and_saveexec_b64 s[30:31], vcc
	s_cbranch_execz .LBB54_91
; %bb.90:
	v_and_b32_e32 v13, 1, v17
	v_mov_b32_e32 v14, 1
	v_and_b32_sdwa v14, v19, v14 dst_sel:DWORD dst_unused:UNUSED_PAD src0_sel:WORD_1 src1_sel:DWORD
	v_cmp_eq_u32_e32 vcc, 1, v13
	v_cndmask_b32_e64 v13, v14, 1, vcc
	v_lshlrev_b32_e32 v14, 16, v19
	v_lshlrev_b32_e32 v18, 16, v16
	v_cmp_lt_f32_e32 vcc, v14, v18
	v_cndmask_b32_e32 v14, v19, v16, vcc
	v_cmp_eq_u16_e32 vcc, 0, v17
	v_cndmask_b32_e32 v14, v16, v14, vcc
	v_lshlrev_b32_e32 v16, 16, v13
	v_or_b32_sdwa v18, v16, v14 dst_sel:DWORD dst_unused:UNUSED_PAD src0_sel:DWORD src1_sel:WORD_0
	v_mov_b32_e32 v16, v14
	v_mov_b32_e32 v17, v13
.LBB54_91:
	s_or_b64 exec, exec, s[30:31]
	v_mov_b32_dpp v18, v18 row_bcast:31 row_mask:0xf bank_mask:0xf
	v_cmp_lt_u32_e32 vcc, 31, v15
	s_and_saveexec_b64 s[30:31], vcc
	s_cbranch_execz .LBB54_93
; %bb.92:
	v_and_b32_e32 v13, 1, v17
	v_mov_b32_e32 v14, 1
	v_and_b32_sdwa v14, v18, v14 dst_sel:DWORD dst_unused:UNUSED_PAD src0_sel:WORD_1 src1_sel:DWORD
	v_cmp_eq_u32_e32 vcc, 1, v13
	v_cndmask_b32_e64 v13, v14, 1, vcc
	v_lshlrev_b32_e32 v14, 16, v18
	v_lshlrev_b32_e32 v19, 16, v16
	v_cmp_lt_f32_e32 vcc, v14, v19
	v_cndmask_b32_e32 v14, v18, v16, vcc
	v_cmp_eq_u16_e32 vcc, 0, v17
	v_cndmask_b32_e32 v14, v16, v14, vcc
.LBB54_93:
	s_or_b64 exec, exec, s[30:31]
	v_lshrrev_b32_e32 v16, 6, v0
	v_or_b32_e32 v17, 63, v0
	v_cmp_eq_u32_e32 vcc, v0, v17
	v_lshlrev_b32_e32 v16, 2, v16
	s_and_saveexec_b64 s[30:31], vcc
	s_cbranch_execz .LBB54_95
; %bb.94:
	ds_write_b16 v16, v14
	ds_write_b8 v16, v13 offset:2
.LBB54_95:
	s_or_b64 exec, exec, s[30:31]
	v_cmp_gt_u32_e32 vcc, 4, v0
	s_waitcnt lgkmcnt(0)
	s_barrier
	s_and_saveexec_b64 s[30:31], vcc
	s_cbranch_execz .LBB54_101
; %bb.96:
	v_lshlrev_b32_e32 v17, 2, v0
	ds_read_b32 v18, v17
	v_and_b32_e32 v20, 3, v15
	v_cmp_ne_u32_e32 vcc, 0, v20
	s_waitcnt lgkmcnt(0)
	v_lshrrev_b32_e32 v19, 16, v18
	v_mov_b32_dpp v39, v18 row_shr:1 row_mask:0xf bank_mask:0xf
	v_mov_b32_e32 v21, v18
	s_and_saveexec_b64 s[36:37], vcc
	s_cbranch_execz .LBB54_98
; %bb.97:
	v_and_b32_e32 v21, 0x10000, v18
	v_mov_b32_e32 v41, 1
	v_and_b32_sdwa v41, v39, v41 dst_sel:DWORD dst_unused:UNUSED_PAD src0_sel:WORD_1 src1_sel:DWORD
	v_cmp_ne_u32_e32 vcc, 0, v21
	v_lshlrev_b32_e32 v42, 16, v18
	v_lshlrev_b32_e32 v43, 16, v39
	v_cndmask_b32_e64 v41, v41, 1, vcc
	v_mov_b32_e32 v21, 0
	v_cmp_lt_f32_e32 vcc, v43, v42
	v_cndmask_b32_e32 v39, v39, v18, vcc
	v_cmp_eq_u16_sdwa vcc, v19, v21 src0_sel:BYTE_0 src1_sel:DWORD
	v_cndmask_b32_e32 v21, v18, v39, vcc
	v_and_b32_e32 v40, 0xff000000, v18
	v_lshlrev_b32_e32 v18, 16, v41
	v_and_b32_e32 v19, 0xffff, v21
	v_or3_b32 v18, v18, v40, v19
	v_mov_b32_e32 v19, v41
.LBB54_98:
	s_or_b64 exec, exec, s[36:37]
	v_mov_b32_dpp v39, v18 row_shr:2 row_mask:0xf bank_mask:0xf
	v_cmp_lt_u32_e32 vcc, 1, v20
	s_and_saveexec_b64 s[36:37], vcc
	s_cbranch_execz .LBB54_100
; %bb.99:
	v_and_b32_e32 v19, 0x10000, v18
	v_mov_b32_e32 v20, 1
	v_and_b32_sdwa v20, v39, v20 dst_sel:DWORD dst_unused:UNUSED_PAD src0_sel:WORD_1 src1_sel:DWORD
	v_cmp_eq_u32_e32 vcc, 0, v19
	v_lshlrev_b32_e32 v21, 16, v18
	v_lshlrev_b32_e32 v40, 16, v39
	v_cndmask_b32_e32 v19, 1, v20, vcc
	v_and_b32_e32 v20, 0xff0000, v18
	v_cmp_lt_f32_e32 vcc, v40, v21
	v_cndmask_b32_e32 v21, v39, v18, vcc
	v_cmp_eq_u32_e32 vcc, 0, v20
	v_cndmask_b32_e32 v21, v18, v21, vcc
.LBB54_100:
	s_or_b64 exec, exec, s[36:37]
	ds_write_b16 v17, v21
	ds_write_b8 v17, v19 offset:2
.LBB54_101:
	s_or_b64 exec, exec, s[30:31]
	v_cmp_gt_u32_e32 vcc, 64, v0
	v_cmp_lt_u32_e64 s[30:31], 63, v0
	v_mov_b32_e32 v39, 0
	v_mov_b32_e32 v40, 0
	s_waitcnt lgkmcnt(0)
	s_barrier
	s_and_saveexec_b64 s[36:37], s[30:31]
	s_cbranch_execz .LBB54_103
; %bb.102:
	v_add_u32_e32 v17, -4, v16
	ds_read_u16 v39, v17
	v_add_u32_e32 v16, -2, v16
	ds_read_u8 v40, v16
	v_lshlrev_b32_e32 v17, 16, v14
	s_waitcnt lgkmcnt(1)
	v_lshlrev_b32_e32 v16, 16, v39
	v_cmp_lt_f32_e64 s[30:31], v16, v17
	v_cndmask_b32_e64 v16, v39, v14, s[30:31]
	v_cmp_eq_u16_e64 s[30:31], 0, v13
	v_and_b32_e32 v13, 1, v13
	v_cndmask_b32_e64 v14, v14, v16, s[30:31]
	v_cmp_eq_u32_e64 s[30:31], 1, v13
	s_waitcnt lgkmcnt(0)
	v_cndmask_b32_e64 v13, v40, 1, s[30:31]
.LBB54_103:
	s_or_b64 exec, exec, s[36:37]
	v_and_b32_e32 v13, 0xff, v13
	v_and_b32_e32 v14, 0xffff, v14
	v_lshl_or_b32 v13, v13, 16, v14
	v_subrev_co_u32_e64 v14, s[30:31], 1, v15
	v_and_b32_e32 v16, 64, v15
	v_cmp_lt_i32_e64 s[36:37], v14, v16
	v_cndmask_b32_e64 v14, v14, v15, s[36:37]
	v_lshlrev_b32_e32 v14, 2, v14
	ds_bpermute_b32 v41, v14, v13
	s_and_saveexec_b64 s[36:37], vcc
	s_cbranch_execz .LBB54_159
; %bb.104:
	v_mov_b32_e32 v18, 0
	ds_read_b32 v13, v18 offset:12
	s_and_saveexec_b64 s[44:45], s[30:31]
	s_cbranch_execz .LBB54_106
; %bb.105:
	s_add_i32 s46, s6, 64
	s_mov_b32 s47, 0
	s_lshl_b64 s[46:47], s[46:47], 3
	s_add_u32 s46, s40, s46
	v_mov_b32_e32 v14, 1
	s_addc_u32 s47, s41, s47
	s_waitcnt lgkmcnt(0)
	global_store_dwordx2 v18, v[13:14], s[46:47]
.LBB54_106:
	s_or_b64 exec, exec, s[44:45]
	v_xad_u32 v14, v15, -1, s6
	v_add_u32_e32 v17, 64, v14
	v_lshlrev_b64 v[16:17], 3, v[17:18]
	v_mov_b32_e32 v20, s41
	v_add_co_u32_e32 v19, vcc, s40, v16
	v_addc_co_u32_e32 v20, vcc, v20, v17, vcc
	global_load_dwordx2 v[16:17], v[19:20], off glc
	s_waitcnt vmcnt(0)
	v_cmp_eq_u16_sdwa s[46:47], v17, v18 src0_sel:BYTE_0 src1_sel:DWORD
	s_and_saveexec_b64 s[44:45], s[46:47]
	s_cbranch_execz .LBB54_110
; %bb.107:
	s_mov_b64 s[46:47], 0
	v_mov_b32_e32 v18, 0
.LBB54_108:                             ; =>This Inner Loop Header: Depth=1
	global_load_dwordx2 v[16:17], v[19:20], off glc
	s_waitcnt vmcnt(0)
	v_cmp_ne_u16_sdwa s[50:51], v17, v18 src0_sel:BYTE_0 src1_sel:DWORD
	s_or_b64 s[46:47], s[50:51], s[46:47]
	s_andn2_b64 exec, exec, s[46:47]
	s_cbranch_execnz .LBB54_108
; %bb.109:
	s_or_b64 exec, exec, s[46:47]
.LBB54_110:
	s_or_b64 exec, exec, s[44:45]
	v_mov_b32_e32 v20, 2
	v_lshlrev_b64 v[18:19], v15, -1
	v_cmp_eq_u16_sdwa s[44:45], v17, v20 src0_sel:BYTE_0 src1_sel:DWORD
	v_and_b32_e32 v20, s45, v19
	v_or_b32_e32 v20, 0x80000000, v20
	v_and_b32_e32 v21, s44, v18
	v_ffbl_b32_e32 v20, v20
	v_and_b32_e32 v50, 63, v15
	v_add_u32_e32 v20, 32, v20
	v_ffbl_b32_e32 v21, v21
	v_cmp_ne_u32_e32 vcc, 63, v50
	v_min_u32_e32 v20, v21, v20
	v_addc_co_u32_e32 v21, vcc, 0, v15, vcc
	v_and_b32_e32 v53, 0xffffff, v16
	v_lshlrev_b32_e32 v42, 2, v21
	ds_bpermute_b32 v44, v42, v53
	v_add_u32_e32 v43, 1, v15
	v_lshrrev_b32_e32 v21, 16, v16
	v_cmp_le_u32_e32 vcc, v43, v20
	v_bfe_u32 v52, v16, 16, 8
	s_and_saveexec_b64 s[44:45], vcc
	s_cbranch_execz .LBB54_112
; %bb.111:
	s_waitcnt lgkmcnt(0)
	v_lshlrev_b32_e32 v45, 16, v44
	v_lshlrev_b32_e32 v46, 16, v16
	v_and_b32_e32 v21, 0xff0000, v16
	v_cmp_lt_f32_e32 vcc, v45, v46
	v_cndmask_b32_e32 v45, v44, v16, vcc
	v_cmp_eq_u32_e32 vcc, 0, v21
	v_cndmask_b32_e32 v16, v16, v45, vcc
	v_and_b32_e32 v21, 0x10000, v21
	v_mov_b32_e32 v45, 1
	v_and_b32_sdwa v44, v44, v45 dst_sel:DWORD dst_unused:UNUSED_PAD src0_sel:WORD_1 src1_sel:DWORD
	v_cmp_ne_u32_e32 vcc, 0, v21
	v_cndmask_b32_e64 v21, v44, 1, vcc
	v_lshlrev_b32_e32 v44, 16, v21
	v_or_b32_sdwa v53, v44, v16 dst_sel:DWORD dst_unused:UNUSED_PAD src0_sel:DWORD src1_sel:WORD_0
	v_mov_b32_e32 v52, v21
.LBB54_112:
	s_or_b64 exec, exec, s[44:45]
	v_cmp_gt_u32_e32 vcc, 62, v50
	s_waitcnt lgkmcnt(0)
	v_cndmask_b32_e64 v44, 0, 2, vcc
	v_add_lshl_u32 v44, v44, v15, 2
	ds_bpermute_b32 v46, v44, v53
	v_add_u32_e32 v45, 2, v15
	v_cmp_le_u32_e32 vcc, v45, v20
	s_and_saveexec_b64 s[44:45], vcc
	s_cbranch_execz .LBB54_114
; %bb.113:
	s_waitcnt lgkmcnt(0)
	v_lshlrev_b32_e32 v21, 16, v46
	v_lshlrev_b32_e32 v47, 16, v16
	v_cmp_lt_f32_e32 vcc, v21, v47
	v_cndmask_b32_e32 v21, v46, v16, vcc
	v_cmp_eq_u16_e32 vcc, 0, v52
	v_cndmask_b32_e32 v16, v16, v21, vcc
	v_and_b32_e32 v21, 1, v52
	v_mov_b32_e32 v47, 1
	v_and_b32_sdwa v46, v46, v47 dst_sel:DWORD dst_unused:UNUSED_PAD src0_sel:WORD_1 src1_sel:DWORD
	v_cmp_eq_u32_e32 vcc, 1, v21
	v_cndmask_b32_e64 v21, v46, 1, vcc
	v_lshlrev_b32_e32 v46, 16, v21
	v_or_b32_sdwa v53, v46, v16 dst_sel:DWORD dst_unused:UNUSED_PAD src0_sel:DWORD src1_sel:WORD_0
	v_mov_b32_e32 v52, v21
.LBB54_114:
	s_or_b64 exec, exec, s[44:45]
	v_cmp_gt_u32_e32 vcc, 60, v50
	s_waitcnt lgkmcnt(0)
	v_cndmask_b32_e64 v46, 0, 4, vcc
	v_add_lshl_u32 v46, v46, v15, 2
	ds_bpermute_b32 v48, v46, v53
	v_add_u32_e32 v47, 4, v15
	v_cmp_le_u32_e32 vcc, v47, v20
	s_and_saveexec_b64 s[44:45], vcc
	s_cbranch_execz .LBB54_116
; %bb.115:
	s_waitcnt lgkmcnt(0)
	v_lshlrev_b32_e32 v21, 16, v48
	v_lshlrev_b32_e32 v49, 16, v16
	v_cmp_lt_f32_e32 vcc, v21, v49
	v_cndmask_b32_e32 v21, v48, v16, vcc
	v_cmp_eq_u16_e32 vcc, 0, v52
	v_cndmask_b32_e32 v16, v16, v21, vcc
	v_and_b32_e32 v21, 1, v52
	v_mov_b32_e32 v49, 1
	v_and_b32_sdwa v48, v48, v49 dst_sel:DWORD dst_unused:UNUSED_PAD src0_sel:WORD_1 src1_sel:DWORD
	v_cmp_eq_u32_e32 vcc, 1, v21
	v_cndmask_b32_e64 v21, v48, 1, vcc
	v_lshlrev_b32_e32 v48, 16, v21
	v_or_b32_sdwa v53, v48, v16 dst_sel:DWORD dst_unused:UNUSED_PAD src0_sel:DWORD src1_sel:WORD_0
	v_mov_b32_e32 v52, v21
.LBB54_116:
	;; [unrolled: 27-line block ×3, first 2 shown]
	s_or_b64 exec, exec, s[44:45]
	v_cmp_gt_u32_e32 vcc, 48, v50
	v_cndmask_b32_e64 v50, 0, 16, vcc
	v_add_lshl_u32 v50, v50, v15, 2
	ds_bpermute_b32 v54, v50, v53
	s_waitcnt lgkmcnt(1)
	v_add_u32_e32 v51, 16, v15
	v_cmp_le_u32_e32 vcc, v51, v20
	s_and_saveexec_b64 s[44:45], vcc
	s_cbranch_execz .LBB54_120
; %bb.119:
	s_waitcnt lgkmcnt(0)
	v_lshlrev_b32_e32 v21, 16, v54
	v_lshlrev_b32_e32 v53, 16, v16
	v_cmp_lt_f32_e32 vcc, v21, v53
	v_cndmask_b32_e32 v21, v54, v16, vcc
	v_cmp_eq_u16_e32 vcc, 0, v52
	v_cndmask_b32_e32 v16, v16, v21, vcc
	v_and_b32_e32 v21, 1, v52
	v_mov_b32_e32 v52, 1
	v_and_b32_sdwa v52, v54, v52 dst_sel:DWORD dst_unused:UNUSED_PAD src0_sel:WORD_1 src1_sel:DWORD
	v_cmp_eq_u32_e32 vcc, 1, v21
	v_cndmask_b32_e64 v21, v52, 1, vcc
	v_lshlrev_b32_e32 v52, 16, v21
	v_or_b32_sdwa v53, v52, v16 dst_sel:DWORD dst_unused:UNUSED_PAD src0_sel:DWORD src1_sel:WORD_0
	v_mov_b32_e32 v52, v21
.LBB54_120:
	s_or_b64 exec, exec, s[44:45]
	s_waitcnt lgkmcnt(0)
	v_mov_b32_e32 v54, 0x80
	v_lshl_or_b32 v54, v15, 2, v54
	ds_bpermute_b32 v53, v54, v53
	v_add_u32_e32 v55, 32, v15
	v_cmp_le_u32_e32 vcc, v55, v20
	s_and_saveexec_b64 s[44:45], vcc
	s_cbranch_execz .LBB54_122
; %bb.121:
	s_waitcnt lgkmcnt(0)
	v_lshlrev_b32_e32 v15, 16, v53
	v_lshlrev_b32_e32 v20, 16, v16
	v_cmp_lt_f32_e32 vcc, v15, v20
	v_cndmask_b32_e32 v15, v53, v16, vcc
	v_cmp_eq_u16_e32 vcc, 0, v52
	v_cndmask_b32_e32 v16, v16, v15, vcc
	v_and_b32_e32 v15, 1, v52
	v_mov_b32_e32 v20, 1
	v_and_b32_sdwa v20, v53, v20 dst_sel:DWORD dst_unused:UNUSED_PAD src0_sel:WORD_1 src1_sel:DWORD
	v_cmp_eq_u32_e32 vcc, 1, v15
	v_cndmask_b32_e64 v21, v20, 1, vcc
.LBB54_122:
	s_or_b64 exec, exec, s[44:45]
	v_mov_b32_e32 v15, 0
	v_mov_b32_e32 v56, 2
	;; [unrolled: 1-line block ×3, first 2 shown]
	s_branch .LBB54_125
.LBB54_123:                             ;   in Loop: Header=BB54_125 Depth=1
	s_or_b64 exec, exec, s[44:45]
	v_lshlrev_b32_e32 v20, 16, v16
	v_lshlrev_b32_e32 v58, 16, v53
	v_cmp_lt_f32_e32 vcc, v20, v58
	v_cndmask_b32_e32 v16, v16, v53, vcc
	v_cmp_eq_u16_sdwa vcc, v52, v15 src0_sel:BYTE_0 src1_sel:DWORD
	v_and_b32_e32 v20, 1, v52
	v_cndmask_b32_e32 v16, v53, v16, vcc
	v_and_b32_e32 v21, 1, v21
	v_cmp_eq_u32_e32 vcc, 1, v20
	v_subrev_u32_e32 v14, 64, v14
	v_cndmask_b32_e64 v21, v21, 1, vcc
	s_mov_b64 s[44:45], 0
.LBB54_124:                             ;   in Loop: Header=BB54_125 Depth=1
	s_and_b64 vcc, exec, s[44:45]
	s_cbranch_vccnz .LBB54_155
.LBB54_125:                             ; =>This Loop Header: Depth=1
                                        ;     Child Loop BB54_128 Depth 2
	v_cmp_ne_u16_sdwa s[44:45], v17, v56 src0_sel:BYTE_0 src1_sel:DWORD
	v_mov_b32_e32 v52, v21
	s_waitcnt lgkmcnt(0)
	v_mov_b32_e32 v53, v16
	s_cmp_lg_u64 s[44:45], exec
	s_mov_b64 s[44:45], -1
                                        ; implicit-def: $vgpr21
                                        ; implicit-def: $vgpr16
	s_cbranch_scc1 .LBB54_124
; %bb.126:                              ;   in Loop: Header=BB54_125 Depth=1
	v_lshlrev_b64 v[16:17], 3, v[14:15]
	v_mov_b32_e32 v21, s41
	v_add_co_u32_e32 v20, vcc, s40, v16
	v_addc_co_u32_e32 v21, vcc, v21, v17, vcc
	global_load_dwordx2 v[16:17], v[20:21], off glc
	s_waitcnt vmcnt(0)
	v_cmp_eq_u16_sdwa s[46:47], v17, v15 src0_sel:BYTE_0 src1_sel:DWORD
	s_and_saveexec_b64 s[44:45], s[46:47]
	s_cbranch_execz .LBB54_130
; %bb.127:                              ;   in Loop: Header=BB54_125 Depth=1
	s_mov_b64 s[46:47], 0
.LBB54_128:                             ;   Parent Loop BB54_125 Depth=1
                                        ; =>  This Inner Loop Header: Depth=2
	global_load_dwordx2 v[16:17], v[20:21], off glc
	s_waitcnt vmcnt(0)
	v_cmp_ne_u16_sdwa s[50:51], v17, v15 src0_sel:BYTE_0 src1_sel:DWORD
	s_or_b64 s[46:47], s[50:51], s[46:47]
	s_andn2_b64 exec, exec, s[46:47]
	s_cbranch_execnz .LBB54_128
; %bb.129:                              ;   in Loop: Header=BB54_125 Depth=1
	s_or_b64 exec, exec, s[46:47]
.LBB54_130:                             ;   in Loop: Header=BB54_125 Depth=1
	s_or_b64 exec, exec, s[44:45]
	v_cmp_eq_u16_sdwa s[44:45], v17, v56 src0_sel:BYTE_0 src1_sel:DWORD
	v_and_b32_e32 v20, s45, v19
	v_and_b32_e32 v59, 0xffffff, v16
	v_or_b32_e32 v20, 0x80000000, v20
	ds_bpermute_b32 v60, v42, v59
	v_and_b32_e32 v21, s44, v18
	v_ffbl_b32_e32 v20, v20
	v_add_u32_e32 v20, 32, v20
	v_ffbl_b32_e32 v21, v21
	v_min_u32_e32 v20, v21, v20
	v_lshrrev_b32_e32 v21, 16, v16
	v_cmp_le_u32_e32 vcc, v43, v20
	v_bfe_u32 v58, v16, 16, 8
	s_and_saveexec_b64 s[44:45], vcc
	s_cbranch_execz .LBB54_132
; %bb.131:                              ;   in Loop: Header=BB54_125 Depth=1
	s_waitcnt lgkmcnt(0)
	v_lshlrev_b32_e32 v58, 16, v60
	v_lshlrev_b32_e32 v59, 16, v16
	v_and_b32_e32 v21, 0xff0000, v16
	v_cmp_lt_f32_e32 vcc, v58, v59
	v_cndmask_b32_e32 v58, v60, v16, vcc
	v_cmp_eq_u32_e32 vcc, 0, v21
	v_and_b32_e32 v21, 0x10000, v21
	v_cndmask_b32_e32 v16, v16, v58, vcc
	v_and_b32_sdwa v58, v60, v57 dst_sel:DWORD dst_unused:UNUSED_PAD src0_sel:WORD_1 src1_sel:DWORD
	v_cmp_ne_u32_e32 vcc, 0, v21
	v_cndmask_b32_e64 v21, v58, 1, vcc
	v_lshlrev_b32_e32 v58, 16, v21
	v_or_b32_sdwa v59, v58, v16 dst_sel:DWORD dst_unused:UNUSED_PAD src0_sel:DWORD src1_sel:WORD_0
	v_mov_b32_e32 v58, v21
.LBB54_132:                             ;   in Loop: Header=BB54_125 Depth=1
	s_or_b64 exec, exec, s[44:45]
	s_waitcnt lgkmcnt(0)
	ds_bpermute_b32 v60, v44, v59
	v_cmp_le_u32_e32 vcc, v45, v20
	s_and_saveexec_b64 s[44:45], vcc
	s_cbranch_execz .LBB54_134
; %bb.133:                              ;   in Loop: Header=BB54_125 Depth=1
	s_waitcnt lgkmcnt(0)
	v_lshlrev_b32_e32 v21, 16, v60
	v_lshlrev_b32_e32 v59, 16, v16
	v_cmp_lt_f32_e32 vcc, v21, v59
	v_cndmask_b32_e32 v21, v60, v16, vcc
	v_cmp_eq_u16_e32 vcc, 0, v58
	v_cndmask_b32_e32 v16, v16, v21, vcc
	v_and_b32_e32 v21, 1, v58
	v_and_b32_sdwa v58, v60, v57 dst_sel:DWORD dst_unused:UNUSED_PAD src0_sel:WORD_1 src1_sel:DWORD
	v_cmp_eq_u32_e32 vcc, 1, v21
	v_cndmask_b32_e64 v21, v58, 1, vcc
	v_lshlrev_b32_e32 v58, 16, v21
	v_or_b32_sdwa v59, v58, v16 dst_sel:DWORD dst_unused:UNUSED_PAD src0_sel:DWORD src1_sel:WORD_0
	v_mov_b32_e32 v58, v21
.LBB54_134:                             ;   in Loop: Header=BB54_125 Depth=1
	s_or_b64 exec, exec, s[44:45]
	s_waitcnt lgkmcnt(0)
	ds_bpermute_b32 v60, v46, v59
	v_cmp_le_u32_e32 vcc, v47, v20
	s_and_saveexec_b64 s[44:45], vcc
	s_cbranch_execz .LBB54_136
; %bb.135:                              ;   in Loop: Header=BB54_125 Depth=1
	s_waitcnt lgkmcnt(0)
	v_lshlrev_b32_e32 v21, 16, v60
	v_lshlrev_b32_e32 v59, 16, v16
	v_cmp_lt_f32_e32 vcc, v21, v59
	v_cndmask_b32_e32 v21, v60, v16, vcc
	v_cmp_eq_u16_e32 vcc, 0, v58
	v_cndmask_b32_e32 v16, v16, v21, vcc
	v_and_b32_e32 v21, 1, v58
	v_and_b32_sdwa v58, v60, v57 dst_sel:DWORD dst_unused:UNUSED_PAD src0_sel:WORD_1 src1_sel:DWORD
	v_cmp_eq_u32_e32 vcc, 1, v21
	v_cndmask_b32_e64 v21, v58, 1, vcc
	v_lshlrev_b32_e32 v58, 16, v21
	v_or_b32_sdwa v59, v58, v16 dst_sel:DWORD dst_unused:UNUSED_PAD src0_sel:DWORD src1_sel:WORD_0
	v_mov_b32_e32 v58, v21
.LBB54_136:                             ;   in Loop: Header=BB54_125 Depth=1
	;; [unrolled: 22-line block ×4, first 2 shown]
	s_or_b64 exec, exec, s[44:45]
	ds_bpermute_b32 v59, v54, v59
	v_cmp_le_u32_e32 vcc, v55, v20
	s_and_saveexec_b64 s[44:45], vcc
	s_cbranch_execz .LBB54_123
; %bb.141:                              ;   in Loop: Header=BB54_125 Depth=1
	s_waitcnt lgkmcnt(0)
	v_lshlrev_b32_e32 v20, 16, v59
	v_lshlrev_b32_e32 v21, 16, v16
	v_cmp_lt_f32_e32 vcc, v20, v21
	v_cndmask_b32_e32 v20, v59, v16, vcc
	v_cmp_eq_u16_e32 vcc, 0, v58
	v_cndmask_b32_e32 v16, v16, v20, vcc
	v_and_b32_e32 v20, 1, v58
	v_lshrrev_b32_e32 v21, 16, v59
	v_cmp_eq_u32_e32 vcc, 1, v20
	v_cndmask_b32_e64 v21, v21, 1, vcc
	s_branch .LBB54_123
.LBB54_142:
	s_or_b64 exec, exec, s[46:47]
                                        ; implicit-def: $vgpr6
	s_and_saveexec_b64 s[2:3], s[34:35]
	s_cbranch_execz .LBB54_33
.LBB54_143:
	global_load_ushort v6, v[1:2], off offset:512
	s_or_b64 exec, exec, s[2:3]
                                        ; implicit-def: $vgpr7
	s_and_saveexec_b64 s[2:3], s[8:9]
	s_cbranch_execnz .LBB54_34
.LBB54_144:
	s_or_b64 exec, exec, s[2:3]
                                        ; implicit-def: $vgpr8
	s_and_saveexec_b64 s[2:3], s[10:11]
	s_cbranch_execz .LBB54_35
.LBB54_145:
	global_load_ushort v8, v[1:2], off offset:1536
	s_or_b64 exec, exec, s[2:3]
                                        ; implicit-def: $vgpr9
	s_and_saveexec_b64 s[2:3], s[12:13]
	s_cbranch_execnz .LBB54_36
.LBB54_146:
	s_or_b64 exec, exec, s[2:3]
                                        ; implicit-def: $vgpr10
	s_and_saveexec_b64 s[2:3], s[14:15]
	s_cbranch_execz .LBB54_37
.LBB54_147:
	global_load_ushort v10, v[1:2], off offset:2560
	s_or_b64 exec, exec, s[2:3]
                                        ; implicit-def: $vgpr11
	s_and_saveexec_b64 s[2:3], s[16:17]
	s_cbranch_execnz .LBB54_38
.LBB54_148:
	s_or_b64 exec, exec, s[2:3]
                                        ; implicit-def: $vgpr12
	s_and_saveexec_b64 s[2:3], s[18:19]
	s_cbranch_execz .LBB54_39
.LBB54_149:
	global_load_ushort v12, v[1:2], off offset:3584
	s_or_b64 exec, exec, s[2:3]
                                        ; implicit-def: $vgpr25
	s_and_saveexec_b64 s[2:3], s[20:21]
	s_cbranch_execnz .LBB54_40
.LBB54_150:
	s_or_b64 exec, exec, s[2:3]
                                        ; implicit-def: $vgpr27
	s_and_saveexec_b64 s[2:3], s[22:23]
	s_cbranch_execz .LBB54_41
.LBB54_151:
	v_add_co_u32_e32 v27, vcc, 0x1000, v1
	v_addc_co_u32_e32 v28, vcc, 0, v2, vcc
	global_load_ushort v27, v[27:28], off offset:512
	s_or_b64 exec, exec, s[2:3]
                                        ; implicit-def: $vgpr28
	s_and_saveexec_b64 s[2:3], s[24:25]
	s_cbranch_execnz .LBB54_42
.LBB54_152:
	s_or_b64 exec, exec, s[2:3]
                                        ; implicit-def: $vgpr31
	s_and_saveexec_b64 s[2:3], s[26:27]
	s_cbranch_execz .LBB54_43
.LBB54_153:
	v_add_co_u32_e32 v31, vcc, 0x1000, v1
	v_addc_co_u32_e32 v32, vcc, 0, v2, vcc
	global_load_ushort v31, v[31:32], off offset:1536
	s_or_b64 exec, exec, s[2:3]
                                        ; implicit-def: $vgpr32
	s_and_saveexec_b64 s[2:3], s[28:29]
	s_cbranch_execz .LBB54_45
	s_branch .LBB54_44
.LBB54_154:
                                        ; implicit-def: $vgpr13
                                        ; implicit-def: $vgpr14
                                        ; implicit-def: $vgpr15
                                        ; implicit-def: $vgpr16
                                        ; implicit-def: $vgpr17
                                        ; implicit-def: $vgpr18
                                        ; implicit-def: $vgpr19
                                        ; implicit-def: $vgpr20
                                        ; implicit-def: $vgpr21
                                        ; implicit-def: $vgpr38
                                        ; implicit-def: $vgpr39
                                        ; implicit-def: $vgpr40
                                        ; implicit-def: $vgpr41
                                        ; implicit-def: $vgpr42
	s_cbranch_execnz .LBB54_162
	s_branch .LBB54_193
.LBB54_155:
	s_and_saveexec_b64 s[44:45], s[30:31]
	s_cbranch_execz .LBB54_157
; %bb.156:
	v_lshlrev_b32_e32 v15, 16, v53
	v_lshlrev_b32_e32 v16, 16, v13
	v_and_b32_e32 v14, 0xff0000, v13
	v_cmp_lt_f32_e32 vcc, v15, v16
	v_cndmask_b32_e32 v15, v53, v13, vcc
	v_cmp_eq_u32_e32 vcc, 0, v14
	s_mov_b32 s7, 0
	v_cndmask_b32_e32 v14, v13, v15, vcc
	v_and_b32_e32 v13, 0x10000, v13
	v_mov_b32_e32 v15, 1
	s_add_i32 s6, s6, 64
	v_and_b32_sdwa v15, v52, v15 dst_sel:WORD_1 dst_unused:UNUSED_PAD src0_sel:DWORD src1_sel:DWORD
	v_and_b32_e32 v16, 0xffff, v14
	s_lshl_b64 s[6:7], s[6:7], 3
	v_mov_b32_e32 v14, 0x10000
	v_cmp_eq_u32_e32 vcc, 0, v13
	s_add_u32 s6, s40, s6
	v_cndmask_b32_e32 v13, v14, v15, vcc
	s_addc_u32 s7, s41, s7
	v_mov_b32_e32 v17, 0
	v_mov_b32_e32 v14, 2
	v_or_b32_e32 v13, v13, v16
	global_store_dwordx2 v17, v[13:14], s[6:7]
.LBB54_157:
	s_or_b64 exec, exec, s[44:45]
	v_cmp_eq_u32_e32 vcc, 0, v0
	s_and_b64 exec, exec, vcc
	s_cbranch_execz .LBB54_159
; %bb.158:
	v_mov_b32_e32 v13, 0
	ds_write_b16 v13, v53 offset:12
	ds_write_b8 v13, v52 offset:14
.LBB54_159:
	s_or_b64 exec, exec, s[36:37]
	v_mov_b32_e32 v13, 0
	s_waitcnt vmcnt(0) lgkmcnt(0)
	s_barrier
	ds_read_b32 v14, v13 offset:12
	v_lshrrev_b32_e32 v16, 16, v25
	v_cmp_ne_u32_e32 vcc, 0, v0
	v_mov_b32_e32 v15, v25
	s_and_saveexec_b64 s[6:7], vcc
	s_cbranch_execz .LBB54_161
; %bb.160:
	v_cndmask_b32_e64 v15, v41, v39, s[30:31]
	s_mov_b64 vcc, s[30:31]
	v_lshlrev_b32_e32 v17, 16, v15
	v_cndmask_b32_sdwa v16, v41, v40, vcc dst_sel:DWORD dst_unused:UNUSED_PAD src0_sel:WORD_1 src1_sel:DWORD
	s_mov_b32 s30, 0x10000
	v_cmp_lt_f32_e32 vcc, v17, v38
	v_cndmask_b32_e32 v15, v15, v25, vcc
	v_cmp_gt_u32_e32 vcc, s30, v25
	v_and_b32_e32 v17, 0x10000, v25
	v_cndmask_b32_e32 v15, v25, v15, vcc
	v_and_b32_e32 v16, 1, v16
	v_cmp_ne_u32_e32 vcc, 0, v17
	v_cndmask_b32_e64 v16, v16, 1, vcc
.LBB54_161:
	s_or_b64 exec, exec, s[6:7]
	s_waitcnt lgkmcnt(0)
	v_lshlrev_b32_e32 v17, 16, v14
	v_lshlrev_b32_e32 v18, 16, v15
	v_cmp_lt_f32_e32 vcc, v17, v18
	v_cndmask_b32_e32 v14, v14, v15, vcc
	v_cmp_eq_u16_sdwa vcc, v16, v13 src0_sel:BYTE_0 src1_sel:DWORD
	v_cndmask_b32_e32 v14, v15, v14, vcc
	v_lshlrev_b32_e32 v15, 16, v14
	v_cmp_lt_f32_e32 vcc, v15, v36
	v_and_b32_e32 v13, 0xffff, v14
	v_cndmask_b32_e32 v14, v14, v1, vcc
	v_cndmask_b32_e64 v14, v1, v14, s[2:3]
	v_lshlrev_b32_e32 v15, 16, v14
	v_cmp_lt_f32_e32 vcc, v15, v35
	v_cndmask_b32_e32 v15, v14, v2, vcc
	v_cndmask_b32_e64 v15, v2, v15, s[34:35]
	v_lshlrev_b32_e32 v16, 16, v15
	v_cmp_lt_f32_e32 vcc, v16, v34
	;; [unrolled: 4-line block ×12, first 2 shown]
	v_cndmask_b32_e32 v42, v41, v22, vcc
	v_cndmask_b32_e64 v42, v22, v42, s[28:29]
	s_branch .LBB54_193
.LBB54_162:
	s_cmp_lg_u64 s[48:49], 0
	s_cselect_b64 s[2:3], -1, 0
	v_cmp_eq_u32_e32 vcc, 0, v0
	v_cmp_ne_u32_e64 s[6:7], 0, v0
	s_and_b64 s[2:3], vcc, s[2:3]
	s_and_saveexec_b64 s[8:9], s[2:3]
	s_cbranch_execz .LBB54_164
; %bb.163:
	v_mov_b32_e32 v13, 0
	global_load_ushort v14, v13, s[48:49]
	global_load_ubyte v15, v13, s[48:49] offset:2
	v_lshlrev_b32_e32 v13, 16, v25
	s_mov_b32 s10, 0x10000
	v_and_b32_e32 v16, 0x10000, v25
	v_mov_b32_e32 v17, 1
	v_mov_b32_e32 v18, 0x10000
	s_waitcnt vmcnt(1)
	v_lshlrev_b32_e32 v19, 16, v14
	v_cmp_lt_f32_e64 s[2:3], v19, v13
	v_cndmask_b32_e64 v13, v14, v25, s[2:3]
	v_cmp_gt_u32_e64 s[2:3], s10, v25
	s_waitcnt vmcnt(0)
	v_and_b32_sdwa v15, v15, v17 dst_sel:WORD_1 dst_unused:UNUSED_PAD src0_sel:DWORD src1_sel:DWORD
	v_cndmask_b32_e64 v13, v25, v13, s[2:3]
	v_cmp_eq_u32_e64 s[2:3], 0, v16
	v_cndmask_b32_e64 v14, v18, v15, s[2:3]
	v_or_b32_sdwa v25, v14, v13 dst_sel:DWORD dst_unused:UNUSED_PAD src0_sel:DWORD src1_sel:WORD_0
.LBB54_164:
	s_or_b64 exec, exec, s[8:9]
	v_lshlrev_b32_e32 v13, 16, v25
	s_mov_b32 s34, 0x10000
	v_cmp_lt_f32_e64 s[2:3], v13, v36
	v_cndmask_b32_e64 v14, v25, v1, s[2:3]
	v_cmp_gt_u32_e64 s[2:3], s34, v1
	v_cndmask_b32_e64 v14, v1, v14, s[2:3]
	v_lshlrev_b32_e32 v16, 16, v14
	v_cmp_lt_f32_e64 s[8:9], v16, v35
	v_cndmask_b32_e64 v14, v14, v2, s[8:9]
	v_cmp_gt_u32_e64 s[8:9], s34, v2
	v_cndmask_b32_e64 v14, v2, v14, s[8:9]
	v_lshlrev_b32_e32 v16, 16, v14
	;; [unrolled: 5-line block ×7, first 2 shown]
	v_cmp_lt_f32_e64 s[20:21], v16, v29
	v_cndmask_b32_e64 v14, v14, v8, s[20:21]
	v_cmp_gt_u32_e64 s[22:23], s34, v8
	v_or_b32_e32 v18, v8, v4
	v_cndmask_b32_e64 v14, v8, v14, s[22:23]
	v_or_b32_e32 v16, v7, v3
	v_or_b32_e32 v17, v5, v1
	v_or3_b32 v18, v6, v2, v18
	v_or3_b32 v17, v17, v16, v18
	v_lshlrev_b32_e32 v16, 16, v14
	v_cmp_lt_f32_e64 s[20:21], v16, v28
	v_cndmask_b32_e64 v14, v14, v9, s[20:21]
	v_cmp_gt_u32_e64 s[24:25], s34, v9
	v_cndmask_b32_e64 v14, v9, v14, s[24:25]
	v_lshlrev_b32_e32 v16, 16, v14
	v_cmp_lt_f32_e64 s[20:21], v16, v27
	v_cndmask_b32_e64 v14, v14, v10, s[20:21]
	v_cmp_gt_u32_e64 s[26:27], s34, v10
	v_cndmask_b32_e64 v14, v10, v14, s[26:27]
	;; [unrolled: 5-line block ×4, first 2 shown]
	v_or_b32_e32 v16, v10, v12
	v_or3_b32 v18, v9, v11, v16
	v_lshlrev_b32_e32 v16, 16, v14
	v_cmp_lt_f32_e64 s[20:21], v16, v23
	v_cndmask_b32_e64 v14, v14, v22, s[20:21]
	v_cmp_gt_u32_e64 s[20:21], s34, v22
	v_cndmask_b32_e64 v16, v22, v14, s[20:21]
	v_or3_b32 v14, v22, v18, v17
	v_and_b32_e32 v14, 0xff0000, v14
	v_and_b32_e32 v15, 0x10000, v25
	v_mov_b32_e32 v17, 0x10000
	v_cmp_eq_u32_e64 s[34:35], 0, v14
	v_cndmask_b32_e64 v17, v17, v15, s[34:35]
	v_mbcnt_hi_u32_b32 v14, -1, v37
	v_and_b32_e32 v20, 15, v14
	v_or_b32_sdwa v19, v17, v16 dst_sel:DWORD dst_unused:UNUSED_PAD src0_sel:DWORD src1_sel:WORD_0
	v_lshrrev_b32_e32 v15, 16, v17
	v_cmp_ne_u32_e64 s[34:35], 0, v20
	v_mov_b32_dpp v18, v19 row_shr:1 row_mask:0xf bank_mask:0xf
	s_and_saveexec_b64 s[36:37], s[34:35]
	s_cbranch_execz .LBB54_166
; %bb.165:
	v_and_b32_e32 v15, 0x10000, v17
	v_mov_b32_e32 v19, 1
	v_and_b32_sdwa v19, v18, v19 dst_sel:DWORD dst_unused:UNUSED_PAD src0_sel:WORD_1 src1_sel:DWORD
	v_cmp_ne_u32_e64 s[34:35], 0, v15
	v_cndmask_b32_e64 v15, v19, 1, s[34:35]
	v_mov_b32_e32 v19, 16
	v_lshlrev_b32_sdwa v19, v19, v16 dst_sel:DWORD dst_unused:UNUSED_PAD src0_sel:DWORD src1_sel:WORD_0
	v_lshlrev_b32_e32 v21, 16, v18
	v_cmp_lt_f32_e64 s[34:35], v21, v19
	v_cndmask_b32_e64 v18, v18, v16, s[34:35]
	v_cmp_eq_u32_e64 s[34:35], 0, v17
	v_cndmask_b32_e64 v16, v16, v18, s[34:35]
	v_lshlrev_b32_e32 v17, 16, v15
	v_or_b32_sdwa v19, v17, v16 dst_sel:DWORD dst_unused:UNUSED_PAD src0_sel:DWORD src1_sel:WORD_0
.LBB54_166:
	s_or_b64 exec, exec, s[36:37]
	v_lshrrev_b32_e32 v18, 16, v19
	v_mov_b32_dpp v21, v19 row_shr:2 row_mask:0xf bank_mask:0xf
	v_cmp_lt_u32_e64 s[34:35], 1, v20
	v_mov_b32_e32 v17, v19
	s_and_saveexec_b64 s[36:37], s[34:35]
	s_cbranch_execz .LBB54_168
; %bb.167:
	v_and_b32_e32 v15, 0x10000, v19
	v_mov_b32_e32 v16, 1
	v_and_b32_sdwa v16, v21, v16 dst_sel:DWORD dst_unused:UNUSED_PAD src0_sel:WORD_1 src1_sel:DWORD
	v_cmp_ne_u32_e64 s[34:35], 0, v15
	v_cndmask_b32_e64 v15, v16, 1, s[34:35]
	v_lshlrev_b32_e32 v16, 16, v19
	v_lshlrev_b32_e32 v17, 16, v21
	s_mov_b32 s43, 0x10000
	v_cmp_lt_f32_e64 s[34:35], v17, v16
	v_cndmask_b32_e64 v16, v21, v19, s[34:35]
	v_cmp_gt_u32_e64 s[34:35], s43, v19
	v_cndmask_b32_e64 v16, v19, v16, s[34:35]
	v_lshlrev_b32_e32 v17, 16, v15
	v_or_b32_sdwa v19, v17, v16 dst_sel:DWORD dst_unused:UNUSED_PAD src0_sel:DWORD src1_sel:WORD_0
	v_mov_b32_e32 v17, v16
	v_mov_b32_e32 v18, v15
.LBB54_168:
	s_or_b64 exec, exec, s[36:37]
	v_mov_b32_dpp v21, v19 row_shr:4 row_mask:0xf bank_mask:0xf
	v_cmp_lt_u32_e64 s[34:35], 3, v20
	s_and_saveexec_b64 s[36:37], s[34:35]
	s_cbranch_execz .LBB54_170
; %bb.169:
	v_and_b32_e32 v15, 1, v18
	v_mov_b32_e32 v16, 1
	v_and_b32_sdwa v16, v21, v16 dst_sel:DWORD dst_unused:UNUSED_PAD src0_sel:WORD_1 src1_sel:DWORD
	v_cmp_eq_u32_e64 s[34:35], 1, v15
	v_cndmask_b32_e64 v15, v16, 1, s[34:35]
	v_lshlrev_b32_e32 v16, 16, v21
	v_lshlrev_b32_e32 v19, 16, v17
	v_cmp_lt_f32_e64 s[34:35], v16, v19
	v_cndmask_b32_e64 v16, v21, v17, s[34:35]
	v_cmp_eq_u16_e64 s[34:35], 0, v18
	v_cndmask_b32_e64 v16, v17, v16, s[34:35]
	v_lshlrev_b32_e32 v17, 16, v15
	v_or_b32_sdwa v19, v17, v16 dst_sel:DWORD dst_unused:UNUSED_PAD src0_sel:DWORD src1_sel:WORD_0
	v_mov_b32_e32 v17, v16
	v_mov_b32_e32 v18, v15
.LBB54_170:
	s_or_b64 exec, exec, s[36:37]
	v_mov_b32_dpp v21, v19 row_shr:8 row_mask:0xf bank_mask:0xf
	v_cmp_lt_u32_e64 s[34:35], 7, v20
	s_and_saveexec_b64 s[36:37], s[34:35]
	s_cbranch_execz .LBB54_172
; %bb.171:
	v_and_b32_e32 v15, 1, v18
	v_mov_b32_e32 v16, 1
	v_and_b32_sdwa v16, v21, v16 dst_sel:DWORD dst_unused:UNUSED_PAD src0_sel:WORD_1 src1_sel:DWORD
	v_cmp_eq_u32_e64 s[34:35], 1, v15
	v_cndmask_b32_e64 v15, v16, 1, s[34:35]
	v_lshlrev_b32_e32 v16, 16, v21
	v_lshlrev_b32_e32 v19, 16, v17
	v_cmp_lt_f32_e64 s[34:35], v16, v19
	v_cndmask_b32_e64 v16, v21, v17, s[34:35]
	v_cmp_eq_u16_e64 s[34:35], 0, v18
	v_cndmask_b32_e64 v16, v17, v16, s[34:35]
	v_lshlrev_b32_e32 v17, 16, v15
	v_or_b32_sdwa v19, v17, v16 dst_sel:DWORD dst_unused:UNUSED_PAD src0_sel:DWORD src1_sel:WORD_0
	v_mov_b32_e32 v17, v16
	v_mov_b32_e32 v18, v15
.LBB54_172:
	s_or_b64 exec, exec, s[36:37]
	v_and_b32_e32 v21, 16, v14
	v_mov_b32_dpp v20, v19 row_bcast:15 row_mask:0xf bank_mask:0xf
	v_cmp_ne_u32_e64 s[34:35], 0, v21
	s_and_saveexec_b64 s[36:37], s[34:35]
	s_cbranch_execz .LBB54_174
; %bb.173:
	v_and_b32_e32 v15, 1, v18
	v_mov_b32_e32 v16, 1
	v_and_b32_sdwa v16, v20, v16 dst_sel:DWORD dst_unused:UNUSED_PAD src0_sel:WORD_1 src1_sel:DWORD
	v_cmp_eq_u32_e64 s[34:35], 1, v15
	v_cndmask_b32_e64 v15, v16, 1, s[34:35]
	v_lshlrev_b32_e32 v16, 16, v20
	v_lshlrev_b32_e32 v19, 16, v17
	v_cmp_lt_f32_e64 s[34:35], v16, v19
	v_cndmask_b32_e64 v16, v20, v17, s[34:35]
	v_cmp_eq_u16_e64 s[34:35], 0, v18
	v_cndmask_b32_e64 v16, v17, v16, s[34:35]
	v_lshlrev_b32_e32 v17, 16, v15
	v_or_b32_sdwa v19, v17, v16 dst_sel:DWORD dst_unused:UNUSED_PAD src0_sel:DWORD src1_sel:WORD_0
	v_mov_b32_e32 v17, v16
	v_mov_b32_e32 v18, v15
.LBB54_174:
	s_or_b64 exec, exec, s[36:37]
	v_mov_b32_dpp v19, v19 row_bcast:31 row_mask:0xf bank_mask:0xf
	v_cmp_lt_u32_e64 s[34:35], 31, v14
	s_and_saveexec_b64 s[36:37], s[34:35]
	s_cbranch_execz .LBB54_176
; %bb.175:
	v_and_b32_e32 v15, 1, v18
	v_mov_b32_e32 v16, 1
	v_and_b32_sdwa v16, v19, v16 dst_sel:DWORD dst_unused:UNUSED_PAD src0_sel:WORD_1 src1_sel:DWORD
	v_cmp_eq_u32_e64 s[34:35], 1, v15
	v_cndmask_b32_e64 v15, v16, 1, s[34:35]
	v_lshlrev_b32_e32 v16, 16, v19
	v_lshlrev_b32_e32 v20, 16, v17
	v_cmp_lt_f32_e64 s[34:35], v16, v20
	v_cndmask_b32_e64 v16, v19, v17, s[34:35]
	v_cmp_eq_u16_e64 s[34:35], 0, v18
	v_cndmask_b32_e64 v16, v17, v16, s[34:35]
.LBB54_176:
	s_or_b64 exec, exec, s[36:37]
	v_lshrrev_b32_e32 v17, 6, v0
	v_or_b32_e32 v18, 63, v0
	v_cmp_eq_u32_e64 s[34:35], v0, v18
	v_lshlrev_b32_e32 v17, 2, v17
	s_and_saveexec_b64 s[36:37], s[34:35]
	s_cbranch_execz .LBB54_178
; %bb.177:
	ds_write_b16 v17, v16
	ds_write_b8 v17, v15 offset:2
.LBB54_178:
	s_or_b64 exec, exec, s[36:37]
	v_cmp_gt_u32_e64 s[34:35], 4, v0
	s_waitcnt lgkmcnt(0)
	s_barrier
	s_and_saveexec_b64 s[36:37], s[34:35]
	s_cbranch_execz .LBB54_184
; %bb.179:
	v_lshlrev_b32_e32 v18, 2, v0
	ds_read_b32 v19, v18
	v_and_b32_e32 v21, 3, v14
	v_cmp_ne_u32_e64 s[34:35], 0, v21
	s_waitcnt lgkmcnt(0)
	v_lshrrev_b32_e32 v20, 16, v19
	v_mov_b32_dpp v38, v19 row_shr:1 row_mask:0xf bank_mask:0xf
	v_mov_b32_e32 v37, v19
	s_and_saveexec_b64 s[44:45], s[34:35]
	s_cbranch_execz .LBB54_181
; %bb.180:
	v_and_b32_e32 v37, 0x10000, v19
	v_mov_b32_e32 v40, 1
	v_and_b32_sdwa v40, v38, v40 dst_sel:DWORD dst_unused:UNUSED_PAD src0_sel:WORD_1 src1_sel:DWORD
	v_cmp_ne_u32_e64 s[34:35], 0, v37
	v_lshlrev_b32_e32 v41, 16, v19
	v_lshlrev_b32_e32 v42, 16, v38
	v_cndmask_b32_e64 v40, v40, 1, s[34:35]
	v_mov_b32_e32 v37, 0
	v_cmp_lt_f32_e64 s[34:35], v42, v41
	v_cndmask_b32_e64 v38, v38, v19, s[34:35]
	v_cmp_eq_u16_sdwa s[34:35], v20, v37 src0_sel:BYTE_0 src1_sel:DWORD
	v_cndmask_b32_e64 v37, v19, v38, s[34:35]
	v_and_b32_e32 v39, 0xff000000, v19
	v_lshlrev_b32_e32 v19, 16, v40
	v_and_b32_e32 v20, 0xffff, v37
	v_or3_b32 v19, v19, v39, v20
	v_mov_b32_e32 v20, v40
.LBB54_181:
	s_or_b64 exec, exec, s[44:45]
	v_mov_b32_dpp v38, v19 row_shr:2 row_mask:0xf bank_mask:0xf
	v_cmp_lt_u32_e64 s[34:35], 1, v21
	s_and_saveexec_b64 s[44:45], s[34:35]
	s_cbranch_execz .LBB54_183
; %bb.182:
	v_and_b32_e32 v20, 0x10000, v19
	v_mov_b32_e32 v21, 1
	v_and_b32_sdwa v21, v38, v21 dst_sel:DWORD dst_unused:UNUSED_PAD src0_sel:WORD_1 src1_sel:DWORD
	v_cmp_eq_u32_e64 s[34:35], 0, v20
	v_lshlrev_b32_e32 v37, 16, v19
	v_lshlrev_b32_e32 v39, 16, v38
	v_cndmask_b32_e64 v20, 1, v21, s[34:35]
	v_and_b32_e32 v21, 0xff0000, v19
	v_cmp_lt_f32_e64 s[34:35], v39, v37
	v_cndmask_b32_e64 v37, v38, v19, s[34:35]
	v_cmp_eq_u32_e64 s[34:35], 0, v21
	v_cndmask_b32_e64 v37, v19, v37, s[34:35]
.LBB54_183:
	s_or_b64 exec, exec, s[44:45]
	ds_write_b16 v18, v37
	ds_write_b8 v18, v20 offset:2
.LBB54_184:
	s_or_b64 exec, exec, s[36:37]
	v_cmp_lt_u32_e64 s[34:35], 63, v0
	v_mov_b32_e32 v18, 0
	s_waitcnt lgkmcnt(0)
	s_barrier
	s_and_saveexec_b64 s[36:37], s[34:35]
	s_cbranch_execz .LBB54_186
; %bb.185:
	v_add_u32_e32 v18, -4, v17
	ds_read_u16 v18, v18
	v_add_u32_e32 v17, -2, v17
	ds_read_u8 v17, v17
	v_lshlrev_b32_e32 v19, 16, v16
	s_waitcnt lgkmcnt(1)
	v_lshlrev_b32_e32 v20, 16, v18
	v_cmp_lt_f32_e64 s[34:35], v20, v19
	v_cndmask_b32_e64 v19, v18, v16, s[34:35]
	v_cmp_eq_u16_e64 s[34:35], 0, v15
	v_and_b32_e32 v15, 1, v15
	v_cndmask_b32_e64 v16, v16, v19, s[34:35]
	v_cmp_eq_u32_e64 s[34:35], 1, v15
	s_waitcnt lgkmcnt(0)
	v_cndmask_b32_e64 v15, v17, 1, s[34:35]
.LBB54_186:
	s_or_b64 exec, exec, s[36:37]
	v_and_b32_e32 v15, 0xff, v15
	v_and_b32_e32 v16, 0xffff, v16
	v_lshl_or_b32 v15, v15, 16, v16
	v_add_u32_e32 v16, -1, v14
	v_and_b32_e32 v17, 64, v14
	v_cmp_lt_i32_e64 s[34:35], v16, v17
	v_cndmask_b32_e64 v16, v16, v14, s[34:35]
	v_lshlrev_b32_e32 v16, 2, v16
	ds_bpermute_b32 v16, v16, v15
                                        ; implicit-def: $vgpr15
	s_and_saveexec_b64 s[34:35], s[6:7]
	s_xor_b64 s[34:35], exec, s[34:35]
	s_cbranch_execz .LBB54_188
; %bb.187:
	v_cmp_eq_u32_e64 s[6:7], 0, v14
	s_waitcnt lgkmcnt(0)
	v_cndmask_b32_e64 v14, v16, v18, s[6:7]
	v_lshlrev_b32_e32 v16, 16, v14
	v_and_b32_e32 v15, 0xff0000, v25
	v_cmp_lt_f32_e64 s[6:7], v16, v13
	v_cndmask_b32_e64 v13, v14, v25, s[6:7]
	v_cmp_eq_u32_e64 s[6:7], 0, v15
	v_cndmask_b32_e64 v25, v25, v13, s[6:7]
	v_and_b32_e32 v15, 0xffff, v25
.LBB54_188:
	s_or_saveexec_b64 s[6:7], s[34:35]
	v_mov_b32_e32 v13, v15
	s_xor_b64 exec, exec, s[6:7]
; %bb.189:
	v_and_b32_e32 v15, 0xffff, v25
	v_mov_b32_e32 v13, v25
; %bb.190:
	s_or_b64 exec, exec, s[6:7]
	v_lshlrev_b32_e32 v14, 16, v15
	v_cmp_lt_f32_e64 s[6:7], v14, v36
	v_cndmask_b32_e64 v14, v25, v1, s[6:7]
	v_cndmask_b32_e64 v14, v1, v14, s[2:3]
	v_lshlrev_b32_e32 v1, 16, v14
	v_cmp_lt_f32_e64 s[2:3], v1, v35
	v_cndmask_b32_e64 v1, v14, v2, s[2:3]
	v_cndmask_b32_e64 v15, v2, v1, s[8:9]
	v_lshlrev_b32_e32 v1, 16, v15
	v_cmp_lt_f32_e64 s[2:3], v1, v34
	v_cndmask_b32_e64 v1, v15, v3, s[2:3]
	s_waitcnt lgkmcnt(0)
	v_cndmask_b32_e64 v16, v3, v1, s[10:11]
	v_lshlrev_b32_e32 v1, 16, v16
	v_cmp_lt_f32_e64 s[2:3], v1, v33
	v_cndmask_b32_e64 v1, v16, v4, s[2:3]
	v_cndmask_b32_e64 v17, v4, v1, s[12:13]
	v_lshlrev_b32_e32 v1, 16, v17
	v_cmp_lt_f32_e64 s[2:3], v1, v32
	v_cndmask_b32_e64 v1, v17, v5, s[2:3]
	v_cndmask_b32_e64 v18, v5, v1, s[14:15]
	v_lshlrev_b32_e32 v1, 16, v18
	v_cmp_lt_f32_e64 s[2:3], v1, v31
	v_cndmask_b32_e64 v1, v18, v6, s[2:3]
	v_cndmask_b32_e64 v19, v6, v1, s[16:17]
	v_lshlrev_b32_e32 v1, 16, v19
	v_cmp_lt_f32_e64 s[2:3], v1, v30
	v_cndmask_b32_e64 v1, v19, v7, s[2:3]
	v_cndmask_b32_e64 v20, v7, v1, s[18:19]
	v_lshlrev_b32_e32 v1, 16, v20
	v_cmp_lt_f32_e64 s[2:3], v1, v29
	v_cndmask_b32_e64 v1, v20, v8, s[2:3]
	v_cndmask_b32_e64 v21, v8, v1, s[22:23]
	v_lshlrev_b32_e32 v1, 16, v21
	v_cmp_lt_f32_e64 s[2:3], v1, v28
	v_cndmask_b32_e64 v1, v21, v9, s[2:3]
	v_cndmask_b32_e64 v38, v9, v1, s[24:25]
	v_lshlrev_b32_e32 v1, 16, v38
	v_cmp_lt_f32_e64 s[2:3], v1, v27
	v_cndmask_b32_e64 v1, v38, v10, s[2:3]
	v_cndmask_b32_e64 v39, v10, v1, s[26:27]
	v_lshlrev_b32_e32 v1, 16, v39
	v_cmp_lt_f32_e64 s[2:3], v1, v26
	v_cndmask_b32_e64 v1, v39, v11, s[2:3]
	v_cndmask_b32_e64 v40, v11, v1, s[28:29]
	v_lshlrev_b32_e32 v1, 16, v40
	v_cmp_lt_f32_e64 s[2:3], v1, v24
	v_cndmask_b32_e64 v1, v40, v12, s[2:3]
	v_cndmask_b32_e64 v41, v12, v1, s[30:31]
	v_lshlrev_b32_e32 v1, 16, v41
	v_cmp_lt_f32_e64 s[2:3], v1, v23
	v_cndmask_b32_e64 v1, v41, v22, s[2:3]
	s_and_saveexec_b64 s[2:3], vcc
	s_cbranch_execz .LBB54_192
; %bb.191:
	v_mov_b32_e32 v4, 0
	ds_read_u8 v2, v4 offset:14
	ds_read_u16 v3, v4 offset:12
	s_waitcnt lgkmcnt(1)
	v_lshlrev_b32_e32 v2, 16, v2
	s_waitcnt lgkmcnt(0)
	v_or_b32_e32 v2, v2, v3
	v_mov_b32_e32 v3, 2
	global_store_dwordx2 v4, v[2:3], s[40:41] offset:512
.LBB54_192:
	s_or_b64 exec, exec, s[2:3]
	v_cndmask_b32_e64 v42, v22, v1, s[20:21]
.LBB54_193:
	s_load_dwordx2 s[2:3], s[4:5], 0x18
	s_waitcnt lgkmcnt(0)
	s_add_u32 s2, s2, s38
	s_addc_u32 s3, s3, s39
	s_and_b64 vcc, exec, s[0:1]
	s_cbranch_vccz .LBB54_243
; %bb.194:
	s_add_i32 s33, s33, s42
	v_mul_u32_u24_e32 v1, 14, v0
	v_cmp_gt_u32_e32 vcc, s33, v1
	s_and_saveexec_b64 s[0:1], vcc
	s_cbranch_execz .LBB54_216
; %bb.195:
	v_or_b32_e32 v2, 1, v1
	v_cmp_gt_u32_e32 vcc, s33, v2
	s_and_saveexec_b64 s[4:5], vcc
	s_cbranch_execz .LBB54_215
; %bb.196:
	v_add_u32_e32 v2, 2, v1
	v_cmp_gt_u32_e32 vcc, s33, v2
	s_and_saveexec_b64 s[6:7], vcc
	s_cbranch_execz .LBB54_214
; %bb.197:
	v_add_u32_e32 v2, 3, v1
	;; [unrolled: 5-line block ×9, first 2 shown]
	v_cmp_gt_u32_e32 vcc, s33, v2
	s_and_saveexec_b64 s[22:23], vcc
; %bb.205:
	v_add_u32_e32 v2, 11, v1
	v_cmp_gt_u32_e32 vcc, s33, v2
	s_and_saveexec_b64 s[24:25], vcc
	s_or_b64 exec, exec, s[24:25]
; %bb.206:
	s_or_b64 exec, exec, s[22:23]
.LBB54_207:
	s_or_b64 exec, exec, s[20:21]
.LBB54_208:
	s_or_b64 exec, exec, s[18:19]
.LBB54_209:
	s_or_b64 exec, exec, s[16:17]
.LBB54_210:
	s_or_b64 exec, exec, s[14:15]
.LBB54_211:
	s_or_b64 exec, exec, s[12:13]
.LBB54_212:
	s_or_b64 exec, exec, s[10:11]
.LBB54_213:
	s_or_b64 exec, exec, s[8:9]
.LBB54_214:
	s_or_b64 exec, exec, s[6:7]
.LBB54_215:
	s_or_b64 exec, exec, s[4:5]
.LBB54_216:
	s_or_b64 exec, exec, s[0:1]
	s_mov_b32 s0, 0x5040100
	v_lshlrev_b32_e32 v24, 1, v1
	v_perm_b32 v1, v16, v15, s0
	v_perm_b32 v2, v14, v13, s0
	s_waitcnt vmcnt(0)
	s_barrier
	ds_write2_b32 v24, v2, v1 offset1:1
	v_perm_b32 v1, v20, v19, s0
	v_perm_b32 v2, v18, v17, s0
	ds_write2_b32 v24, v2, v1 offset0:2 offset1:3
	v_perm_b32 v1, v40, v39, s0
	v_perm_b32 v2, v38, v21, s0
	ds_write2_b32 v24, v2, v1 offset0:4 offset1:5
	v_perm_b32 v1, v42, v41, s0
	s_movk_i32 s0, 0xffe6
	ds_write_b32 v24, v1 offset:24
	v_mad_i32_i24 v1, v0, s0, v24
	s_waitcnt lgkmcnt(0)
	s_barrier
	ds_read_u16 v25, v1 offset:512
	ds_read_u16 v23, v1 offset:1024
	;; [unrolled: 1-line block ×13, first 2 shown]
	v_lshlrev_b32_e32 v1, 1, v0
	v_mov_b32_e32 v2, s3
	v_add_co_u32_e32 v1, vcc, s2, v1
	v_addc_co_u32_e32 v2, vcc, 0, v2, vcc
	v_cmp_gt_u32_e32 vcc, s33, v0
	s_and_saveexec_b64 s[0:1], vcc
	s_cbranch_execz .LBB54_218
; %bb.217:
	v_mul_i32_i24_e32 v26, 0xffffffe6, v0
	v_add_u32_e32 v24, v24, v26
	ds_read_u16 v24, v24
	s_waitcnt lgkmcnt(0)
	global_store_short v[1:2], v24, off
.LBB54_218:
	s_or_b64 exec, exec, s[0:1]
	v_or_b32_e32 v24, 0x100, v0
	v_cmp_gt_u32_e32 vcc, s33, v24
	s_and_saveexec_b64 s[0:1], vcc
	s_cbranch_execz .LBB54_220
; %bb.219:
	s_waitcnt lgkmcnt(12)
	global_store_short v[1:2], v25, off offset:512
.LBB54_220:
	s_or_b64 exec, exec, s[0:1]
	v_or_b32_e32 v24, 0x200, v0
	v_cmp_gt_u32_e32 vcc, s33, v24
	s_and_saveexec_b64 s[0:1], vcc
	s_cbranch_execz .LBB54_222
; %bb.221:
	s_waitcnt lgkmcnt(11)
	global_store_short v[1:2], v23, off offset:1024
.LBB54_222:
	s_or_b64 exec, exec, s[0:1]
	s_waitcnt lgkmcnt(11)
	v_or_b32_e32 v23, 0x300, v0
	v_cmp_gt_u32_e32 vcc, s33, v23
	s_and_saveexec_b64 s[0:1], vcc
	s_cbranch_execz .LBB54_224
; %bb.223:
	s_waitcnt lgkmcnt(10)
	global_store_short v[1:2], v22, off offset:1536
.LBB54_224:
	s_or_b64 exec, exec, s[0:1]
	s_waitcnt lgkmcnt(10)
	;; [unrolled: 10-line block ×6, first 2 shown]
	v_or_b32_e32 v9, 0x800, v0
	v_cmp_gt_u32_e32 vcc, s33, v9
	s_and_saveexec_b64 s[0:1], vcc
	s_cbranch_execz .LBB54_234
; %bb.233:
	v_add_co_u32_e32 v9, vcc, 0x1000, v1
	v_addc_co_u32_e32 v10, vcc, 0, v2, vcc
	s_waitcnt lgkmcnt(5)
	global_store_short v[9:10], v8, off
.LBB54_234:
	s_or_b64 exec, exec, s[0:1]
	s_waitcnt lgkmcnt(5)
	v_or_b32_e32 v8, 0x900, v0
	v_cmp_gt_u32_e32 vcc, s33, v8
	s_and_saveexec_b64 s[0:1], vcc
	s_cbranch_execz .LBB54_236
; %bb.235:
	v_add_co_u32_e32 v8, vcc, 0x1000, v1
	v_addc_co_u32_e32 v9, vcc, 0, v2, vcc
	s_waitcnt lgkmcnt(4)
	global_store_short v[8:9], v7, off offset:512
.LBB54_236:
	s_or_b64 exec, exec, s[0:1]
	s_waitcnt lgkmcnt(4)
	v_or_b32_e32 v7, 0xa00, v0
	v_cmp_gt_u32_e32 vcc, s33, v7
	s_and_saveexec_b64 s[0:1], vcc
	s_cbranch_execz .LBB54_238
; %bb.237:
	v_add_co_u32_e32 v7, vcc, 0x1000, v1
	v_addc_co_u32_e32 v8, vcc, 0, v2, vcc
	s_waitcnt lgkmcnt(3)
	global_store_short v[7:8], v6, off offset:1024
.LBB54_238:
	s_or_b64 exec, exec, s[0:1]
	s_waitcnt lgkmcnt(3)
	v_or_b32_e32 v6, 0xb00, v0
	v_cmp_gt_u32_e32 vcc, s33, v6
	s_and_saveexec_b64 s[0:1], vcc
	s_cbranch_execz .LBB54_240
; %bb.239:
	v_add_co_u32_e32 v6, vcc, 0x1000, v1
	v_addc_co_u32_e32 v7, vcc, 0, v2, vcc
	s_waitcnt lgkmcnt(2)
	global_store_short v[6:7], v5, off offset:1536
.LBB54_240:
	s_or_b64 exec, exec, s[0:1]
	s_waitcnt lgkmcnt(2)
	v_or_b32_e32 v5, 0xc00, v0
	v_cmp_gt_u32_e32 vcc, s33, v5
	s_and_saveexec_b64 s[0:1], vcc
	s_cbranch_execz .LBB54_242
; %bb.241:
	v_add_co_u32_e32 v1, vcc, 0x1000, v1
	v_addc_co_u32_e32 v2, vcc, 0, v2, vcc
	s_waitcnt lgkmcnt(1)
	global_store_short v[1:2], v4, off offset:2048
.LBB54_242:
	s_or_b64 exec, exec, s[0:1]
	v_or_b32_e32 v1, 0xd00, v0
	v_cmp_gt_u32_e64 s[0:1], s33, v1
	s_branch .LBB54_245
.LBB54_243:
	s_mov_b64 s[0:1], 0
                                        ; implicit-def: $vgpr3
	s_cbranch_execz .LBB54_245
; %bb.244:
	s_mov_b32 s4, 0x5040100
	v_mul_u32_u24_e32 v1, 28, v0
	v_perm_b32 v2, v16, v15, s4
	s_waitcnt lgkmcnt(0)
	v_perm_b32 v3, v14, v13, s4
	s_waitcnt vmcnt(0)
	s_barrier
	ds_write2_b32 v1, v3, v2 offset1:1
	v_perm_b32 v2, v20, v19, s4
	v_perm_b32 v3, v18, v17, s4
	ds_write2_b32 v1, v3, v2 offset0:2 offset1:3
	v_perm_b32 v2, v40, v39, s4
	v_perm_b32 v3, v38, v21, s4
	ds_write2_b32 v1, v3, v2 offset0:4 offset1:5
	v_perm_b32 v2, v42, v41, s4
	ds_write_b32 v1, v2 offset:24
	v_mul_i32_i24_e32 v1, 0xffffffe6, v0
	v_mad_u32_u24 v1, v0, 28, v1
	s_waitcnt lgkmcnt(0)
	s_barrier
	ds_read_u16 v2, v1
	ds_read_u16 v4, v1 offset:512
	ds_read_u16 v5, v1 offset:1024
	;; [unrolled: 1-line block ×13, first 2 shown]
	v_lshlrev_b32_e32 v1, 1, v0
	v_mov_b32_e32 v16, s3
	v_add_co_u32_e32 v17, vcc, s2, v1
	v_addc_co_u32_e32 v16, vcc, 0, v16, vcc
	s_waitcnt lgkmcnt(13)
	global_store_short v1, v2, s[2:3]
	s_waitcnt lgkmcnt(12)
	global_store_short v1, v4, s[2:3] offset:512
	s_waitcnt lgkmcnt(11)
	global_store_short v1, v5, s[2:3] offset:1024
	;; [unrolled: 2-line block ×7, first 2 shown]
	v_add_co_u32_e32 v1, vcc, 0x1000, v17
	v_addc_co_u32_e32 v2, vcc, 0, v16, vcc
	s_or_b64 s[0:1], s[0:1], exec
	s_waitcnt lgkmcnt(5)
	global_store_short v[1:2], v11, off
	s_waitcnt lgkmcnt(4)
	global_store_short v[1:2], v12, off offset:512
	s_waitcnt lgkmcnt(3)
	global_store_short v[1:2], v13, off offset:1024
	;; [unrolled: 2-line block ×4, first 2 shown]
.LBB54_245:
	s_and_saveexec_b64 s[4:5], s[0:1]
	s_cbranch_execz .LBB54_247
; %bb.246:
	v_lshlrev_b32_e32 v0, 1, v0
	v_mov_b32_e32 v1, s3
	v_add_co_u32_e32 v0, vcc, s2, v0
	v_addc_co_u32_e32 v1, vcc, 0, v1, vcc
	v_add_co_u32_e32 v0, vcc, 0x1000, v0
	v_addc_co_u32_e32 v1, vcc, 0, v1, vcc
	s_waitcnt lgkmcnt(0)
	global_store_short v[0:1], v3, off offset:2560
	s_endpgm
.LBB54_247:
	s_endpgm
	.section	.rodata,"a",@progbits
	.p2align	6, 0x0
	.amdhsa_kernel _ZN7rocprim6detail25device_scan_by_key_kernelILNS0_25lookback_scan_determinismE0ELb0ENS0_26wrapped_scan_by_key_configINS_14default_configEi12hip_bfloat16EEPiN6hipcub22TransformInputIteratorIS5_NS8_6CastOpIS5_EEPS5_lEESC_S5_NS8_8EqualityENS8_3MaxENS0_19lookback_scan_stateINS_5tupleIJS5_bEEELb0ELb1EEES5_EEvT2_T3_T4_T5_T6_T7_T8_mmmPKNSH_IJT9_bEEE
		.amdhsa_group_segment_fixed_size 16384
		.amdhsa_private_segment_fixed_size 0
		.amdhsa_kernarg_size 80
		.amdhsa_user_sgpr_count 6
		.amdhsa_user_sgpr_private_segment_buffer 1
		.amdhsa_user_sgpr_dispatch_ptr 0
		.amdhsa_user_sgpr_queue_ptr 0
		.amdhsa_user_sgpr_kernarg_segment_ptr 1
		.amdhsa_user_sgpr_dispatch_id 0
		.amdhsa_user_sgpr_flat_scratch_init 0
		.amdhsa_user_sgpr_private_segment_size 0
		.amdhsa_uses_dynamic_stack 0
		.amdhsa_system_sgpr_private_segment_wavefront_offset 0
		.amdhsa_system_sgpr_workgroup_id_x 1
		.amdhsa_system_sgpr_workgroup_id_y 0
		.amdhsa_system_sgpr_workgroup_id_z 0
		.amdhsa_system_sgpr_workgroup_info 0
		.amdhsa_system_vgpr_workitem_id 0
		.amdhsa_next_free_vgpr 61
		.amdhsa_next_free_sgpr 98
		.amdhsa_reserve_vcc 1
		.amdhsa_reserve_flat_scratch 0
		.amdhsa_float_round_mode_32 0
		.amdhsa_float_round_mode_16_64 0
		.amdhsa_float_denorm_mode_32 3
		.amdhsa_float_denorm_mode_16_64 3
		.amdhsa_dx10_clamp 1
		.amdhsa_ieee_mode 1
		.amdhsa_fp16_overflow 0
		.amdhsa_exception_fp_ieee_invalid_op 0
		.amdhsa_exception_fp_denorm_src 0
		.amdhsa_exception_fp_ieee_div_zero 0
		.amdhsa_exception_fp_ieee_overflow 0
		.amdhsa_exception_fp_ieee_underflow 0
		.amdhsa_exception_fp_ieee_inexact 0
		.amdhsa_exception_int_div_zero 0
	.end_amdhsa_kernel
	.section	.text._ZN7rocprim6detail25device_scan_by_key_kernelILNS0_25lookback_scan_determinismE0ELb0ENS0_26wrapped_scan_by_key_configINS_14default_configEi12hip_bfloat16EEPiN6hipcub22TransformInputIteratorIS5_NS8_6CastOpIS5_EEPS5_lEESC_S5_NS8_8EqualityENS8_3MaxENS0_19lookback_scan_stateINS_5tupleIJS5_bEEELb0ELb1EEES5_EEvT2_T3_T4_T5_T6_T7_T8_mmmPKNSH_IJT9_bEEE,"axG",@progbits,_ZN7rocprim6detail25device_scan_by_key_kernelILNS0_25lookback_scan_determinismE0ELb0ENS0_26wrapped_scan_by_key_configINS_14default_configEi12hip_bfloat16EEPiN6hipcub22TransformInputIteratorIS5_NS8_6CastOpIS5_EEPS5_lEESC_S5_NS8_8EqualityENS8_3MaxENS0_19lookback_scan_stateINS_5tupleIJS5_bEEELb0ELb1EEES5_EEvT2_T3_T4_T5_T6_T7_T8_mmmPKNSH_IJT9_bEEE,comdat
.Lfunc_end54:
	.size	_ZN7rocprim6detail25device_scan_by_key_kernelILNS0_25lookback_scan_determinismE0ELb0ENS0_26wrapped_scan_by_key_configINS_14default_configEi12hip_bfloat16EEPiN6hipcub22TransformInputIteratorIS5_NS8_6CastOpIS5_EEPS5_lEESC_S5_NS8_8EqualityENS8_3MaxENS0_19lookback_scan_stateINS_5tupleIJS5_bEEELb0ELb1EEES5_EEvT2_T3_T4_T5_T6_T7_T8_mmmPKNSH_IJT9_bEEE, .Lfunc_end54-_ZN7rocprim6detail25device_scan_by_key_kernelILNS0_25lookback_scan_determinismE0ELb0ENS0_26wrapped_scan_by_key_configINS_14default_configEi12hip_bfloat16EEPiN6hipcub22TransformInputIteratorIS5_NS8_6CastOpIS5_EEPS5_lEESC_S5_NS8_8EqualityENS8_3MaxENS0_19lookback_scan_stateINS_5tupleIJS5_bEEELb0ELb1EEES5_EEvT2_T3_T4_T5_T6_T7_T8_mmmPKNSH_IJT9_bEEE
                                        ; -- End function
	.set _ZN7rocprim6detail25device_scan_by_key_kernelILNS0_25lookback_scan_determinismE0ELb0ENS0_26wrapped_scan_by_key_configINS_14default_configEi12hip_bfloat16EEPiN6hipcub22TransformInputIteratorIS5_NS8_6CastOpIS5_EEPS5_lEESC_S5_NS8_8EqualityENS8_3MaxENS0_19lookback_scan_stateINS_5tupleIJS5_bEEELb0ELb1EEES5_EEvT2_T3_T4_T5_T6_T7_T8_mmmPKNSH_IJT9_bEEE.num_vgpr, 61
	.set _ZN7rocprim6detail25device_scan_by_key_kernelILNS0_25lookback_scan_determinismE0ELb0ENS0_26wrapped_scan_by_key_configINS_14default_configEi12hip_bfloat16EEPiN6hipcub22TransformInputIteratorIS5_NS8_6CastOpIS5_EEPS5_lEESC_S5_NS8_8EqualityENS8_3MaxENS0_19lookback_scan_stateINS_5tupleIJS5_bEEELb0ELb1EEES5_EEvT2_T3_T4_T5_T6_T7_T8_mmmPKNSH_IJT9_bEEE.num_agpr, 0
	.set _ZN7rocprim6detail25device_scan_by_key_kernelILNS0_25lookback_scan_determinismE0ELb0ENS0_26wrapped_scan_by_key_configINS_14default_configEi12hip_bfloat16EEPiN6hipcub22TransformInputIteratorIS5_NS8_6CastOpIS5_EEPS5_lEESC_S5_NS8_8EqualityENS8_3MaxENS0_19lookback_scan_stateINS_5tupleIJS5_bEEELb0ELb1EEES5_EEvT2_T3_T4_T5_T6_T7_T8_mmmPKNSH_IJT9_bEEE.numbered_sgpr, 54
	.set _ZN7rocprim6detail25device_scan_by_key_kernelILNS0_25lookback_scan_determinismE0ELb0ENS0_26wrapped_scan_by_key_configINS_14default_configEi12hip_bfloat16EEPiN6hipcub22TransformInputIteratorIS5_NS8_6CastOpIS5_EEPS5_lEESC_S5_NS8_8EqualityENS8_3MaxENS0_19lookback_scan_stateINS_5tupleIJS5_bEEELb0ELb1EEES5_EEvT2_T3_T4_T5_T6_T7_T8_mmmPKNSH_IJT9_bEEE.num_named_barrier, 0
	.set _ZN7rocprim6detail25device_scan_by_key_kernelILNS0_25lookback_scan_determinismE0ELb0ENS0_26wrapped_scan_by_key_configINS_14default_configEi12hip_bfloat16EEPiN6hipcub22TransformInputIteratorIS5_NS8_6CastOpIS5_EEPS5_lEESC_S5_NS8_8EqualityENS8_3MaxENS0_19lookback_scan_stateINS_5tupleIJS5_bEEELb0ELb1EEES5_EEvT2_T3_T4_T5_T6_T7_T8_mmmPKNSH_IJT9_bEEE.private_seg_size, 0
	.set _ZN7rocprim6detail25device_scan_by_key_kernelILNS0_25lookback_scan_determinismE0ELb0ENS0_26wrapped_scan_by_key_configINS_14default_configEi12hip_bfloat16EEPiN6hipcub22TransformInputIteratorIS5_NS8_6CastOpIS5_EEPS5_lEESC_S5_NS8_8EqualityENS8_3MaxENS0_19lookback_scan_stateINS_5tupleIJS5_bEEELb0ELb1EEES5_EEvT2_T3_T4_T5_T6_T7_T8_mmmPKNSH_IJT9_bEEE.uses_vcc, 1
	.set _ZN7rocprim6detail25device_scan_by_key_kernelILNS0_25lookback_scan_determinismE0ELb0ENS0_26wrapped_scan_by_key_configINS_14default_configEi12hip_bfloat16EEPiN6hipcub22TransformInputIteratorIS5_NS8_6CastOpIS5_EEPS5_lEESC_S5_NS8_8EqualityENS8_3MaxENS0_19lookback_scan_stateINS_5tupleIJS5_bEEELb0ELb1EEES5_EEvT2_T3_T4_T5_T6_T7_T8_mmmPKNSH_IJT9_bEEE.uses_flat_scratch, 0
	.set _ZN7rocprim6detail25device_scan_by_key_kernelILNS0_25lookback_scan_determinismE0ELb0ENS0_26wrapped_scan_by_key_configINS_14default_configEi12hip_bfloat16EEPiN6hipcub22TransformInputIteratorIS5_NS8_6CastOpIS5_EEPS5_lEESC_S5_NS8_8EqualityENS8_3MaxENS0_19lookback_scan_stateINS_5tupleIJS5_bEEELb0ELb1EEES5_EEvT2_T3_T4_T5_T6_T7_T8_mmmPKNSH_IJT9_bEEE.has_dyn_sized_stack, 0
	.set _ZN7rocprim6detail25device_scan_by_key_kernelILNS0_25lookback_scan_determinismE0ELb0ENS0_26wrapped_scan_by_key_configINS_14default_configEi12hip_bfloat16EEPiN6hipcub22TransformInputIteratorIS5_NS8_6CastOpIS5_EEPS5_lEESC_S5_NS8_8EqualityENS8_3MaxENS0_19lookback_scan_stateINS_5tupleIJS5_bEEELb0ELb1EEES5_EEvT2_T3_T4_T5_T6_T7_T8_mmmPKNSH_IJT9_bEEE.has_recursion, 0
	.set _ZN7rocprim6detail25device_scan_by_key_kernelILNS0_25lookback_scan_determinismE0ELb0ENS0_26wrapped_scan_by_key_configINS_14default_configEi12hip_bfloat16EEPiN6hipcub22TransformInputIteratorIS5_NS8_6CastOpIS5_EEPS5_lEESC_S5_NS8_8EqualityENS8_3MaxENS0_19lookback_scan_stateINS_5tupleIJS5_bEEELb0ELb1EEES5_EEvT2_T3_T4_T5_T6_T7_T8_mmmPKNSH_IJT9_bEEE.has_indirect_call, 0
	.section	.AMDGPU.csdata,"",@progbits
; Kernel info:
; codeLenInByte = 12164
; TotalNumSgprs: 58
; NumVgprs: 61
; ScratchSize: 0
; MemoryBound: 0
; FloatMode: 240
; IeeeMode: 1
; LDSByteSize: 16384 bytes/workgroup (compile time only)
; SGPRBlocks: 12
; VGPRBlocks: 15
; NumSGPRsForWavesPerEU: 102
; NumVGPRsForWavesPerEU: 61
; Occupancy: 4
; WaveLimiterHint : 1
; COMPUTE_PGM_RSRC2:SCRATCH_EN: 0
; COMPUTE_PGM_RSRC2:USER_SGPR: 6
; COMPUTE_PGM_RSRC2:TRAP_HANDLER: 0
; COMPUTE_PGM_RSRC2:TGID_X_EN: 1
; COMPUTE_PGM_RSRC2:TGID_Y_EN: 0
; COMPUTE_PGM_RSRC2:TGID_Z_EN: 0
; COMPUTE_PGM_RSRC2:TIDIG_COMP_CNT: 0
	.section	.text._ZN7rocprim6detail25device_scan_by_key_kernelILNS0_25lookback_scan_determinismE0ELb0ENS0_26wrapped_scan_by_key_configINS_14default_configEiiEEPiN6hipcub22TransformInputIteratorIiNS7_6CastOpIiEES6_lEEPdiNS7_8EqualityENS7_3SumENS0_19lookback_scan_stateINS_5tupleIJibEEELb1ELb1EEEiEEvT2_T3_T4_T5_T6_T7_T8_mmmPKNSG_IJT9_bEEE,"axG",@progbits,_ZN7rocprim6detail25device_scan_by_key_kernelILNS0_25lookback_scan_determinismE0ELb0ENS0_26wrapped_scan_by_key_configINS_14default_configEiiEEPiN6hipcub22TransformInputIteratorIiNS7_6CastOpIiEES6_lEEPdiNS7_8EqualityENS7_3SumENS0_19lookback_scan_stateINS_5tupleIJibEEELb1ELb1EEEiEEvT2_T3_T4_T5_T6_T7_T8_mmmPKNSG_IJT9_bEEE,comdat
	.protected	_ZN7rocprim6detail25device_scan_by_key_kernelILNS0_25lookback_scan_determinismE0ELb0ENS0_26wrapped_scan_by_key_configINS_14default_configEiiEEPiN6hipcub22TransformInputIteratorIiNS7_6CastOpIiEES6_lEEPdiNS7_8EqualityENS7_3SumENS0_19lookback_scan_stateINS_5tupleIJibEEELb1ELb1EEEiEEvT2_T3_T4_T5_T6_T7_T8_mmmPKNSG_IJT9_bEEE ; -- Begin function _ZN7rocprim6detail25device_scan_by_key_kernelILNS0_25lookback_scan_determinismE0ELb0ENS0_26wrapped_scan_by_key_configINS_14default_configEiiEEPiN6hipcub22TransformInputIteratorIiNS7_6CastOpIiEES6_lEEPdiNS7_8EqualityENS7_3SumENS0_19lookback_scan_stateINS_5tupleIJibEEELb1ELb1EEEiEEvT2_T3_T4_T5_T6_T7_T8_mmmPKNSG_IJT9_bEEE
	.globl	_ZN7rocprim6detail25device_scan_by_key_kernelILNS0_25lookback_scan_determinismE0ELb0ENS0_26wrapped_scan_by_key_configINS_14default_configEiiEEPiN6hipcub22TransformInputIteratorIiNS7_6CastOpIiEES6_lEEPdiNS7_8EqualityENS7_3SumENS0_19lookback_scan_stateINS_5tupleIJibEEELb1ELb1EEEiEEvT2_T3_T4_T5_T6_T7_T8_mmmPKNSG_IJT9_bEEE
	.p2align	8
	.type	_ZN7rocprim6detail25device_scan_by_key_kernelILNS0_25lookback_scan_determinismE0ELb0ENS0_26wrapped_scan_by_key_configINS_14default_configEiiEEPiN6hipcub22TransformInputIteratorIiNS7_6CastOpIiEES6_lEEPdiNS7_8EqualityENS7_3SumENS0_19lookback_scan_stateINS_5tupleIJibEEELb1ELb1EEEiEEvT2_T3_T4_T5_T6_T7_T8_mmmPKNSG_IJT9_bEEE,@function
_ZN7rocprim6detail25device_scan_by_key_kernelILNS0_25lookback_scan_determinismE0ELb0ENS0_26wrapped_scan_by_key_configINS_14default_configEiiEEPiN6hipcub22TransformInputIteratorIiNS7_6CastOpIiEES6_lEEPdiNS7_8EqualityENS7_3SumENS0_19lookback_scan_stateINS_5tupleIJibEEELb1ELb1EEEiEEvT2_T3_T4_T5_T6_T7_T8_mmmPKNSG_IJT9_bEEE: ; @_ZN7rocprim6detail25device_scan_by_key_kernelILNS0_25lookback_scan_determinismE0ELb0ENS0_26wrapped_scan_by_key_configINS_14default_configEiiEEPiN6hipcub22TransformInputIteratorIiNS7_6CastOpIiEES6_lEEPdiNS7_8EqualityENS7_3SumENS0_19lookback_scan_stateINS_5tupleIJibEEELb1ELb1EEEiEEvT2_T3_T4_T5_T6_T7_T8_mmmPKNSG_IJT9_bEEE
; %bb.0:
	s_endpgm
	.section	.rodata,"a",@progbits
	.p2align	6, 0x0
	.amdhsa_kernel _ZN7rocprim6detail25device_scan_by_key_kernelILNS0_25lookback_scan_determinismE0ELb0ENS0_26wrapped_scan_by_key_configINS_14default_configEiiEEPiN6hipcub22TransformInputIteratorIiNS7_6CastOpIiEES6_lEEPdiNS7_8EqualityENS7_3SumENS0_19lookback_scan_stateINS_5tupleIJibEEELb1ELb1EEEiEEvT2_T3_T4_T5_T6_T7_T8_mmmPKNSG_IJT9_bEEE
		.amdhsa_group_segment_fixed_size 0
		.amdhsa_private_segment_fixed_size 0
		.amdhsa_kernarg_size 80
		.amdhsa_user_sgpr_count 6
		.amdhsa_user_sgpr_private_segment_buffer 1
		.amdhsa_user_sgpr_dispatch_ptr 0
		.amdhsa_user_sgpr_queue_ptr 0
		.amdhsa_user_sgpr_kernarg_segment_ptr 1
		.amdhsa_user_sgpr_dispatch_id 0
		.amdhsa_user_sgpr_flat_scratch_init 0
		.amdhsa_user_sgpr_private_segment_size 0
		.amdhsa_uses_dynamic_stack 0
		.amdhsa_system_sgpr_private_segment_wavefront_offset 0
		.amdhsa_system_sgpr_workgroup_id_x 1
		.amdhsa_system_sgpr_workgroup_id_y 0
		.amdhsa_system_sgpr_workgroup_id_z 0
		.amdhsa_system_sgpr_workgroup_info 0
		.amdhsa_system_vgpr_workitem_id 0
		.amdhsa_next_free_vgpr 1
		.amdhsa_next_free_sgpr 0
		.amdhsa_reserve_vcc 0
		.amdhsa_reserve_flat_scratch 0
		.amdhsa_float_round_mode_32 0
		.amdhsa_float_round_mode_16_64 0
		.amdhsa_float_denorm_mode_32 3
		.amdhsa_float_denorm_mode_16_64 3
		.amdhsa_dx10_clamp 1
		.amdhsa_ieee_mode 1
		.amdhsa_fp16_overflow 0
		.amdhsa_exception_fp_ieee_invalid_op 0
		.amdhsa_exception_fp_denorm_src 0
		.amdhsa_exception_fp_ieee_div_zero 0
		.amdhsa_exception_fp_ieee_overflow 0
		.amdhsa_exception_fp_ieee_underflow 0
		.amdhsa_exception_fp_ieee_inexact 0
		.amdhsa_exception_int_div_zero 0
	.end_amdhsa_kernel
	.section	.text._ZN7rocprim6detail25device_scan_by_key_kernelILNS0_25lookback_scan_determinismE0ELb0ENS0_26wrapped_scan_by_key_configINS_14default_configEiiEEPiN6hipcub22TransformInputIteratorIiNS7_6CastOpIiEES6_lEEPdiNS7_8EqualityENS7_3SumENS0_19lookback_scan_stateINS_5tupleIJibEEELb1ELb1EEEiEEvT2_T3_T4_T5_T6_T7_T8_mmmPKNSG_IJT9_bEEE,"axG",@progbits,_ZN7rocprim6detail25device_scan_by_key_kernelILNS0_25lookback_scan_determinismE0ELb0ENS0_26wrapped_scan_by_key_configINS_14default_configEiiEEPiN6hipcub22TransformInputIteratorIiNS7_6CastOpIiEES6_lEEPdiNS7_8EqualityENS7_3SumENS0_19lookback_scan_stateINS_5tupleIJibEEELb1ELb1EEEiEEvT2_T3_T4_T5_T6_T7_T8_mmmPKNSG_IJT9_bEEE,comdat
.Lfunc_end55:
	.size	_ZN7rocprim6detail25device_scan_by_key_kernelILNS0_25lookback_scan_determinismE0ELb0ENS0_26wrapped_scan_by_key_configINS_14default_configEiiEEPiN6hipcub22TransformInputIteratorIiNS7_6CastOpIiEES6_lEEPdiNS7_8EqualityENS7_3SumENS0_19lookback_scan_stateINS_5tupleIJibEEELb1ELb1EEEiEEvT2_T3_T4_T5_T6_T7_T8_mmmPKNSG_IJT9_bEEE, .Lfunc_end55-_ZN7rocprim6detail25device_scan_by_key_kernelILNS0_25lookback_scan_determinismE0ELb0ENS0_26wrapped_scan_by_key_configINS_14default_configEiiEEPiN6hipcub22TransformInputIteratorIiNS7_6CastOpIiEES6_lEEPdiNS7_8EqualityENS7_3SumENS0_19lookback_scan_stateINS_5tupleIJibEEELb1ELb1EEEiEEvT2_T3_T4_T5_T6_T7_T8_mmmPKNSG_IJT9_bEEE
                                        ; -- End function
	.set _ZN7rocprim6detail25device_scan_by_key_kernelILNS0_25lookback_scan_determinismE0ELb0ENS0_26wrapped_scan_by_key_configINS_14default_configEiiEEPiN6hipcub22TransformInputIteratorIiNS7_6CastOpIiEES6_lEEPdiNS7_8EqualityENS7_3SumENS0_19lookback_scan_stateINS_5tupleIJibEEELb1ELb1EEEiEEvT2_T3_T4_T5_T6_T7_T8_mmmPKNSG_IJT9_bEEE.num_vgpr, 0
	.set _ZN7rocprim6detail25device_scan_by_key_kernelILNS0_25lookback_scan_determinismE0ELb0ENS0_26wrapped_scan_by_key_configINS_14default_configEiiEEPiN6hipcub22TransformInputIteratorIiNS7_6CastOpIiEES6_lEEPdiNS7_8EqualityENS7_3SumENS0_19lookback_scan_stateINS_5tupleIJibEEELb1ELb1EEEiEEvT2_T3_T4_T5_T6_T7_T8_mmmPKNSG_IJT9_bEEE.num_agpr, 0
	.set _ZN7rocprim6detail25device_scan_by_key_kernelILNS0_25lookback_scan_determinismE0ELb0ENS0_26wrapped_scan_by_key_configINS_14default_configEiiEEPiN6hipcub22TransformInputIteratorIiNS7_6CastOpIiEES6_lEEPdiNS7_8EqualityENS7_3SumENS0_19lookback_scan_stateINS_5tupleIJibEEELb1ELb1EEEiEEvT2_T3_T4_T5_T6_T7_T8_mmmPKNSG_IJT9_bEEE.numbered_sgpr, 0
	.set _ZN7rocprim6detail25device_scan_by_key_kernelILNS0_25lookback_scan_determinismE0ELb0ENS0_26wrapped_scan_by_key_configINS_14default_configEiiEEPiN6hipcub22TransformInputIteratorIiNS7_6CastOpIiEES6_lEEPdiNS7_8EqualityENS7_3SumENS0_19lookback_scan_stateINS_5tupleIJibEEELb1ELb1EEEiEEvT2_T3_T4_T5_T6_T7_T8_mmmPKNSG_IJT9_bEEE.num_named_barrier, 0
	.set _ZN7rocprim6detail25device_scan_by_key_kernelILNS0_25lookback_scan_determinismE0ELb0ENS0_26wrapped_scan_by_key_configINS_14default_configEiiEEPiN6hipcub22TransformInputIteratorIiNS7_6CastOpIiEES6_lEEPdiNS7_8EqualityENS7_3SumENS0_19lookback_scan_stateINS_5tupleIJibEEELb1ELb1EEEiEEvT2_T3_T4_T5_T6_T7_T8_mmmPKNSG_IJT9_bEEE.private_seg_size, 0
	.set _ZN7rocprim6detail25device_scan_by_key_kernelILNS0_25lookback_scan_determinismE0ELb0ENS0_26wrapped_scan_by_key_configINS_14default_configEiiEEPiN6hipcub22TransformInputIteratorIiNS7_6CastOpIiEES6_lEEPdiNS7_8EqualityENS7_3SumENS0_19lookback_scan_stateINS_5tupleIJibEEELb1ELb1EEEiEEvT2_T3_T4_T5_T6_T7_T8_mmmPKNSG_IJT9_bEEE.uses_vcc, 0
	.set _ZN7rocprim6detail25device_scan_by_key_kernelILNS0_25lookback_scan_determinismE0ELb0ENS0_26wrapped_scan_by_key_configINS_14default_configEiiEEPiN6hipcub22TransformInputIteratorIiNS7_6CastOpIiEES6_lEEPdiNS7_8EqualityENS7_3SumENS0_19lookback_scan_stateINS_5tupleIJibEEELb1ELb1EEEiEEvT2_T3_T4_T5_T6_T7_T8_mmmPKNSG_IJT9_bEEE.uses_flat_scratch, 0
	.set _ZN7rocprim6detail25device_scan_by_key_kernelILNS0_25lookback_scan_determinismE0ELb0ENS0_26wrapped_scan_by_key_configINS_14default_configEiiEEPiN6hipcub22TransformInputIteratorIiNS7_6CastOpIiEES6_lEEPdiNS7_8EqualityENS7_3SumENS0_19lookback_scan_stateINS_5tupleIJibEEELb1ELb1EEEiEEvT2_T3_T4_T5_T6_T7_T8_mmmPKNSG_IJT9_bEEE.has_dyn_sized_stack, 0
	.set _ZN7rocprim6detail25device_scan_by_key_kernelILNS0_25lookback_scan_determinismE0ELb0ENS0_26wrapped_scan_by_key_configINS_14default_configEiiEEPiN6hipcub22TransformInputIteratorIiNS7_6CastOpIiEES6_lEEPdiNS7_8EqualityENS7_3SumENS0_19lookback_scan_stateINS_5tupleIJibEEELb1ELb1EEEiEEvT2_T3_T4_T5_T6_T7_T8_mmmPKNSG_IJT9_bEEE.has_recursion, 0
	.set _ZN7rocprim6detail25device_scan_by_key_kernelILNS0_25lookback_scan_determinismE0ELb0ENS0_26wrapped_scan_by_key_configINS_14default_configEiiEEPiN6hipcub22TransformInputIteratorIiNS7_6CastOpIiEES6_lEEPdiNS7_8EqualityENS7_3SumENS0_19lookback_scan_stateINS_5tupleIJibEEELb1ELb1EEEiEEvT2_T3_T4_T5_T6_T7_T8_mmmPKNSG_IJT9_bEEE.has_indirect_call, 0
	.section	.AMDGPU.csdata,"",@progbits
; Kernel info:
; codeLenInByte = 4
; TotalNumSgprs: 4
; NumVgprs: 0
; ScratchSize: 0
; MemoryBound: 0
; FloatMode: 240
; IeeeMode: 1
; LDSByteSize: 0 bytes/workgroup (compile time only)
; SGPRBlocks: 0
; VGPRBlocks: 0
; NumSGPRsForWavesPerEU: 4
; NumVGPRsForWavesPerEU: 1
; Occupancy: 10
; WaveLimiterHint : 0
; COMPUTE_PGM_RSRC2:SCRATCH_EN: 0
; COMPUTE_PGM_RSRC2:USER_SGPR: 6
; COMPUTE_PGM_RSRC2:TRAP_HANDLER: 0
; COMPUTE_PGM_RSRC2:TGID_X_EN: 1
; COMPUTE_PGM_RSRC2:TGID_Y_EN: 0
; COMPUTE_PGM_RSRC2:TGID_Z_EN: 0
; COMPUTE_PGM_RSRC2:TIDIG_COMP_CNT: 0
	.section	.text._ZN7rocprim6detail25device_scan_by_key_kernelILNS0_25lookback_scan_determinismE0ELb0ENS0_26wrapped_scan_by_key_configINS_14default_configEiiEEPiN6hipcub22TransformInputIteratorIiNS7_6CastOpIiEES6_lEEPdiNS7_8EqualityENS7_3SumENS0_19lookback_scan_stateINS_5tupleIJibEEELb0ELb1EEEiEEvT2_T3_T4_T5_T6_T7_T8_mmmPKNSG_IJT9_bEEE,"axG",@progbits,_ZN7rocprim6detail25device_scan_by_key_kernelILNS0_25lookback_scan_determinismE0ELb0ENS0_26wrapped_scan_by_key_configINS_14default_configEiiEEPiN6hipcub22TransformInputIteratorIiNS7_6CastOpIiEES6_lEEPdiNS7_8EqualityENS7_3SumENS0_19lookback_scan_stateINS_5tupleIJibEEELb0ELb1EEEiEEvT2_T3_T4_T5_T6_T7_T8_mmmPKNSG_IJT9_bEEE,comdat
	.protected	_ZN7rocprim6detail25device_scan_by_key_kernelILNS0_25lookback_scan_determinismE0ELb0ENS0_26wrapped_scan_by_key_configINS_14default_configEiiEEPiN6hipcub22TransformInputIteratorIiNS7_6CastOpIiEES6_lEEPdiNS7_8EqualityENS7_3SumENS0_19lookback_scan_stateINS_5tupleIJibEEELb0ELb1EEEiEEvT2_T3_T4_T5_T6_T7_T8_mmmPKNSG_IJT9_bEEE ; -- Begin function _ZN7rocprim6detail25device_scan_by_key_kernelILNS0_25lookback_scan_determinismE0ELb0ENS0_26wrapped_scan_by_key_configINS_14default_configEiiEEPiN6hipcub22TransformInputIteratorIiNS7_6CastOpIiEES6_lEEPdiNS7_8EqualityENS7_3SumENS0_19lookback_scan_stateINS_5tupleIJibEEELb0ELb1EEEiEEvT2_T3_T4_T5_T6_T7_T8_mmmPKNSG_IJT9_bEEE
	.globl	_ZN7rocprim6detail25device_scan_by_key_kernelILNS0_25lookback_scan_determinismE0ELb0ENS0_26wrapped_scan_by_key_configINS_14default_configEiiEEPiN6hipcub22TransformInputIteratorIiNS7_6CastOpIiEES6_lEEPdiNS7_8EqualityENS7_3SumENS0_19lookback_scan_stateINS_5tupleIJibEEELb0ELb1EEEiEEvT2_T3_T4_T5_T6_T7_T8_mmmPKNSG_IJT9_bEEE
	.p2align	8
	.type	_ZN7rocprim6detail25device_scan_by_key_kernelILNS0_25lookback_scan_determinismE0ELb0ENS0_26wrapped_scan_by_key_configINS_14default_configEiiEEPiN6hipcub22TransformInputIteratorIiNS7_6CastOpIiEES6_lEEPdiNS7_8EqualityENS7_3SumENS0_19lookback_scan_stateINS_5tupleIJibEEELb0ELb1EEEiEEvT2_T3_T4_T5_T6_T7_T8_mmmPKNSG_IJT9_bEEE,@function
_ZN7rocprim6detail25device_scan_by_key_kernelILNS0_25lookback_scan_determinismE0ELb0ENS0_26wrapped_scan_by_key_configINS_14default_configEiiEEPiN6hipcub22TransformInputIteratorIiNS7_6CastOpIiEES6_lEEPdiNS7_8EqualityENS7_3SumENS0_19lookback_scan_stateINS_5tupleIJibEEELb0ELb1EEEiEEvT2_T3_T4_T5_T6_T7_T8_mmmPKNSG_IJT9_bEEE: ; @_ZN7rocprim6detail25device_scan_by_key_kernelILNS0_25lookback_scan_determinismE0ELb0ENS0_26wrapped_scan_by_key_configINS_14default_configEiiEEPiN6hipcub22TransformInputIteratorIiNS7_6CastOpIiEES6_lEEPdiNS7_8EqualityENS7_3SumENS0_19lookback_scan_stateINS_5tupleIJibEEELb0ELb1EEEiEEvT2_T3_T4_T5_T6_T7_T8_mmmPKNSG_IJT9_bEEE
; %bb.0:
	s_load_dwordx4 s[0:3], s[4:5], 0x0
	s_load_dwordx8 s[48:55], s[4:5], 0x28
	s_load_dwordx2 s[56:57], s[4:5], 0x48
	s_mul_i32 s46, s6, 0xf00
	s_mov_b32 s47, 0
	s_lshl_b64 s[8:9], s[46:47], 2
	s_waitcnt lgkmcnt(0)
	s_add_u32 s40, s0, s8
	s_addc_u32 s41, s1, s9
	s_add_u32 s38, s2, s8
	s_addc_u32 s39, s3, s9
	s_add_u32 s0, s52, s6
	s_addc_u32 s1, s53, 0
	s_add_u32 s8, s54, -1
	s_addc_u32 s9, s55, -1
	v_mov_b32_e32 v1, s8
	v_mov_b32_e32 v2, s9
	v_cmp_ge_u64_e64 s[0:1], s[0:1], v[1:2]
	s_mov_b64 s[2:3], -1
	s_and_b64 vcc, exec, s[0:1]
	s_mul_i32 s33, s8, 0xfffff100
	v_lshlrev_b32_e32 v69, 2, v0
	s_cbranch_vccz .LBB56_47
; %bb.1:
	s_load_dword s42, s[40:41], 0x0
	s_add_i32 s7, s33, s50
	v_mov_b32_e32 v2, s41
	v_add_co_u32_e32 v1, vcc, s40, v69
	v_addc_co_u32_e32 v2, vcc, 0, v2, vcc
	v_cmp_gt_u32_e64 s[2:3], s7, v0
	s_waitcnt lgkmcnt(0)
	v_mov_b32_e32 v3, s42
	s_and_saveexec_b64 s[8:9], s[2:3]
	s_cbranch_execz .LBB56_3
; %bb.2:
	global_load_dword v3, v[1:2], off
.LBB56_3:
	s_or_b64 exec, exec, s[8:9]
	v_or_b32_e32 v4, 0x100, v0
	v_cmp_gt_u32_e64 s[36:37], s7, v4
	v_mov_b32_e32 v4, s42
	s_and_saveexec_b64 s[8:9], s[36:37]
	s_cbranch_execz .LBB56_5
; %bb.4:
	global_load_dword v4, v[1:2], off offset:1024
.LBB56_5:
	s_or_b64 exec, exec, s[8:9]
	v_or_b32_e32 v5, 0x200, v0
	v_cmp_gt_u32_e64 s[8:9], s7, v5
	v_mov_b32_e32 v5, s42
	s_and_saveexec_b64 s[10:11], s[8:9]
	s_cbranch_execz .LBB56_7
; %bb.6:
	global_load_dword v5, v[1:2], off offset:2048
.LBB56_7:
	;; [unrolled: 9-line block ×3, first 2 shown]
	s_or_b64 exec, exec, s[12:13]
	v_or_b32_e32 v7, 0x400, v0
	v_cmp_gt_u32_e64 s[12:13], s7, v7
	v_mov_b32_e32 v7, s42
	s_and_saveexec_b64 s[14:15], s[12:13]
	s_cbranch_execz .LBB56_11
; %bb.10:
	v_add_co_u32_e32 v7, vcc, 0x1000, v1
	v_addc_co_u32_e32 v8, vcc, 0, v2, vcc
	global_load_dword v7, v[7:8], off
.LBB56_11:
	s_or_b64 exec, exec, s[14:15]
	v_or_b32_e32 v8, 0x500, v0
	v_cmp_gt_u32_e64 s[14:15], s7, v8
	v_mov_b32_e32 v8, s42
	s_and_saveexec_b64 s[16:17], s[14:15]
	s_cbranch_execz .LBB56_13
; %bb.12:
	v_add_co_u32_e32 v8, vcc, 0x1000, v1
	v_addc_co_u32_e32 v9, vcc, 0, v2, vcc
	global_load_dword v8, v[8:9], off offset:1024
.LBB56_13:
	s_or_b64 exec, exec, s[16:17]
	v_or_b32_e32 v9, 0x600, v0
	v_cmp_gt_u32_e64 s[16:17], s7, v9
	v_mov_b32_e32 v9, s42
	s_and_saveexec_b64 s[18:19], s[16:17]
	s_cbranch_execz .LBB56_15
; %bb.14:
	v_add_co_u32_e32 v9, vcc, 0x1000, v1
	v_addc_co_u32_e32 v10, vcc, 0, v2, vcc
	global_load_dword v9, v[9:10], off offset:2048
.LBB56_15:
	;; [unrolled: 11-line block ×3, first 2 shown]
	s_or_b64 exec, exec, s[20:21]
	v_or_b32_e32 v11, 0x800, v0
	v_cmp_gt_u32_e64 s[20:21], s7, v11
	v_mov_b32_e32 v11, s42
	s_and_saveexec_b64 s[22:23], s[20:21]
	s_cbranch_execz .LBB56_19
; %bb.18:
	v_add_co_u32_e32 v11, vcc, 0x2000, v1
	v_addc_co_u32_e32 v12, vcc, 0, v2, vcc
	global_load_dword v11, v[11:12], off
.LBB56_19:
	s_or_b64 exec, exec, s[22:23]
	v_or_b32_e32 v12, 0x900, v0
	v_cmp_gt_u32_e64 s[22:23], s7, v12
	v_mov_b32_e32 v12, s42
	s_and_saveexec_b64 s[24:25], s[22:23]
	s_cbranch_execz .LBB56_21
; %bb.20:
	v_add_co_u32_e32 v12, vcc, 0x2000, v1
	v_addc_co_u32_e32 v13, vcc, 0, v2, vcc
	global_load_dword v12, v[12:13], off offset:1024
.LBB56_21:
	s_or_b64 exec, exec, s[24:25]
	v_or_b32_e32 v13, 0xa00, v0
	v_cmp_gt_u32_e64 s[24:25], s7, v13
	v_mov_b32_e32 v13, s42
	s_and_saveexec_b64 s[26:27], s[24:25]
	s_cbranch_execz .LBB56_23
; %bb.22:
	v_add_co_u32_e32 v13, vcc, 0x2000, v1
	v_addc_co_u32_e32 v14, vcc, 0, v2, vcc
	global_load_dword v13, v[13:14], off offset:2048
.LBB56_23:
	;; [unrolled: 11-line block ×3, first 2 shown]
	s_or_b64 exec, exec, s[28:29]
	v_or_b32_e32 v15, 0xc00, v0
	v_cmp_gt_u32_e64 s[28:29], s7, v15
	v_mov_b32_e32 v15, s42
	s_and_saveexec_b64 s[30:31], s[28:29]
	s_cbranch_execz .LBB56_27
; %bb.26:
	v_add_co_u32_e32 v15, vcc, 0x3000, v1
	v_addc_co_u32_e32 v16, vcc, 0, v2, vcc
	global_load_dword v15, v[15:16], off
.LBB56_27:
	s_or_b64 exec, exec, s[30:31]
	v_or_b32_e32 v16, 0xd00, v0
	v_cmp_gt_u32_e64 s[30:31], s7, v16
	v_mov_b32_e32 v16, s42
	s_and_saveexec_b64 s[34:35], s[30:31]
	s_cbranch_execz .LBB56_29
; %bb.28:
	v_add_co_u32_e32 v16, vcc, 0x3000, v1
	v_addc_co_u32_e32 v17, vcc, 0, v2, vcc
	global_load_dword v16, v[16:17], off offset:1024
.LBB56_29:
	s_or_b64 exec, exec, s[34:35]
	v_or_b32_e32 v17, 0xe00, v0
	v_cmp_gt_u32_e64 s[34:35], s7, v17
	v_mov_b32_e32 v17, s42
	s_and_saveexec_b64 s[42:43], s[34:35]
	s_cbranch_execz .LBB56_31
; %bb.30:
	v_add_co_u32_e32 v1, vcc, 0x3000, v1
	v_addc_co_u32_e32 v2, vcc, 0, v2, vcc
	global_load_dword v17, v[1:2], off offset:2048
.LBB56_31:
	s_or_b64 exec, exec, s[42:43]
	s_sub_u32 s42, 0, s6
	s_subb_u32 s43, 0, 0
	s_cmp_eq_u64 s[52:53], s[42:43]
	s_cselect_b32 s42, 0, -4
	s_cselect_b32 s43, 0, -1
	s_add_u32 s42, s40, s42
	v_mad_u32_u24 v55, v0, 56, v69
	s_addc_u32 s43, s41, s43
	s_waitcnt vmcnt(0)
	ds_write2st64_b32 v69, v3, v4 offset1:4
	ds_write2st64_b32 v69, v5, v6 offset0:8 offset1:12
	ds_write2st64_b32 v69, v7, v8 offset0:16 offset1:20
	;; [unrolled: 1-line block ×6, first 2 shown]
	ds_write_b32 v69, v17 offset:14336
	s_waitcnt lgkmcnt(0)
	s_barrier
	ds_read2_b32 v[67:68], v55 offset1:1
	ds_read2_b32 v[65:66], v55 offset0:2 offset1:3
	ds_read2_b32 v[63:64], v55 offset0:4 offset1:5
	;; [unrolled: 1-line block ×6, first 2 shown]
	ds_read_b32 v70, v55 offset:56
	s_load_dword s42, s[42:43], 0x0
	s_movk_i32 s43, 0xffc8
	v_mad_i32_i24 v1, v0, s43, v55
	v_cmp_ne_u32_e32 vcc, 0, v0
	s_waitcnt lgkmcnt(0)
	ds_write_b32 v1, v70 offset:15360
	v_mov_b32_e32 v72, s42
	s_waitcnt lgkmcnt(0)
	s_barrier
	s_and_saveexec_b64 s[42:43], vcc
; %bb.32:
	v_mul_i32_i24_e32 v1, 0xffffffc8, v0
	v_add_u32_e32 v1, v55, v1
	ds_read_b32 v72, v1 offset:15356
; %bb.33:
	s_or_b64 exec, exec, s[42:43]
	v_mov_b32_e32 v2, s39
	v_add_co_u32_e32 v1, vcc, s38, v69
	v_addc_co_u32_e32 v2, vcc, 0, v2, vcc
	s_waitcnt lgkmcnt(0)
	s_barrier
                                        ; implicit-def: $vgpr3
	s_and_saveexec_b64 s[42:43], s[2:3]
	s_cbranch_execz .LBB56_48
; %bb.34:
	global_load_dword v3, v[1:2], off
	s_or_b64 exec, exec, s[42:43]
                                        ; implicit-def: $vgpr4
	s_and_saveexec_b64 s[2:3], s[36:37]
	s_cbranch_execnz .LBB56_49
.LBB56_35:
	s_or_b64 exec, exec, s[2:3]
                                        ; implicit-def: $vgpr5
	s_and_saveexec_b64 s[2:3], s[8:9]
	s_cbranch_execz .LBB56_50
.LBB56_36:
	global_load_dword v5, v[1:2], off offset:2048
	s_or_b64 exec, exec, s[2:3]
                                        ; implicit-def: $vgpr6
	s_and_saveexec_b64 s[2:3], s[10:11]
	s_cbranch_execnz .LBB56_51
.LBB56_37:
	s_or_b64 exec, exec, s[2:3]
                                        ; implicit-def: $vgpr7
	s_and_saveexec_b64 s[2:3], s[12:13]
	s_cbranch_execz .LBB56_52
.LBB56_38:
	v_add_co_u32_e32 v7, vcc, 0x1000, v1
	v_addc_co_u32_e32 v8, vcc, 0, v2, vcc
	global_load_dword v7, v[7:8], off
	s_or_b64 exec, exec, s[2:3]
                                        ; implicit-def: $vgpr8
	s_and_saveexec_b64 s[2:3], s[14:15]
	s_cbranch_execnz .LBB56_53
.LBB56_39:
	s_or_b64 exec, exec, s[2:3]
                                        ; implicit-def: $vgpr9
	s_and_saveexec_b64 s[2:3], s[16:17]
	s_cbranch_execz .LBB56_54
.LBB56_40:
	v_add_co_u32_e32 v9, vcc, 0x1000, v1
	v_addc_co_u32_e32 v10, vcc, 0, v2, vcc
	global_load_dword v9, v[9:10], off offset:2048
	s_or_b64 exec, exec, s[2:3]
                                        ; implicit-def: $vgpr10
	s_and_saveexec_b64 s[2:3], s[18:19]
	s_cbranch_execnz .LBB56_55
.LBB56_41:
	s_or_b64 exec, exec, s[2:3]
                                        ; implicit-def: $vgpr11
	s_and_saveexec_b64 s[2:3], s[20:21]
	s_cbranch_execz .LBB56_56
.LBB56_42:
	v_add_co_u32_e32 v11, vcc, 0x2000, v1
	v_addc_co_u32_e32 v12, vcc, 0, v2, vcc
	global_load_dword v11, v[11:12], off
	s_or_b64 exec, exec, s[2:3]
                                        ; implicit-def: $vgpr12
	s_and_saveexec_b64 s[2:3], s[22:23]
	s_cbranch_execnz .LBB56_57
.LBB56_43:
	s_or_b64 exec, exec, s[2:3]
                                        ; implicit-def: $vgpr13
	s_and_saveexec_b64 s[2:3], s[24:25]
	s_cbranch_execz .LBB56_58
.LBB56_44:
	v_add_co_u32_e32 v13, vcc, 0x2000, v1
	v_addc_co_u32_e32 v14, vcc, 0, v2, vcc
	global_load_dword v13, v[13:14], off offset:2048
	s_or_b64 exec, exec, s[2:3]
                                        ; implicit-def: $vgpr14
	s_and_saveexec_b64 s[2:3], s[26:27]
	s_cbranch_execnz .LBB56_59
.LBB56_45:
	s_or_b64 exec, exec, s[2:3]
                                        ; implicit-def: $vgpr15
	s_and_saveexec_b64 s[2:3], s[28:29]
	s_cbranch_execz .LBB56_60
.LBB56_46:
	v_add_co_u32_e32 v15, vcc, 0x3000, v1
	v_addc_co_u32_e32 v16, vcc, 0, v2, vcc
	global_load_dword v15, v[15:16], off
	s_or_b64 exec, exec, s[2:3]
                                        ; implicit-def: $vgpr16
	s_and_saveexec_b64 s[2:3], s[30:31]
	s_cbranch_execz .LBB56_62
	s_branch .LBB56_61
.LBB56_47:
	s_mov_b64 s[12:13], 0
                                        ; implicit-def: $sgpr8_sgpr9
                                        ; implicit-def: $vgpr56
                                        ; implicit-def: $vgpr9_vgpr10
                                        ; implicit-def: $vgpr1_vgpr2
                                        ; implicit-def: $vgpr3_vgpr4
                                        ; implicit-def: $vgpr5_vgpr6
                                        ; implicit-def: $vgpr7_vgpr8
                                        ; implicit-def: $vgpr39_vgpr40
                                        ; implicit-def: $vgpr41_vgpr42
                                        ; implicit-def: $vgpr43_vgpr44
                                        ; implicit-def: $vgpr45_vgpr46
                                        ; implicit-def: $vgpr47_vgpr48
                                        ; implicit-def: $vgpr49_vgpr50
                                        ; implicit-def: $vgpr51_vgpr52
                                        ; implicit-def: $vgpr53_vgpr54
                                        ; implicit-def: $vgpr35_vgpr36
                                        ; implicit-def: $vgpr33_vgpr34
                                        ; implicit-def: $vgpr31_vgpr32
                                        ; implicit-def: $vgpr29_vgpr30
                                        ; implicit-def: $vgpr27_vgpr28
                                        ; implicit-def: $vgpr25_vgpr26
                                        ; implicit-def: $vgpr23_vgpr24
                                        ; implicit-def: $vgpr21_vgpr22
                                        ; implicit-def: $vgpr19_vgpr20
                                        ; implicit-def: $vgpr17_vgpr18
                                        ; implicit-def: $vgpr15_vgpr16
                                        ; implicit-def: $vgpr13_vgpr14
                                        ; implicit-def: $vgpr11_vgpr12
	s_and_b64 vcc, exec, s[2:3]
	v_cmp_ne_u32_e64 s[2:3], 0, v0
	s_cbranch_vccz .LBB56_96
	s_branch .LBB56_93
.LBB56_48:
	s_or_b64 exec, exec, s[42:43]
                                        ; implicit-def: $vgpr4
	s_and_saveexec_b64 s[2:3], s[36:37]
	s_cbranch_execz .LBB56_35
.LBB56_49:
	global_load_dword v4, v[1:2], off offset:1024
	s_or_b64 exec, exec, s[2:3]
                                        ; implicit-def: $vgpr5
	s_and_saveexec_b64 s[2:3], s[8:9]
	s_cbranch_execnz .LBB56_36
.LBB56_50:
	s_or_b64 exec, exec, s[2:3]
                                        ; implicit-def: $vgpr6
	s_and_saveexec_b64 s[2:3], s[10:11]
	s_cbranch_execz .LBB56_37
.LBB56_51:
	global_load_dword v6, v[1:2], off offset:3072
	s_or_b64 exec, exec, s[2:3]
                                        ; implicit-def: $vgpr7
	s_and_saveexec_b64 s[2:3], s[12:13]
	s_cbranch_execnz .LBB56_38
.LBB56_52:
	s_or_b64 exec, exec, s[2:3]
                                        ; implicit-def: $vgpr8
	s_and_saveexec_b64 s[2:3], s[14:15]
	s_cbranch_execz .LBB56_39
.LBB56_53:
	v_add_co_u32_e32 v8, vcc, 0x1000, v1
	v_addc_co_u32_e32 v9, vcc, 0, v2, vcc
	global_load_dword v8, v[8:9], off offset:1024
	s_or_b64 exec, exec, s[2:3]
                                        ; implicit-def: $vgpr9
	s_and_saveexec_b64 s[2:3], s[16:17]
	s_cbranch_execnz .LBB56_40
.LBB56_54:
	s_or_b64 exec, exec, s[2:3]
                                        ; implicit-def: $vgpr10
	s_and_saveexec_b64 s[2:3], s[18:19]
	s_cbranch_execz .LBB56_41
.LBB56_55:
	v_add_co_u32_e32 v10, vcc, 0x1000, v1
	v_addc_co_u32_e32 v11, vcc, 0, v2, vcc
	global_load_dword v10, v[10:11], off offset:3072
	s_or_b64 exec, exec, s[2:3]
                                        ; implicit-def: $vgpr11
	s_and_saveexec_b64 s[2:3], s[20:21]
	s_cbranch_execnz .LBB56_42
.LBB56_56:
	s_or_b64 exec, exec, s[2:3]
                                        ; implicit-def: $vgpr12
	s_and_saveexec_b64 s[2:3], s[22:23]
	s_cbranch_execz .LBB56_43
.LBB56_57:
	v_add_co_u32_e32 v12, vcc, 0x2000, v1
	v_addc_co_u32_e32 v13, vcc, 0, v2, vcc
	global_load_dword v12, v[12:13], off offset:1024
	s_or_b64 exec, exec, s[2:3]
                                        ; implicit-def: $vgpr13
	s_and_saveexec_b64 s[2:3], s[24:25]
	s_cbranch_execnz .LBB56_44
.LBB56_58:
	s_or_b64 exec, exec, s[2:3]
                                        ; implicit-def: $vgpr14
	s_and_saveexec_b64 s[2:3], s[26:27]
	s_cbranch_execz .LBB56_45
.LBB56_59:
	v_add_co_u32_e32 v14, vcc, 0x2000, v1
	v_addc_co_u32_e32 v15, vcc, 0, v2, vcc
	global_load_dword v14, v[14:15], off offset:3072
	s_or_b64 exec, exec, s[2:3]
                                        ; implicit-def: $vgpr15
	s_and_saveexec_b64 s[2:3], s[28:29]
	s_cbranch_execnz .LBB56_46
.LBB56_60:
	s_or_b64 exec, exec, s[2:3]
                                        ; implicit-def: $vgpr16
	s_and_saveexec_b64 s[2:3], s[30:31]
	s_cbranch_execz .LBB56_62
.LBB56_61:
	v_add_co_u32_e32 v16, vcc, 0x3000, v1
	v_addc_co_u32_e32 v17, vcc, 0, v2, vcc
	global_load_dword v16, v[16:17], off offset:1024
.LBB56_62:
	s_or_b64 exec, exec, s[2:3]
	v_mul_u32_u24_e32 v71, 15, v0
                                        ; implicit-def: $vgpr17
	s_and_saveexec_b64 s[2:3], s[34:35]
	s_cbranch_execz .LBB56_64
; %bb.63:
	v_add_co_u32_e32 v1, vcc, 0x3000, v1
	v_addc_co_u32_e32 v2, vcc, 0, v2, vcc
	global_load_dword v17, v[1:2], off offset:2048
.LBB56_64:
	s_or_b64 exec, exec, s[2:3]
	s_waitcnt vmcnt(0)
	ds_write2st64_b32 v69, v3, v4 offset1:4
	ds_write2st64_b32 v69, v5, v6 offset0:8 offset1:12
	ds_write2st64_b32 v69, v7, v8 offset0:16 offset1:20
	;; [unrolled: 1-line block ×6, first 2 shown]
	ds_write_b32 v69, v17 offset:14336
	v_mov_b32_e32 v9, 0
	v_mov_b32_e32 v1, 0
	;; [unrolled: 1-line block ×26, first 2 shown]
	v_cmp_gt_u32_e32 vcc, s7, v71
	s_mov_b64 s[2:3], 0
	v_mov_b32_e32 v10, 0
	v_mov_b32_e32 v2, 0
	;; [unrolled: 1-line block ×26, first 2 shown]
	s_mov_b64 s[12:13], 0
	s_waitcnt lgkmcnt(0)
	s_barrier
                                        ; implicit-def: $sgpr8_sgpr9
                                        ; implicit-def: $vgpr56
	s_and_saveexec_b64 s[10:11], vcc
	s_cbranch_execz .LBB56_92
; %bb.65:
	ds_read_b32 v9, v55
	v_cmp_ne_u32_e32 vcc, v72, v67
	v_add_u32_e32 v1, 1, v71
	v_cndmask_b32_e64 v10, 0, 1, vcc
	v_cmp_gt_u32_e32 vcc, s7, v1
	v_mov_b32_e32 v1, 0
	v_mov_b32_e32 v3, 0
	;; [unrolled: 1-line block ×48, first 2 shown]
	s_mov_b64 s[14:15], 0
                                        ; implicit-def: $sgpr8_sgpr9
                                        ; implicit-def: $vgpr56
	s_and_saveexec_b64 s[12:13], vcc
	s_cbranch_execz .LBB56_91
; %bb.66:
	ds_read2_b32 v[1:2], v55 offset0:1 offset1:2
	v_cmp_ne_u32_e32 vcc, v67, v68
	v_add_u32_e32 v3, 2, v71
	v_cndmask_b32_e64 v33, 0, 1, vcc
	v_cmp_gt_u32_e32 vcc, s7, v3
	v_mov_b32_e32 v3, 0
	v_mov_b32_e32 v5, 0
	;; [unrolled: 1-line block ×44, first 2 shown]
	s_mov_b64 s[16:17], 0
                                        ; implicit-def: $sgpr8_sgpr9
                                        ; implicit-def: $vgpr56
	s_and_saveexec_b64 s[14:15], vcc
	s_cbranch_execz .LBB56_90
; %bb.67:
	v_cmp_ne_u32_e32 vcc, v68, v65
	v_add_u32_e32 v3, 3, v71
	v_mov_b32_e32 v5, 0
	v_mov_b32_e32 v7, 0
	;; [unrolled: 1-line block ×20, first 2 shown]
	v_cndmask_b32_e64 v4, 0, 1, vcc
	v_cmp_gt_u32_e32 vcc, s7, v3
	v_mov_b32_e32 v6, 0
	v_mov_b32_e32 v8, 0
	;; [unrolled: 1-line block ×20, first 2 shown]
	s_mov_b64 s[18:19], 0
                                        ; implicit-def: $sgpr8_sgpr9
                                        ; implicit-def: $vgpr56
	s_and_saveexec_b64 s[16:17], vcc
	s_cbranch_execz .LBB56_89
; %bb.68:
	ds_read2_b32 v[5:6], v55 offset0:3 offset1:4
	v_cmp_ne_u32_e32 vcc, v65, v66
	v_add_u32_e32 v7, 4, v71
	v_cndmask_b32_e64 v3, 0, 1, vcc
	v_cmp_gt_u32_e32 vcc, s7, v7
	v_mov_b32_e32 v7, 0
	v_mov_b32_e32 v39, 0
	;; [unrolled: 1-line block ×36, first 2 shown]
	s_mov_b64 s[20:21], 0
                                        ; implicit-def: $sgpr8_sgpr9
                                        ; implicit-def: $vgpr56
	s_and_saveexec_b64 s[18:19], vcc
	s_cbranch_execz .LBB56_88
; %bb.69:
	v_cmp_ne_u32_e32 vcc, v66, v63
	v_add_u32_e32 v7, 5, v71
	v_mov_b32_e32 v39, 0
	v_mov_b32_e32 v41, 0
	;; [unrolled: 1-line block ×16, first 2 shown]
	v_cndmask_b32_e64 v8, 0, 1, vcc
	v_cmp_gt_u32_e32 vcc, s7, v7
	v_mov_b32_e32 v40, 0
	v_mov_b32_e32 v42, 0
	;; [unrolled: 1-line block ×16, first 2 shown]
	s_mov_b64 s[22:23], 0
                                        ; implicit-def: $sgpr8_sgpr9
                                        ; implicit-def: $vgpr56
	s_and_saveexec_b64 s[20:21], vcc
	s_cbranch_execz .LBB56_87
; %bb.70:
	ds_read2_b32 v[39:40], v55 offset0:5 offset1:6
	v_cmp_ne_u32_e32 vcc, v63, v64
	v_add_u32_e32 v11, 6, v71
	v_cndmask_b32_e64 v7, 0, 1, vcc
	v_cmp_gt_u32_e32 vcc, s7, v11
	v_mov_b32_e32 v41, 0
	v_mov_b32_e32 v43, 0
	;; [unrolled: 1-line block ×28, first 2 shown]
	s_mov_b64 s[24:25], 0
                                        ; implicit-def: $sgpr8_sgpr9
                                        ; implicit-def: $vgpr56
	s_and_saveexec_b64 s[22:23], vcc
	s_cbranch_execz .LBB56_86
; %bb.71:
	v_cmp_ne_u32_e32 vcc, v64, v61
	v_add_u32_e32 v11, 7, v71
	v_cndmask_b32_e64 v42, 0, 1, vcc
	v_cmp_gt_u32_e32 vcc, s7, v11
	v_mov_b32_e32 v43, 0
	v_mov_b32_e32 v45, 0
	;; [unrolled: 1-line block ×24, first 2 shown]
	s_mov_b64 s[26:27], 0
                                        ; implicit-def: $sgpr8_sgpr9
                                        ; implicit-def: $vgpr56
	s_and_saveexec_b64 s[24:25], vcc
	s_cbranch_execz .LBB56_85
; %bb.72:
	ds_read2_b32 v[43:44], v55 offset0:7 offset1:8
	v_cmp_ne_u32_e32 vcc, v61, v62
	v_add_u32_e32 v11, 8, v71
	v_cndmask_b32_e64 v21, 0, 1, vcc
	v_cmp_gt_u32_e32 vcc, s7, v11
	v_mov_b32_e32 v45, 0
	v_mov_b32_e32 v47, 0
	;; [unrolled: 1-line block ×20, first 2 shown]
	s_mov_b64 s[28:29], 0
                                        ; implicit-def: $sgpr8_sgpr9
                                        ; implicit-def: $vgpr56
	s_and_saveexec_b64 s[26:27], vcc
	s_cbranch_execz .LBB56_84
; %bb.73:
	v_cmp_ne_u32_e32 vcc, v62, v59
	v_add_u32_e32 v11, 9, v71
	v_cndmask_b32_e64 v46, 0, 1, vcc
	v_cmp_gt_u32_e32 vcc, s7, v11
	v_mov_b32_e32 v47, 0
	v_mov_b32_e32 v49, 0
	;; [unrolled: 1-line block ×16, first 2 shown]
	s_mov_b64 s[30:31], 0
                                        ; implicit-def: $sgpr8_sgpr9
                                        ; implicit-def: $vgpr56
	s_and_saveexec_b64 s[28:29], vcc
	s_cbranch_execz .LBB56_83
; %bb.74:
	ds_read2_b32 v[47:48], v55 offset0:9 offset1:10
	v_cmp_ne_u32_e32 vcc, v59, v60
	v_add_u32_e32 v11, 10, v71
	v_cndmask_b32_e64 v17, 0, 1, vcc
	v_cmp_gt_u32_e32 vcc, s7, v11
	v_mov_b32_e32 v49, 0
	v_mov_b32_e32 v51, 0
	;; [unrolled: 1-line block ×12, first 2 shown]
	s_mov_b64 s[34:35], 0
                                        ; implicit-def: $sgpr8_sgpr9
                                        ; implicit-def: $vgpr56
	s_and_saveexec_b64 s[30:31], vcc
	s_cbranch_execz .LBB56_82
; %bb.75:
	v_cmp_ne_u32_e32 vcc, v60, v57
	v_add_u32_e32 v11, 11, v71
	v_cndmask_b32_e64 v50, 0, 1, vcc
	v_cmp_gt_u32_e32 vcc, s7, v11
	v_mov_b32_e32 v51, 0
	v_mov_b32_e32 v53, 0
	v_mov_b32_e32 v13, 0
	v_mov_b32_e32 v11, 0
	v_mov_b32_e32 v52, 0
	v_mov_b32_e32 v54, 0
	v_mov_b32_e32 v14, 0
	v_mov_b32_e32 v12, 0
	s_mov_b64 s[36:37], 0
                                        ; implicit-def: $sgpr8_sgpr9
                                        ; implicit-def: $vgpr56
	s_and_saveexec_b64 s[34:35], vcc
	s_cbranch_execz .LBB56_81
; %bb.76:
	ds_read2_b32 v[51:52], v55 offset0:11 offset1:12
	v_cmp_ne_u32_e32 vcc, v57, v58
	v_add_u32_e32 v11, 12, v71
	v_cndmask_b32_e64 v13, 0, 1, vcc
	v_cmp_gt_u32_e32 vcc, s7, v11
	v_mov_b32_e32 v53, 0
	v_mov_b32_e32 v11, 0
	;; [unrolled: 1-line block ×4, first 2 shown]
	s_mov_b64 s[42:43], 0
                                        ; implicit-def: $sgpr8_sgpr9
                                        ; implicit-def: $vgpr56
	s_and_saveexec_b64 s[36:37], vcc
	s_cbranch_execz .LBB56_80
; %bb.77:
	v_cmp_ne_u32_e32 vcc, v58, v37
	v_add_u32_e32 v11, 13, v71
	v_cndmask_b32_e64 v54, 0, 1, vcc
	v_cmp_gt_u32_e32 vcc, s7, v11
	v_mov_b32_e32 v11, 0
	v_mov_b32_e32 v12, 0
                                        ; implicit-def: $sgpr8_sgpr9
                                        ; implicit-def: $vgpr56
	s_and_saveexec_b64 s[44:45], vcc
	s_xor_b64 s[44:45], exec, s[44:45]
	s_cbranch_execz .LBB56_79
; %bb.78:
	ds_read2_b32 v[55:56], v55 offset0:13 offset1:14
	v_cmp_ne_u32_e32 vcc, v37, v38
	v_add_u32_e32 v14, 14, v71
	v_cndmask_b32_e64 v12, 0, 1, vcc
	v_cmp_gt_u32_e32 vcc, s7, v14
	v_cmp_ne_u32_e64 s[8:9], v38, v70
	s_waitcnt lgkmcnt(0)
	v_mov_b32_e32 v11, v55
	s_and_b64 s[42:43], vcc, exec
.LBB56_79:
	s_or_b64 exec, exec, s[44:45]
	s_waitcnt lgkmcnt(0)
	v_mov_b32_e32 v53, v52
	s_and_b64 s[42:43], s[42:43], exec
.LBB56_80:
	s_or_b64 exec, exec, s[36:37]
	s_waitcnt lgkmcnt(0)
	v_mov_b32_e32 v52, v13
	v_mov_b32_e32 v13, v53
	s_and_b64 s[36:37], s[42:43], exec
	v_mov_b32_e32 v14, v54
.LBB56_81:
	s_or_b64 exec, exec, s[34:35]
	v_mov_b32_e32 v15, v51
	s_waitcnt lgkmcnt(0)
	v_mov_b32_e32 v49, v48
	s_and_b64 s[34:35], s[36:37], exec
	v_mov_b32_e32 v16, v52
.LBB56_82:
	s_or_b64 exec, exec, s[30:31]
	s_waitcnt lgkmcnt(0)
	v_mov_b32_e32 v48, v17
	v_mov_b32_e32 v17, v49
	s_and_b64 s[30:31], s[34:35], exec
	v_mov_b32_e32 v18, v50
.LBB56_83:
	s_or_b64 exec, exec, s[28:29]
	v_mov_b32_e32 v19, v47
	s_waitcnt lgkmcnt(0)
	v_mov_b32_e32 v45, v44
	s_and_b64 s[28:29], s[30:31], exec
	v_mov_b32_e32 v20, v48
.LBB56_84:
	s_or_b64 exec, exec, s[26:27]
	s_waitcnt lgkmcnt(0)
	v_mov_b32_e32 v44, v21
	v_mov_b32_e32 v21, v45
	s_and_b64 s[26:27], s[28:29], exec
	v_mov_b32_e32 v22, v46
.LBB56_85:
	s_or_b64 exec, exec, s[24:25]
	v_mov_b32_e32 v23, v43
	s_waitcnt lgkmcnt(0)
	v_mov_b32_e32 v41, v40
	s_and_b64 s[24:25], s[26:27], exec
	v_mov_b32_e32 v24, v44
.LBB56_86:
	s_or_b64 exec, exec, s[22:23]
	v_mov_b32_e32 v25, v41
	s_waitcnt lgkmcnt(0)
	v_mov_b32_e32 v40, v7
	s_and_b64 s[22:23], s[24:25], exec
	v_mov_b32_e32 v26, v42
.LBB56_87:
	s_or_b64 exec, exec, s[20:21]
	v_mov_b32_e32 v27, v39
	s_waitcnt lgkmcnt(0)
	v_mov_b32_e32 v7, v6
	s_and_b64 s[20:21], s[22:23], exec
	v_mov_b32_e32 v28, v40
.LBB56_88:
	s_or_b64 exec, exec, s[18:19]
	v_mov_b32_e32 v30, v8
	s_waitcnt lgkmcnt(0)
	v_mov_b32_e32 v6, v3
	s_and_b64 s[18:19], s[20:21], exec
	v_mov_b32_e32 v29, v7
.LBB56_89:
	s_or_b64 exec, exec, s[16:17]
	v_mov_b32_e32 v32, v6
	s_waitcnt lgkmcnt(0)
	v_mov_b32_e32 v3, v2
	s_and_b64 s[16:17], s[18:19], exec
	v_mov_b32_e32 v31, v5
.LBB56_90:
	s_or_b64 exec, exec, s[14:15]
	s_waitcnt lgkmcnt(0)
	v_mov_b32_e32 v2, v33
	v_mov_b32_e32 v34, v4
	s_and_b64 s[14:15], s[16:17], exec
	v_mov_b32_e32 v33, v3
.LBB56_91:
	s_or_b64 exec, exec, s[12:13]
	v_mov_b32_e32 v36, v2
	s_and_b64 s[12:13], s[14:15], exec
	v_mov_b32_e32 v35, v1
.LBB56_92:
	s_or_b64 exec, exec, s[10:11]
	s_and_b64 vcc, exec, s[2:3]
	v_cmp_ne_u32_e64 s[2:3], 0, v0
	s_cbranch_vccz .LBB56_96
.LBB56_93:
	v_mov_b32_e32 v1, s41
	v_add_co_u32_e32 v5, vcc, s40, v69
	v_addc_co_u32_e32 v6, vcc, 0, v1, vcc
	v_add_co_u32_e32 v1, vcc, 0x1000, v5
	v_addc_co_u32_e32 v2, vcc, 0, v6, vcc
	;; [unrolled: 2-line block ×3, first 2 shown]
	global_load_dword v7, v69, s[40:41]
	global_load_dword v8, v69, s[40:41] offset:1024
	s_waitcnt lgkmcnt(0)
	global_load_dword v9, v69, s[40:41] offset:2048
	global_load_dword v10, v69, s[40:41] offset:3072
	global_load_dword v11, v[1:2], off
	global_load_dword v12, v[1:2], off offset:1024
	global_load_dword v13, v[1:2], off offset:2048
	;; [unrolled: 1-line block ×3, first 2 shown]
	global_load_dword v15, v[3:4], off
	global_load_dword v16, v[3:4], off offset:1024
	global_load_dword v17, v[3:4], off offset:2048
	;; [unrolled: 1-line block ×3, first 2 shown]
	v_add_co_u32_e32 v1, vcc, 0x3000, v5
	v_addc_co_u32_e32 v2, vcc, 0, v6, vcc
	global_load_dword v3, v[1:2], off
	global_load_dword v4, v[1:2], off offset:1024
	global_load_dword v5, v[1:2], off offset:2048
	s_sub_u32 s8, 0, s6
	s_subb_u32 s9, 0, 0
	s_cmp_eq_u64 s[52:53], s[8:9]
	s_cselect_b32 s8, 0, -4
	s_cselect_b32 s9, 0, -1
	s_add_u32 s8, s40, s8
	v_mad_u32_u24 v1, v0, 56, v69
	s_addc_u32 s9, s41, s9
	s_movk_i32 s12, 0xffc8
	s_movk_i32 s11, 0x1000
	s_movk_i32 s10, 0x2000
	s_movk_i32 s7, 0x3000
	v_mad_i32_i24 v21, v0, s12, v1
	s_waitcnt vmcnt(13)
	ds_write2st64_b32 v69, v7, v8 offset1:4
	s_waitcnt vmcnt(11)
	ds_write2st64_b32 v69, v9, v10 offset0:8 offset1:12
	s_waitcnt vmcnt(9)
	ds_write2st64_b32 v69, v11, v12 offset0:16 offset1:20
	;; [unrolled: 2-line block ×6, first 2 shown]
	s_waitcnt vmcnt(0)
	ds_write_b32 v69, v5 offset:14336
	s_waitcnt lgkmcnt(0)
	s_barrier
	ds_read2_b32 v[15:16], v1 offset0:8 offset1:9
	ds_read2_b32 v[13:14], v1 offset0:10 offset1:11
	;; [unrolled: 1-line block ×3, first 2 shown]
	ds_read_b32 v4, v1 offset:56
	ds_read2_b32 v[2:3], v1 offset1:1
	ds_read2_b32 v[6:7], v1 offset0:2 offset1:3
	ds_read2_b32 v[19:20], v1 offset0:4 offset1:5
	;; [unrolled: 1-line block ×3, first 2 shown]
	s_load_dword s8, s[8:9], 0x0
	s_waitcnt lgkmcnt(0)
	ds_write_b32 v21, v4 offset:15360
	s_waitcnt lgkmcnt(0)
	s_barrier
	v_mov_b32_e32 v5, s8
	s_and_saveexec_b64 s[8:9], s[2:3]
; %bb.94:
	v_mul_i32_i24_e32 v5, 0xffffffc8, v0
	v_add_u32_e32 v5, v1, v5
	ds_read_b32 v5, v5 offset:15356
; %bb.95:
	s_or_b64 exec, exec, s[8:9]
	v_mov_b32_e32 v8, s39
	v_add_co_u32_e32 v10, vcc, s38, v69
	v_addc_co_u32_e32 v24, vcc, 0, v8, vcc
	v_add_co_u32_e32 v8, vcc, s11, v10
	v_addc_co_u32_e32 v9, vcc, 0, v24, vcc
	;; [unrolled: 2-line block ×3, first 2 shown]
	v_add_co_u32_e32 v23, vcc, s7, v10
	s_waitcnt lgkmcnt(0)
	s_barrier
	global_load_dword v25, v69, s[38:39]
	global_load_dword v26, v69, s[38:39] offset:1024
	global_load_dword v27, v69, s[38:39] offset:2048
	;; [unrolled: 1-line block ×3, first 2 shown]
	global_load_dword v29, v[21:22], off offset:1024
	global_load_dword v30, v[21:22], off offset:2048
	;; [unrolled: 1-line block ×3, first 2 shown]
	v_addc_co_u32_e32 v24, vcc, 0, v24, vcc
	global_load_dword v32, v[21:22], off offset:-4096
	global_load_dword v33, v[8:9], off offset:1024
	global_load_dword v34, v[8:9], off offset:2048
	;; [unrolled: 1-line block ×3, first 2 shown]
	global_load_dword v36, v[21:22], off
	global_load_dword v37, v[23:24], off
	global_load_dword v38, v[23:24], off offset:1024
	global_load_dword v39, v[23:24], off offset:2048
	v_cmp_ne_u32_e32 vcc, v5, v2
	v_cndmask_b32_e64 v10, 0, 1, vcc
	v_cmp_ne_u32_e32 vcc, v2, v3
	v_cndmask_b32_e64 v2, 0, 1, vcc
	v_cmp_ne_u32_e32 vcc, v3, v6
	v_cmp_ne_u32_e64 s[8:9], v12, v4
	v_cndmask_b32_e64 v4, 0, 1, vcc
	v_cmp_ne_u32_e32 vcc, v6, v7
	v_cndmask_b32_e64 v6, 0, 1, vcc
	v_cmp_ne_u32_e32 vcc, v7, v19
	;; [unrolled: 2-line block ×11, first 2 shown]
	v_cndmask_b32_e64 v12, 0, 1, vcc
	s_mov_b64 s[12:13], -1
	s_waitcnt vmcnt(13)
	ds_write2st64_b32 v69, v25, v26 offset1:4
	s_waitcnt vmcnt(11)
	ds_write2st64_b32 v69, v27, v28 offset0:8 offset1:12
	s_waitcnt vmcnt(6)
	ds_write2st64_b32 v69, v32, v33 offset0:16 offset1:20
	;; [unrolled: 2-line block ×4, first 2 shown]
	ds_write2st64_b32 v69, v30, v31 offset0:40 offset1:44
	s_waitcnt vmcnt(1)
	ds_write2st64_b32 v69, v37, v38 offset0:48 offset1:52
	s_waitcnt vmcnt(0)
	ds_write_b32 v69, v39 offset:14336
	s_waitcnt lgkmcnt(0)
	s_barrier
	ds_read2_b32 v[15:16], v1 offset1:1
	ds_read2_b32 v[17:18], v1 offset0:2 offset1:3
	ds_read2_b32 v[19:20], v1 offset0:4 offset1:5
	;; [unrolled: 1-line block ×6, first 2 shown]
	ds_read_b32 v56, v1 offset:56
	s_waitcnt lgkmcnt(5)
	v_mov_b32_e32 v39, v20
	s_waitcnt lgkmcnt(4)
	v_mov_b32_e32 v41, v21
	v_mov_b32_e32 v43, v22
	s_waitcnt lgkmcnt(3)
	v_mov_b32_e32 v45, v23
	;; [unrolled: 3-line block ×4, first 2 shown]
	v_mov_b32_e32 v9, v15
	v_mov_b32_e32 v1, v16
	;; [unrolled: 1-line block ×30, first 2 shown]
.LBB56_96:
	v_mov_b32_e32 v37, 0
	v_mov_b32_e32 v38, 0
	s_and_saveexec_b64 s[2:3], s[12:13]
	s_cbranch_execz .LBB56_98
; %bb.97:
	v_mov_b32_e32 v13, v53
	v_mov_b32_e32 v15, v51
	;; [unrolled: 1-line block ×12, first 2 shown]
	v_cndmask_b32_e64 v38, 0, 1, s[8:9]
	s_waitcnt lgkmcnt(0)
	v_mov_b32_e32 v37, v56
	v_mov_b32_e32 v14, v54
	;; [unrolled: 1-line block ×13, first 2 shown]
.LBB56_98:
	s_or_b64 exec, exec, s[2:3]
	s_mov_b32 s30, 0
	s_cmp_lg_u32 s6, 0
	v_or_b32_e32 v55, v24, v22
	v_or3_b32 v54, v12, v38, v14
	v_lshrrev_b32_e32 v53, 2, v0
	v_cmp_gt_u32_e32 vcc, 64, v0
	s_waitcnt lgkmcnt(0)
	s_barrier
	s_cbranch_scc0 .LBB56_128
; %bb.99:
	s_mov_b32 s31, 1
	v_cmp_gt_u64_e64 s[2:3], s[30:31], v[35:36]
	v_cmp_gt_u64_e64 s[42:43], s[30:31], v[33:34]
	v_cndmask_b32_e64 v1, 0, v9, s[2:3]
	v_add_u32_e32 v1, v1, v35
	v_cndmask_b32_e64 v1, 0, v1, s[42:43]
	v_cmp_gt_u64_e64 s[8:9], s[30:31], v[31:32]
	v_add_u32_e32 v1, v1, v33
	v_cndmask_b32_e64 v1, 0, v1, s[8:9]
	v_cmp_gt_u64_e64 s[10:11], s[30:31], v[29:30]
	;; [unrolled: 3-line block ×12, first 2 shown]
	v_or3_b32 v2, v55, v26, v28
	v_add_u32_e32 v1, v1, v11
	v_or3_b32 v2, v2, v30, v32
	v_cndmask_b32_e64 v1, 0, v1, s[30:31]
	v_or3_b32 v2, v2, v34, v36
	v_add_u32_e32 v43, v1, v37
	v_or3_b32 v1, v54, v16, v18
	v_or3_b32 v1, v1, v20, v2
	v_and_b32_e32 v2, 0xff, v1
	v_mov_b32_e32 v1, 0
	v_cmp_eq_u64_e64 s[34:35], 0, v[1:2]
	v_and_b32_e32 v1, 56, v53
	v_cndmask_b32_e64 v44, 1, v10, s[34:35]
	v_lshl_add_u32 v1, v0, 3, v1
	ds_write_b32 v1, v43
	ds_write_b8 v1, v44 offset:4
	s_waitcnt lgkmcnt(0)
	s_barrier
	s_and_saveexec_b64 s[52:53], vcc
	s_cbranch_execz .LBB56_111
; %bb.100:
	v_and_b32_e32 v1, 0xf8, v0
	v_lshlrev_b32_e32 v2, 5, v0
	v_add_u32_e32 v5, v1, v2
	ds_read2_b32 v[1:2], v5 offset0:2 offset1:4
	ds_read_b64 v[3:4], v5
	ds_read_u8 v42, v5 offset:12
	ds_read_u8 v8, v5 offset:20
	ds_read_b32 v6, v5 offset:24
	ds_read_u8 v39, v5 offset:28
	s_waitcnt lgkmcnt(4)
	v_and_b32_e32 v7, 1, v4
	s_waitcnt lgkmcnt(3)
	v_cmp_eq_u16_e64 s[38:39], 0, v42
	s_waitcnt lgkmcnt(2)
	v_or_b32_e32 v41, v8, v42
	v_cndmask_b32_e64 v40, 0, v3, s[38:39]
	v_cmp_eq_u16_e64 s[36:37], 0, v41
	v_add_u32_e32 v40, v40, v1
	v_cmp_eq_u16_e64 s[34:35], 0, v8
	v_cndmask_b32_e64 v41, 1, v7, s[36:37]
	s_waitcnt lgkmcnt(0)
	v_cmp_eq_u16_e64 s[36:37], 0, v39
	v_and_b32_e32 v39, 1, v39
	v_cndmask_b32_e64 v40, 0, v40, s[34:35]
	v_cmp_eq_u32_e64 s[40:41], 1, v39
	v_add_u32_e32 v40, v40, v2
	v_cndmask_b32_e64 v45, v41, 1, s[40:41]
	v_mbcnt_lo_u32_b32 v41, -1, 0
	v_cndmask_b32_e64 v40, 0, v40, s[36:37]
	v_and_b32_e32 v39, 0xffffff00, v4
	v_mbcnt_hi_u32_b32 v41, -1, v41
	v_add_u32_e32 v40, v40, v6
	v_and_b32_e32 v48, 15, v41
	v_or_b32_sdwa v46, v39, v45 dst_sel:DWORD dst_unused:UNUSED_PAD src0_sel:DWORD src1_sel:WORD_0
	v_mov_b32_dpp v47, v40 row_shr:1 row_mask:0xf bank_mask:0xf
	v_cmp_ne_u32_e64 s[44:45], 0, v48
	v_mov_b32_dpp v49, v46 row_shr:1 row_mask:0xf bank_mask:0xf
	s_and_saveexec_b64 s[54:55], s[44:45]
; %bb.101:
	v_and_b32_e32 v46, 1, v45
	v_and_b32_e32 v49, 1, v49
	v_cmp_eq_u32_e64 s[44:45], 1, v46
	v_cndmask_b32_e64 v49, v49, 1, s[44:45]
	v_cmp_eq_u16_e64 s[44:45], 0, v45
	v_cndmask_b32_e64 v45, 0, v47, s[44:45]
	v_add_u32_e32 v40, v45, v40
	v_or_b32_sdwa v46, v39, v49 dst_sel:DWORD dst_unused:UNUSED_PAD src0_sel:DWORD src1_sel:WORD_0
	v_mov_b32_e32 v45, v49
; %bb.102:
	s_or_b64 exec, exec, s[54:55]
	v_mov_b32_dpp v49, v40 row_shr:2 row_mask:0xf bank_mask:0xf
	v_mov_b32_dpp v50, v46 row_shr:2 row_mask:0xf bank_mask:0xf
	v_cmp_lt_u32_e64 s[44:45], 1, v48
	v_mov_b32_e32 v47, v46
	s_and_saveexec_b64 s[54:55], s[44:45]
	s_cbranch_execz .LBB56_104
; %bb.103:
	v_and_b32_e32 v45, 1, v46
	v_and_b32_e32 v47, 1, v50
	v_cmp_eq_u32_e64 s[44:45], 1, v45
	v_cndmask_b32_e64 v45, v47, 1, s[44:45]
	v_mov_b32_e32 v47, 0
	v_cmp_eq_u16_sdwa s[44:45], v46, v47 src0_sel:BYTE_0 src1_sel:DWORD
	v_cndmask_b32_e64 v46, 0, v49, s[44:45]
	v_add_u32_e32 v40, v46, v40
	v_or_b32_sdwa v46, v39, v45 dst_sel:DWORD dst_unused:UNUSED_PAD src0_sel:DWORD src1_sel:WORD_0
	v_mov_b32_e32 v47, v45
.LBB56_104:
	s_or_b64 exec, exec, s[54:55]
	v_mov_b32_dpp v49, v40 row_shr:4 row_mask:0xf bank_mask:0xf
	v_mov_b32_dpp v50, v46 row_shr:4 row_mask:0xf bank_mask:0xf
	v_cmp_lt_u32_e64 s[44:45], 3, v48
	s_and_saveexec_b64 s[54:55], s[44:45]
	s_cbranch_execz .LBB56_106
; %bb.105:
	v_and_b32_e32 v45, 1, v47
	v_and_b32_e32 v46, 1, v50
	v_cmp_eq_u32_e64 s[44:45], 1, v45
	v_cndmask_b32_e64 v45, v46, 1, s[44:45]
	v_mov_b32_e32 v46, 0
	v_cmp_eq_u16_sdwa s[44:45], v47, v46 src0_sel:BYTE_0 src1_sel:DWORD
	v_cndmask_b32_e64 v46, 0, v49, s[44:45]
	v_add_u32_e32 v40, v46, v40
	v_or_b32_sdwa v46, v39, v45 dst_sel:DWORD dst_unused:UNUSED_PAD src0_sel:DWORD src1_sel:WORD_0
	v_mov_b32_e32 v47, v45
.LBB56_106:
	s_or_b64 exec, exec, s[54:55]
	v_mov_b32_dpp v49, v40 row_shr:8 row_mask:0xf bank_mask:0xf
	v_mov_b32_dpp v50, v46 row_shr:8 row_mask:0xf bank_mask:0xf
	v_cmp_lt_u32_e64 s[44:45], 7, v48
	s_and_saveexec_b64 s[54:55], s[44:45]
	s_cbranch_execz .LBB56_108
; %bb.107:
	v_and_b32_e32 v45, 1, v47
	v_and_b32_e32 v46, 1, v50
	v_cmp_eq_u32_e64 s[44:45], 1, v45
	v_cndmask_b32_e64 v45, v46, 1, s[44:45]
	v_mov_b32_e32 v46, 0
	v_cmp_eq_u16_sdwa s[44:45], v47, v46 src0_sel:BYTE_0 src1_sel:DWORD
	v_cndmask_b32_e64 v46, 0, v49, s[44:45]
	v_add_u32_e32 v40, v46, v40
	v_or_b32_sdwa v46, v39, v45 dst_sel:DWORD dst_unused:UNUSED_PAD src0_sel:DWORD src1_sel:WORD_0
	v_mov_b32_e32 v47, v45
.LBB56_108:
	s_or_b64 exec, exec, s[54:55]
	v_and_b32_e32 v50, 16, v41
	v_mov_b32_dpp v48, v40 row_bcast:15 row_mask:0xf bank_mask:0xf
	v_mov_b32_dpp v49, v46 row_bcast:15 row_mask:0xf bank_mask:0xf
	v_cmp_ne_u32_e64 s[44:45], 0, v50
	s_and_saveexec_b64 s[54:55], s[44:45]
	s_cbranch_execz .LBB56_110
; %bb.109:
	v_and_b32_e32 v45, 1, v47
	v_and_b32_e32 v46, 1, v49
	v_cmp_eq_u32_e64 s[44:45], 1, v45
	v_cndmask_b32_e64 v45, v46, 1, s[44:45]
	v_mov_b32_e32 v46, 0
	v_cmp_eq_u16_sdwa s[44:45], v47, v46 src0_sel:BYTE_0 src1_sel:DWORD
	v_cndmask_b32_e64 v46, 0, v48, s[44:45]
	v_add_u32_e32 v40, v46, v40
	v_or_b32_sdwa v46, v39, v45 dst_sel:DWORD dst_unused:UNUSED_PAD src0_sel:DWORD src1_sel:WORD_0
	v_mov_b32_e32 v47, v45
.LBB56_110:
	s_or_b64 exec, exec, s[54:55]
	v_mov_b32_dpp v46, v46 row_bcast:31 row_mask:0xf bank_mask:0xf
	v_and_b32_e32 v49, 1, v47
	v_and_b32_e32 v46, 1, v46
	v_cmp_eq_u32_e64 s[44:45], 1, v49
	v_mov_b32_e32 v49, 0
	v_cndmask_b32_e64 v46, v46, 1, s[44:45]
	v_cmp_eq_u16_sdwa s[54:55], v47, v49 src0_sel:BYTE_0 src1_sel:DWORD
	v_cmp_lt_u32_e64 s[44:45], 31, v41
	v_mov_b32_dpp v48, v40 row_bcast:31 row_mask:0xf bank_mask:0xf
	v_cndmask_b32_e64 v45, v45, v46, s[44:45]
	s_and_b64 s[44:45], s[44:45], s[54:55]
	v_cndmask_b32_e64 v46, 0, v48, s[44:45]
	v_add_u32_e32 v40, v46, v40
	v_add_u32_e32 v46, -1, v41
	v_and_b32_e32 v47, 64, v41
	v_cmp_lt_i32_e64 s[44:45], v46, v47
	v_cndmask_b32_e64 v41, v46, v41, s[44:45]
	v_lshlrev_b32_e32 v41, 2, v41
	ds_bpermute_b32 v40, v41, v40
	v_or_b32_sdwa v39, v39, v45 dst_sel:DWORD dst_unused:UNUSED_PAD src0_sel:DWORD src1_sel:WORD_0
	ds_bpermute_b32 v39, v41, v39
	v_cmp_eq_u16_sdwa s[44:45], v4, v49 src0_sel:BYTE_0 src1_sel:DWORD
	v_and_b32_e32 v42, 1, v42
	s_waitcnt lgkmcnt(1)
	v_cndmask_b32_e64 v4, 0, v40, s[44:45]
	v_add_u32_e32 v3, v4, v3
	s_waitcnt lgkmcnt(0)
	v_and_b32_e32 v4, 1, v39
	v_cmp_eq_u32_e64 s[44:45], 1, v7
	v_cndmask_b32_e64 v4, v4, 1, s[44:45]
	v_cmp_eq_u32_e64 s[44:45], 0, v0
	v_cndmask_b32_e64 v3, v3, v43, s[44:45]
	v_cndmask_b32_e64 v7, 0, v3, s[38:39]
	;; [unrolled: 1-line block ×3, first 2 shown]
	v_add_u32_e32 v1, v7, v1
	v_cmp_eq_u32_e64 s[38:39], 1, v42
	ds_write_b8 v5, v4 offset:4
	v_cndmask_b32_e64 v4, v4, 1, s[38:39]
	ds_write2_b32 v5, v3, v1 offset1:2
	ds_write_b8 v5, v4 offset:12
	v_cndmask_b32_e64 v1, 0, v1, s[34:35]
	v_and_b32_e32 v8, 1, v8
	v_add_u32_e32 v1, v1, v2
	v_cmp_eq_u32_e64 s[34:35], 1, v8
	v_cndmask_b32_e64 v3, 0, v1, s[36:37]
	v_cndmask_b32_e64 v2, v4, 1, s[34:35]
	v_add_u32_e32 v3, v3, v6
	ds_write_b8 v5, v2 offset:20
	v_cndmask_b32_e64 v2, v2, 1, s[40:41]
	ds_write2_b32 v5, v1, v3 offset0:4 offset1:6
	ds_write_b8 v5, v2 offset:28
.LBB56_111:
	s_or_b64 exec, exec, s[52:53]
	v_cmp_eq_u32_e64 s[34:35], 0, v0
	v_cmp_ne_u32_e64 s[36:37], 0, v0
	s_waitcnt lgkmcnt(0)
	s_barrier
	s_and_saveexec_b64 s[38:39], s[36:37]
	s_cbranch_execz .LBB56_113
; %bb.112:
	v_add_u32_e32 v1, -1, v0
	v_lshrrev_b32_e32 v2, 2, v1
	v_and_b32_e32 v2, 0x3ffffff8, v2
	v_lshl_add_u32 v1, v1, 3, v2
	ds_read_b32 v43, v1
	ds_read_u8 v44, v1 offset:4
.LBB56_113:
	s_or_b64 exec, exec, s[38:39]
	s_and_saveexec_b64 s[38:39], vcc
	s_cbranch_execz .LBB56_133
; %bb.114:
	v_mov_b32_e32 v4, 0
	ds_read_b64 v[1:2], v4 offset:2096
	v_mbcnt_lo_u32_b32 v3, -1, 0
	v_mbcnt_hi_u32_b32 v42, -1, v3
	s_mov_b32 s45, 0
	v_cmp_eq_u32_e64 s[36:37], 0, v42
	s_and_saveexec_b64 s[40:41], s[36:37]
	s_cbranch_execz .LBB56_116
; %bb.115:
	s_add_i32 s44, s6, 64
	s_lshl_b64 s[44:45], s[44:45], 4
	s_add_u32 s44, s48, s44
	s_addc_u32 s45, s49, s45
	v_mov_b32_e32 v5, s44
	v_mov_b32_e32 v3, 1
	;; [unrolled: 1-line block ×3, first 2 shown]
	s_waitcnt lgkmcnt(0)
	;;#ASMSTART
	global_store_dwordx4 v[5:6], v[1:4] off	
s_waitcnt vmcnt(0)
	;;#ASMEND
.LBB56_116:
	s_or_b64 exec, exec, s[40:41]
	v_xad_u32 v39, v42, -1, s6
	v_add_u32_e32 v3, 64, v39
	v_lshlrev_b64 v[5:6], 4, v[3:4]
	v_mov_b32_e32 v3, s49
	v_add_co_u32_e32 v40, vcc, s48, v5
	v_addc_co_u32_e32 v41, vcc, v3, v6, vcc
	;;#ASMSTART
	global_load_dwordx4 v[5:8], v[40:41] off glc	
s_waitcnt vmcnt(0)
	;;#ASMEND
	v_cmp_eq_u16_sdwa s[44:45], v7, v4 src0_sel:BYTE_0 src1_sel:DWORD
	s_and_saveexec_b64 s[40:41], s[44:45]
	s_cbranch_execz .LBB56_120
; %bb.117:
	s_mov_b64 s[44:45], 0
	v_mov_b32_e32 v3, 0
.LBB56_118:                             ; =>This Inner Loop Header: Depth=1
	;;#ASMSTART
	global_load_dwordx4 v[5:8], v[40:41] off glc	
s_waitcnt vmcnt(0)
	;;#ASMEND
	v_cmp_ne_u16_sdwa s[52:53], v7, v3 src0_sel:BYTE_0 src1_sel:DWORD
	s_or_b64 s[44:45], s[52:53], s[44:45]
	s_andn2_b64 exec, exec, s[44:45]
	s_cbranch_execnz .LBB56_118
; %bb.119:
	s_or_b64 exec, exec, s[44:45]
.LBB56_120:
	s_or_b64 exec, exec, s[40:41]
	v_mov_b32_e32 v45, 2
	v_lshlrev_b64 v[3:4], v42, -1
	v_cmp_eq_u16_sdwa s[40:41], v7, v45 src0_sel:BYTE_0 src1_sel:DWORD
	v_and_b32_e32 v8, s41, v4
	v_or_b32_e32 v8, 0x80000000, v8
	v_and_b32_e32 v46, s40, v3
	v_ffbl_b32_e32 v8, v8
	v_and_b32_e32 v57, 63, v42
	v_add_u32_e32 v8, 32, v8
	v_ffbl_b32_e32 v46, v46
	v_cmp_ne_u32_e32 vcc, 63, v57
	v_min_u32_e32 v8, v46, v8
	v_addc_co_u32_e32 v46, vcc, 0, v42, vcc
	v_and_b32_e32 v41, 0xff, v6
	v_lshlrev_b32_e32 v46, 2, v46
	ds_bpermute_b32 v48, v46, v41
	ds_bpermute_b32 v49, v46, v5
	s_mov_b32 s40, 0
	v_and_b32_e32 v6, 1, v6
	v_mov_b32_e32 v40, v5
	s_mov_b32 s41, 1
	s_waitcnt lgkmcnt(1)
	v_and_b32_e32 v48, 1, v48
	v_cmp_eq_u32_e32 vcc, 1, v6
	v_cndmask_b32_e64 v6, v48, 1, vcc
	v_cmp_gt_u64_e32 vcc, s[40:41], v[40:41]
	v_add_u32_e32 v47, 1, v42
	v_and_b32_e32 v48, 0xffff, v6
	s_waitcnt lgkmcnt(0)
	v_cndmask_b32_e32 v40, 0, v49, vcc
	v_cmp_gt_u32_e32 vcc, v47, v8
	v_cndmask_b32_e32 v6, v6, v41, vcc
	v_cndmask_b32_e64 v40, v40, 0, vcc
	v_cndmask_b32_e32 v41, v48, v41, vcc
	v_cmp_gt_u32_e32 vcc, 62, v57
	v_cndmask_b32_e64 v48, 0, 2, vcc
	v_add_lshl_u32 v48, v48, v42, 2
	ds_bpermute_b32 v50, v48, v41
	v_add_u32_e32 v5, v40, v5
	ds_bpermute_b32 v40, v48, v5
	v_and_b32_e32 v51, 1, v6
	v_cmp_eq_u32_e32 vcc, 1, v51
	s_waitcnt lgkmcnt(1)
	v_and_b32_e32 v50, 1, v50
	v_add_u32_e32 v49, 2, v42
	v_cndmask_b32_e64 v50, v50, 1, vcc
	v_cmp_eq_u16_e32 vcc, 0, v6
	v_and_b32_e32 v51, 0xffff, v50
	s_waitcnt lgkmcnt(0)
	v_cndmask_b32_e32 v40, 0, v40, vcc
	v_cmp_gt_u32_e32 vcc, v49, v8
	v_cndmask_b32_e32 v6, v50, v6, vcc
	v_cndmask_b32_e64 v40, v40, 0, vcc
	v_cndmask_b32_e32 v41, v51, v41, vcc
	v_cmp_gt_u32_e32 vcc, 60, v57
	v_cndmask_b32_e64 v50, 0, 4, vcc
	v_add_lshl_u32 v50, v50, v42, 2
	ds_bpermute_b32 v52, v50, v41
	v_add_u32_e32 v5, v40, v5
	ds_bpermute_b32 v40, v50, v5
	v_and_b32_e32 v56, 1, v6
	v_cmp_eq_u32_e32 vcc, 1, v56
	s_waitcnt lgkmcnt(1)
	v_and_b32_e32 v52, 1, v52
	v_add_u32_e32 v51, 4, v42
	v_cndmask_b32_e64 v52, v52, 1, vcc
	v_cmp_eq_u16_e32 vcc, 0, v6
	;; [unrolled: 20-line block ×3, first 2 shown]
	v_and_b32_e32 v59, 0xffff, v58
	s_waitcnt lgkmcnt(0)
	v_cndmask_b32_e32 v40, 0, v40, vcc
	v_cmp_gt_u32_e32 vcc, v56, v8
	v_cndmask_b32_e32 v6, v58, v6, vcc
	v_cndmask_b32_e64 v40, v40, 0, vcc
	v_cndmask_b32_e32 v41, v59, v41, vcc
	v_cmp_gt_u32_e32 vcc, 48, v57
	v_cndmask_b32_e64 v57, 0, 16, vcc
	v_add_lshl_u32 v57, v57, v42, 2
	ds_bpermute_b32 v58, v57, v41
	v_add_u32_e32 v5, v40, v5
	ds_bpermute_b32 v59, v57, v5
	v_and_b32_e32 v40, 1, v6
	v_cmp_eq_u32_e32 vcc, 1, v40
	s_waitcnt lgkmcnt(1)
	v_and_b32_e32 v58, 1, v58
	v_mov_b32_e32 v40, 0
	v_add_u32_e32 v60, 16, v42
	v_cndmask_b32_e64 v58, v58, 1, vcc
	v_cmp_eq_u16_sdwa vcc, v6, v40 src0_sel:BYTE_0 src1_sel:DWORD
	s_waitcnt lgkmcnt(0)
	v_cndmask_b32_e32 v59, 0, v59, vcc
	v_cmp_gt_u32_e32 vcc, v60, v8
	v_and_b32_e32 v62, 0xffff, v58
	v_cndmask_b32_e32 v6, v58, v6, vcc
	v_cndmask_b32_e64 v58, v59, 0, vcc
	v_add_u32_e32 v5, v58, v5
	v_mov_b32_e32 v58, 0x80
	v_lshl_or_b32 v61, v42, 2, v58
	ds_bpermute_b32 v58, v61, v5
	v_cndmask_b32_e32 v41, v62, v41, vcc
	ds_bpermute_b32 v41, v61, v41
	v_cmp_eq_u16_sdwa vcc, v6, v40 src0_sel:BYTE_0 src1_sel:DWORD
	v_add_u32_e32 v62, 32, v42
	s_waitcnt lgkmcnt(1)
	v_cndmask_b32_e32 v42, 0, v58, vcc
	v_and_b32_e32 v58, 1, v6
	s_waitcnt lgkmcnt(0)
	v_and_b32_e32 v41, 1, v41
	v_cmp_eq_u32_e32 vcc, 1, v58
	v_cndmask_b32_e64 v41, v41, 1, vcc
	v_cmp_gt_u32_e32 vcc, v62, v8
	v_cndmask_b32_e64 v8, v42, 0, vcc
	v_cndmask_b32_e32 v6, v41, v6, vcc
	v_add_u32_e32 v5, v8, v5
	s_branch .LBB56_124
.LBB56_121:                             ;   in Loop: Header=BB56_124 Depth=1
	s_or_b64 exec, exec, s[52:53]
.LBB56_122:                             ;   in Loop: Header=BB56_124 Depth=1
	s_or_b64 exec, exec, s[44:45]
	v_cmp_eq_u16_sdwa s[44:45], v7, v45 src0_sel:BYTE_0 src1_sel:DWORD
	v_and_b32_e32 v42, 0xff, v6
	v_and_b32_e32 v8, s45, v4
	v_or_b32_e32 v8, 0x80000000, v8
	ds_bpermute_b32 v64, v46, v42
	v_and_b32_e32 v63, s44, v3
	v_ffbl_b32_e32 v8, v8
	v_add_u32_e32 v8, 32, v8
	v_ffbl_b32_e32 v63, v63
	v_min_u32_e32 v8, v63, v8
	ds_bpermute_b32 v63, v46, v5
	v_and_b32_e32 v6, 1, v6
	v_mov_b32_e32 v41, v5
	s_waitcnt lgkmcnt(1)
	v_and_b32_e32 v64, 1, v64
	v_cmp_eq_u32_e32 vcc, 1, v6
	v_cndmask_b32_e64 v6, v64, 1, vcc
	v_cmp_gt_u64_e32 vcc, s[40:41], v[41:42]
	v_and_b32_e32 v64, 0xffff, v6
	s_waitcnt lgkmcnt(0)
	v_cndmask_b32_e32 v41, 0, v63, vcc
	v_cmp_gt_u32_e32 vcc, v47, v8
	v_cndmask_b32_e32 v6, v6, v42, vcc
	v_cndmask_b32_e32 v42, v64, v42, vcc
	ds_bpermute_b32 v63, v48, v42
	v_cndmask_b32_e64 v41, v41, 0, vcc
	v_add_u32_e32 v5, v41, v5
	ds_bpermute_b32 v41, v48, v5
	v_and_b32_e32 v64, 1, v6
	s_waitcnt lgkmcnt(1)
	v_and_b32_e32 v63, 1, v63
	v_cmp_eq_u32_e32 vcc, 1, v64
	v_cndmask_b32_e64 v63, v63, 1, vcc
	v_cmp_eq_u16_e32 vcc, 0, v6
	v_and_b32_e32 v64, 0xffff, v63
	s_waitcnt lgkmcnt(0)
	v_cndmask_b32_e32 v41, 0, v41, vcc
	v_cmp_gt_u32_e32 vcc, v49, v8
	v_cndmask_b32_e32 v42, v64, v42, vcc
	v_cndmask_b32_e32 v6, v63, v6, vcc
	ds_bpermute_b32 v63, v50, v42
	v_cndmask_b32_e64 v41, v41, 0, vcc
	v_add_u32_e32 v5, v41, v5
	ds_bpermute_b32 v41, v50, v5
	v_and_b32_e32 v64, 1, v6
	s_waitcnt lgkmcnt(1)
	v_and_b32_e32 v63, 1, v63
	v_cmp_eq_u32_e32 vcc, 1, v64
	v_cndmask_b32_e64 v63, v63, 1, vcc
	v_cmp_eq_u16_e32 vcc, 0, v6
	;; [unrolled: 16-line block ×3, first 2 shown]
	v_and_b32_e32 v64, 0xffff, v63
	s_waitcnt lgkmcnt(0)
	v_cndmask_b32_e32 v41, 0, v41, vcc
	v_cmp_gt_u32_e32 vcc, v56, v8
	v_cndmask_b32_e32 v42, v64, v42, vcc
	v_cndmask_b32_e32 v6, v63, v6, vcc
	ds_bpermute_b32 v63, v57, v42
	v_cndmask_b32_e64 v41, v41, 0, vcc
	v_add_u32_e32 v5, v41, v5
	ds_bpermute_b32 v41, v57, v5
	v_and_b32_e32 v64, 1, v6
	s_waitcnt lgkmcnt(1)
	v_and_b32_e32 v63, 1, v63
	v_cmp_eq_u32_e32 vcc, 1, v64
	v_cndmask_b32_e64 v63, v63, 1, vcc
	v_cmp_eq_u16_sdwa vcc, v6, v40 src0_sel:BYTE_0 src1_sel:DWORD
	s_waitcnt lgkmcnt(0)
	v_cndmask_b32_e32 v41, 0, v41, vcc
	v_cmp_gt_u32_e32 vcc, v60, v8
	v_cndmask_b32_e64 v41, v41, 0, vcc
	v_cndmask_b32_e32 v6, v63, v6, vcc
	v_add_u32_e32 v5, v41, v5
	v_and_b32_e32 v63, 0xffff, v63
	ds_bpermute_b32 v41, v61, v5
	v_cndmask_b32_e32 v42, v63, v42, vcc
	ds_bpermute_b32 v42, v61, v42
	v_cmp_eq_u16_sdwa vcc, v6, v40 src0_sel:BYTE_0 src1_sel:DWORD
	v_and_b32_e32 v63, 1, v6
	s_waitcnt lgkmcnt(1)
	v_cndmask_b32_e32 v41, 0, v41, vcc
	v_cmp_eq_u32_e32 vcc, 1, v63
	s_waitcnt lgkmcnt(0)
	v_cndmask_b32_e64 v42, v42, 1, vcc
	v_cmp_gt_u32_e32 vcc, v62, v8
	v_cndmask_b32_e64 v8, v41, 0, vcc
	v_cndmask_b32_e32 v6, v42, v6, vcc
	v_add_u32_e32 v5, v8, v5
	v_cmp_eq_u16_sdwa vcc, v58, v40 src0_sel:BYTE_0 src1_sel:DWORD
	v_and_b32_e32 v8, 1, v58
	v_cndmask_b32_e32 v5, 0, v5, vcc
	v_and_b32_e32 v6, 1, v6
	v_cmp_eq_u32_e32 vcc, 1, v8
	v_subrev_u32_e32 v39, 64, v39
	v_add_u32_e32 v5, v5, v59
	v_cndmask_b32_e64 v6, v6, 1, vcc
	s_mov_b64 s[44:45], 0
.LBB56_123:                             ;   in Loop: Header=BB56_124 Depth=1
	s_and_b64 vcc, exec, s[44:45]
	s_cbranch_vccnz .LBB56_129
.LBB56_124:                             ; =>This Loop Header: Depth=1
                                        ;     Child Loop BB56_127 Depth 2
	v_cmp_ne_u16_sdwa s[44:45], v7, v45 src0_sel:BYTE_0 src1_sel:DWORD
	v_mov_b32_e32 v58, v6
	v_mov_b32_e32 v59, v5
	s_cmp_lg_u64 s[44:45], exec
	s_mov_b64 s[44:45], -1
                                        ; implicit-def: $vgpr6
                                        ; implicit-def: $vgpr5
                                        ; implicit-def: $vgpr7
	s_cbranch_scc1 .LBB56_123
; %bb.125:                              ;   in Loop: Header=BB56_124 Depth=1
	v_lshlrev_b64 v[5:6], 4, v[39:40]
	v_mov_b32_e32 v7, s49
	v_add_co_u32_e32 v41, vcc, s48, v5
	v_addc_co_u32_e32 v42, vcc, v7, v6, vcc
	;;#ASMSTART
	global_load_dwordx4 v[5:8], v[41:42] off glc	
s_waitcnt vmcnt(0)
	;;#ASMEND
	v_cmp_eq_u16_sdwa s[52:53], v7, v40 src0_sel:BYTE_0 src1_sel:DWORD
	s_and_saveexec_b64 s[44:45], s[52:53]
	s_cbranch_execz .LBB56_122
; %bb.126:                              ;   in Loop: Header=BB56_124 Depth=1
	s_mov_b64 s[52:53], 0
.LBB56_127:                             ;   Parent Loop BB56_124 Depth=1
                                        ; =>  This Inner Loop Header: Depth=2
	;;#ASMSTART
	global_load_dwordx4 v[5:8], v[41:42] off glc	
s_waitcnt vmcnt(0)
	;;#ASMEND
	v_cmp_ne_u16_sdwa s[54:55], v7, v40 src0_sel:BYTE_0 src1_sel:DWORD
	s_or_b64 s[52:53], s[54:55], s[52:53]
	s_andn2_b64 exec, exec, s[52:53]
	s_cbranch_execnz .LBB56_127
	s_branch .LBB56_121
.LBB56_128:
                                        ; implicit-def: $vgpr1_vgpr2
                                        ; implicit-def: $vgpr39
                                        ; implicit-def: $vgpr40
                                        ; implicit-def: $vgpr41
                                        ; implicit-def: $vgpr42
                                        ; implicit-def: $vgpr43
                                        ; implicit-def: $vgpr44
                                        ; implicit-def: $vgpr45
                                        ; implicit-def: $vgpr46
                                        ; implicit-def: $vgpr47
                                        ; implicit-def: $vgpr48
                                        ; implicit-def: $vgpr49
                                        ; implicit-def: $vgpr50
                                        ; implicit-def: $vgpr51
                                        ; implicit-def: $vgpr52
	s_cbranch_execnz .LBB56_134
	s_branch .LBB56_153
.LBB56_129:
	s_and_saveexec_b64 s[40:41], s[36:37]
	s_cbranch_execz .LBB56_131
; %bb.130:
	s_mov_b32 s7, 0
	v_mov_b32_e32 v4, 0
	s_add_i32 s6, s6, 64
	v_cmp_eq_u32_sdwa vcc, v2, v4 src0_sel:BYTE_0 src1_sel:DWORD
	s_lshl_b64 s[6:7], s[6:7], 4
	v_cndmask_b32_e32 v3, 0, v59, vcc
	v_and_b32_e32 v2, 1, v2
	s_add_u32 s6, s48, s6
	v_add_u32_e32 v1, v3, v1
	s_addc_u32 s7, s49, s7
	v_and_b32_e32 v3, 1, v58
	v_cmp_eq_u32_e32 vcc, 1, v2
	v_mov_b32_e32 v5, s6
	v_cndmask_b32_e64 v2, v3, 1, vcc
	v_mov_b32_e32 v3, 2
	v_mov_b32_e32 v6, s7
	;;#ASMSTART
	global_store_dwordx4 v[5:6], v[1:4] off	
s_waitcnt vmcnt(0)
	;;#ASMEND
.LBB56_131:
	s_or_b64 exec, exec, s[40:41]
	s_and_b64 exec, exec, s[34:35]
	s_cbranch_execz .LBB56_133
; %bb.132:
	v_mov_b32_e32 v1, 0
	ds_write_b32 v1, v59
	ds_write_b8 v1, v58 offset:4
.LBB56_133:
	s_or_b64 exec, exec, s[38:39]
	s_mov_b32 s6, 0
	s_mov_b32 s7, 1
	v_mov_b32_e32 v1, 0
	v_cmp_gt_u64_e32 vcc, s[6:7], v[9:10]
	s_waitcnt lgkmcnt(0)
	s_barrier
	ds_read_b32 v2, v1
	v_and_b32_e32 v4, 1, v10
	v_cndmask_b32_e32 v3, 0, v43, vcc
	v_cmp_eq_u32_e32 vcc, 1, v4
	v_cndmask_b32_e64 v4, v44, 1, vcc
	v_cndmask_b32_e64 v4, v4, v10, s[34:35]
	v_cmp_eq_u16_sdwa vcc, v4, v1 src0_sel:BYTE_0 src1_sel:DWORD
	v_cndmask_b32_e64 v3, v3, 0, s[34:35]
	s_waitcnt lgkmcnt(0)
	v_cndmask_b32_e32 v1, 0, v2, vcc
	v_add3_u32 v1, v3, v9, v1
	v_cndmask_b32_e64 v2, 0, v1, s[2:3]
	v_add_u32_e32 v39, v2, v35
	v_cndmask_b32_e64 v2, 0, v39, s[42:43]
	v_add_u32_e32 v40, v2, v33
	;; [unrolled: 2-line block ×14, first 2 shown]
	s_branch .LBB56_153
.LBB56_134:
	s_cmp_lg_u64 s[56:57], 0
	s_cselect_b64 s[6:7], -1, 0
	v_cmp_eq_u32_e32 vcc, 0, v0
	s_mov_b32 s34, 0
	v_cmp_ne_u32_e64 s[2:3], 0, v0
	s_and_b64 s[6:7], vcc, s[6:7]
	s_and_saveexec_b64 s[8:9], s[6:7]
	s_cbranch_execz .LBB56_136
; %bb.135:
	v_mov_b32_e32 v1, 0
	global_load_dword v3, v1, s[56:57]
	global_load_ubyte v4, v1, s[56:57] offset:4
	s_mov_b32 s35, 1
	v_cmp_gt_u64_e64 s[6:7], s[34:35], v[9:10]
	v_and_b32_e32 v2, 1, v10
	s_waitcnt vmcnt(1)
	v_cndmask_b32_e64 v3, 0, v3, s[6:7]
	v_cmp_eq_u64_e64 s[6:7], 0, v[1:2]
	s_waitcnt vmcnt(0)
	v_and_b32_e32 v4, 1, v4
	v_add_u32_e32 v9, v3, v9
	v_cndmask_b32_e64 v10, 1, v4, s[6:7]
.LBB56_136:
	s_or_b64 exec, exec, s[8:9]
	s_mov_b32 s35, 1
	v_cmp_gt_u64_e64 s[6:7], s[34:35], v[35:36]
	v_cmp_gt_u64_e64 s[8:9], s[34:35], v[33:34]
	v_cndmask_b32_e64 v1, 0, v9, s[6:7]
	v_add_u32_e32 v39, v1, v35
	v_cndmask_b32_e64 v1, 0, v39, s[8:9]
	v_cmp_gt_u64_e64 s[10:11], s[34:35], v[31:32]
	v_add_u32_e32 v40, v1, v33
	v_cndmask_b32_e64 v1, 0, v40, s[10:11]
	v_cmp_gt_u64_e64 s[12:13], s[34:35], v[29:30]
	;; [unrolled: 3-line block ×12, first 2 shown]
	v_or3_b32 v1, v55, v26, v28
	v_add_u32_e32 v51, v2, v11
	v_or3_b32 v1, v1, v30, v32
	v_cndmask_b32_e64 v2, 0, v51, s[34:35]
	v_or3_b32 v1, v1, v34, v36
	v_add_u32_e32 v52, v2, v37
	v_or3_b32 v2, v54, v16, v18
	v_or3_b32 v1, v2, v20, v1
	v_and_b32_e32 v2, 0xff, v1
	v_mov_b32_e32 v1, 0
	v_cmp_eq_u64_e64 s[36:37], 0, v[1:2]
	v_and_b32_e32 v1, 56, v53
	v_cndmask_b32_e64 v5, 1, v10, s[36:37]
	v_lshl_add_u32 v1, v0, 3, v1
	v_cmp_gt_u32_e64 s[36:37], 64, v0
	ds_write_b32 v1, v52
	ds_write_b8 v1, v5 offset:4
	s_waitcnt lgkmcnt(0)
	s_barrier
	s_and_saveexec_b64 s[52:53], s[36:37]
	s_cbranch_execz .LBB56_148
; %bb.137:
	v_and_b32_e32 v1, 0xf8, v0
	v_lshlrev_b32_e32 v2, 5, v0
	v_add_u32_e32 v6, v1, v2
	ds_read2_b32 v[1:2], v6 offset0:2 offset1:4
	ds_read_b64 v[3:4], v6
	ds_read_u8 v20, v6 offset:12
	ds_read_u8 v12, v6 offset:20
	ds_read_b32 v7, v6 offset:24
	ds_read_u8 v14, v6 offset:28
	s_waitcnt lgkmcnt(4)
	v_and_b32_e32 v8, 1, v4
	s_waitcnt lgkmcnt(3)
	v_cmp_eq_u16_e64 s[40:41], 0, v20
	s_waitcnt lgkmcnt(2)
	v_or_b32_e32 v18, v12, v20
	v_cndmask_b32_e64 v16, 0, v3, s[40:41]
	v_cmp_eq_u16_e64 s[38:39], 0, v18
	v_add_u32_e32 v16, v16, v1
	v_cmp_eq_u16_e64 s[36:37], 0, v12
	v_cndmask_b32_e64 v18, 1, v8, s[38:39]
	s_waitcnt lgkmcnt(0)
	v_cmp_eq_u16_e64 s[38:39], 0, v14
	v_and_b32_e32 v14, 1, v14
	v_cndmask_b32_e64 v16, 0, v16, s[36:37]
	v_cmp_eq_u32_e64 s[42:43], 1, v14
	v_add_u32_e32 v16, v16, v2
	v_cndmask_b32_e64 v22, v18, 1, s[42:43]
	v_mbcnt_lo_u32_b32 v18, -1, 0
	v_cndmask_b32_e64 v16, 0, v16, s[38:39]
	v_and_b32_e32 v14, 0xffffff00, v4
	v_mbcnt_hi_u32_b32 v18, -1, v18
	v_add_u32_e32 v16, v16, v7
	v_and_b32_e32 v28, 15, v18
	v_or_b32_sdwa v24, v14, v22 dst_sel:DWORD dst_unused:UNUSED_PAD src0_sel:DWORD src1_sel:WORD_0
	v_mov_b32_dpp v26, v16 row_shr:1 row_mask:0xf bank_mask:0xf
	v_cmp_ne_u32_e64 s[44:45], 0, v28
	v_mov_b32_dpp v30, v24 row_shr:1 row_mask:0xf bank_mask:0xf
	s_and_saveexec_b64 s[54:55], s[44:45]
; %bb.138:
	v_and_b32_e32 v24, 1, v22
	v_and_b32_e32 v30, 1, v30
	v_cmp_eq_u32_e64 s[44:45], 1, v24
	v_cndmask_b32_e64 v30, v30, 1, s[44:45]
	v_cmp_eq_u16_e64 s[44:45], 0, v22
	v_cndmask_b32_e64 v22, 0, v26, s[44:45]
	v_add_u32_e32 v16, v22, v16
	v_or_b32_sdwa v24, v14, v30 dst_sel:DWORD dst_unused:UNUSED_PAD src0_sel:DWORD src1_sel:WORD_0
	v_mov_b32_e32 v22, v30
; %bb.139:
	s_or_b64 exec, exec, s[54:55]
	v_mov_b32_dpp v30, v16 row_shr:2 row_mask:0xf bank_mask:0xf
	v_mov_b32_dpp v32, v24 row_shr:2 row_mask:0xf bank_mask:0xf
	v_cmp_lt_u32_e64 s[44:45], 1, v28
	v_mov_b32_e32 v26, v24
	s_and_saveexec_b64 s[54:55], s[44:45]
	s_cbranch_execz .LBB56_141
; %bb.140:
	v_and_b32_e32 v22, 1, v24
	v_and_b32_e32 v26, 1, v32
	v_cmp_eq_u32_e64 s[44:45], 1, v22
	v_cndmask_b32_e64 v22, v26, 1, s[44:45]
	v_mov_b32_e32 v26, 0
	v_cmp_eq_u16_sdwa s[44:45], v24, v26 src0_sel:BYTE_0 src1_sel:DWORD
	v_cndmask_b32_e64 v24, 0, v30, s[44:45]
	v_add_u32_e32 v16, v24, v16
	v_or_b32_sdwa v24, v14, v22 dst_sel:DWORD dst_unused:UNUSED_PAD src0_sel:DWORD src1_sel:WORD_0
	v_mov_b32_e32 v26, v22
.LBB56_141:
	s_or_b64 exec, exec, s[54:55]
	v_mov_b32_dpp v30, v16 row_shr:4 row_mask:0xf bank_mask:0xf
	v_mov_b32_dpp v32, v24 row_shr:4 row_mask:0xf bank_mask:0xf
	v_cmp_lt_u32_e64 s[44:45], 3, v28
	s_and_saveexec_b64 s[54:55], s[44:45]
	s_cbranch_execz .LBB56_143
; %bb.142:
	v_and_b32_e32 v22, 1, v26
	v_and_b32_e32 v24, 1, v32
	v_cmp_eq_u32_e64 s[44:45], 1, v22
	v_cndmask_b32_e64 v22, v24, 1, s[44:45]
	v_mov_b32_e32 v24, 0
	v_cmp_eq_u16_sdwa s[44:45], v26, v24 src0_sel:BYTE_0 src1_sel:DWORD
	v_cndmask_b32_e64 v24, 0, v30, s[44:45]
	v_add_u32_e32 v16, v24, v16
	v_or_b32_sdwa v24, v14, v22 dst_sel:DWORD dst_unused:UNUSED_PAD src0_sel:DWORD src1_sel:WORD_0
	v_mov_b32_e32 v26, v22
.LBB56_143:
	s_or_b64 exec, exec, s[54:55]
	v_mov_b32_dpp v30, v16 row_shr:8 row_mask:0xf bank_mask:0xf
	v_mov_b32_dpp v32, v24 row_shr:8 row_mask:0xf bank_mask:0xf
	v_cmp_lt_u32_e64 s[44:45], 7, v28
	s_and_saveexec_b64 s[54:55], s[44:45]
	s_cbranch_execz .LBB56_145
; %bb.144:
	v_and_b32_e32 v22, 1, v26
	v_and_b32_e32 v24, 1, v32
	v_cmp_eq_u32_e64 s[44:45], 1, v22
	v_cndmask_b32_e64 v22, v24, 1, s[44:45]
	v_mov_b32_e32 v24, 0
	v_cmp_eq_u16_sdwa s[44:45], v26, v24 src0_sel:BYTE_0 src1_sel:DWORD
	v_cndmask_b32_e64 v24, 0, v30, s[44:45]
	v_add_u32_e32 v16, v24, v16
	v_or_b32_sdwa v24, v14, v22 dst_sel:DWORD dst_unused:UNUSED_PAD src0_sel:DWORD src1_sel:WORD_0
	v_mov_b32_e32 v26, v22
.LBB56_145:
	s_or_b64 exec, exec, s[54:55]
	v_and_b32_e32 v32, 16, v18
	v_mov_b32_dpp v28, v16 row_bcast:15 row_mask:0xf bank_mask:0xf
	v_mov_b32_dpp v30, v24 row_bcast:15 row_mask:0xf bank_mask:0xf
	v_cmp_ne_u32_e64 s[44:45], 0, v32
	s_and_saveexec_b64 s[54:55], s[44:45]
	s_cbranch_execz .LBB56_147
; %bb.146:
	v_and_b32_e32 v22, 1, v26
	v_and_b32_e32 v24, 1, v30
	v_cmp_eq_u32_e64 s[44:45], 1, v22
	v_cndmask_b32_e64 v22, v24, 1, s[44:45]
	v_mov_b32_e32 v24, 0
	v_cmp_eq_u16_sdwa s[44:45], v26, v24 src0_sel:BYTE_0 src1_sel:DWORD
	v_cndmask_b32_e64 v24, 0, v28, s[44:45]
	v_add_u32_e32 v16, v24, v16
	v_or_b32_sdwa v24, v14, v22 dst_sel:DWORD dst_unused:UNUSED_PAD src0_sel:DWORD src1_sel:WORD_0
	v_mov_b32_e32 v26, v22
.LBB56_147:
	s_or_b64 exec, exec, s[54:55]
	v_mov_b32_dpp v24, v24 row_bcast:31 row_mask:0xf bank_mask:0xf
	v_and_b32_e32 v30, 1, v26
	v_and_b32_e32 v24, 1, v24
	v_cmp_eq_u32_e64 s[44:45], 1, v30
	v_mov_b32_e32 v30, 0
	v_cndmask_b32_e64 v24, v24, 1, s[44:45]
	v_cmp_eq_u16_sdwa s[54:55], v26, v30 src0_sel:BYTE_0 src1_sel:DWORD
	v_cmp_lt_u32_e64 s[44:45], 31, v18
	v_mov_b32_dpp v28, v16 row_bcast:31 row_mask:0xf bank_mask:0xf
	v_cndmask_b32_e64 v22, v22, v24, s[44:45]
	s_and_b64 s[44:45], s[44:45], s[54:55]
	v_cndmask_b32_e64 v24, 0, v28, s[44:45]
	v_add_u32_e32 v16, v24, v16
	v_add_u32_e32 v24, -1, v18
	v_and_b32_e32 v26, 64, v18
	v_cmp_lt_i32_e64 s[44:45], v24, v26
	v_cndmask_b32_e64 v18, v24, v18, s[44:45]
	v_lshlrev_b32_e32 v18, 2, v18
	ds_bpermute_b32 v16, v18, v16
	v_or_b32_sdwa v14, v14, v22 dst_sel:DWORD dst_unused:UNUSED_PAD src0_sel:DWORD src1_sel:WORD_0
	ds_bpermute_b32 v14, v18, v14
	v_cmp_eq_u16_sdwa s[44:45], v4, v30 src0_sel:BYTE_0 src1_sel:DWORD
	v_and_b32_e32 v20, 1, v20
	s_waitcnt lgkmcnt(1)
	v_cndmask_b32_e64 v4, 0, v16, s[44:45]
	v_add_u32_e32 v3, v4, v3
	s_waitcnt lgkmcnt(0)
	v_and_b32_e32 v4, 1, v14
	v_cmp_eq_u32_e64 s[44:45], 1, v8
	v_cndmask_b32_e64 v4, v4, 1, s[44:45]
	v_cndmask_b32_e32 v3, v3, v52, vcc
	v_cndmask_b32_e32 v4, v4, v5, vcc
	v_cndmask_b32_e64 v5, 0, v3, s[40:41]
	v_add_u32_e32 v1, v5, v1
	v_cmp_eq_u32_e64 s[40:41], 1, v20
	ds_write_b8 v6, v4 offset:4
	v_cndmask_b32_e64 v4, v4, 1, s[40:41]
	ds_write2_b32 v6, v3, v1 offset1:2
	ds_write_b8 v6, v4 offset:12
	v_cndmask_b32_e64 v1, 0, v1, s[36:37]
	v_and_b32_e32 v12, 1, v12
	v_add_u32_e32 v1, v1, v2
	v_cmp_eq_u32_e64 s[36:37], 1, v12
	v_cndmask_b32_e64 v3, 0, v1, s[38:39]
	v_cndmask_b32_e64 v2, v4, 1, s[36:37]
	v_add_u32_e32 v3, v3, v7
	ds_write_b8 v6, v2 offset:20
	v_cndmask_b32_e64 v2, v2, 1, s[42:43]
	ds_write2_b32 v6, v1, v3 offset0:4 offset1:6
	ds_write_b8 v6, v2 offset:28
.LBB56_148:
	s_or_b64 exec, exec, s[52:53]
	s_waitcnt lgkmcnt(0)
	s_barrier
	s_and_saveexec_b64 s[36:37], s[2:3]
	s_cbranch_execz .LBB56_150
; %bb.149:
	v_add_u32_e32 v1, -1, v0
	v_lshrrev_b32_e32 v2, 2, v1
	v_and_b32_e32 v2, 0x3ffffff8, v2
	v_lshl_add_u32 v1, v1, 3, v2
	ds_read_b32 v1, v1
	s_mov_b32 s2, 0
	s_mov_b32 s3, 1
	v_cmp_gt_u64_e64 s[2:3], s[2:3], v[9:10]
	s_waitcnt lgkmcnt(0)
	v_cndmask_b32_e64 v1, 0, v1, s[2:3]
	v_add_u32_e32 v9, v1, v9
	v_cndmask_b32_e64 v1, 0, v9, s[6:7]
	v_add_u32_e32 v39, v1, v35
	;; [unrolled: 2-line block ×15, first 2 shown]
.LBB56_150:
	s_or_b64 exec, exec, s[36:37]
	s_and_saveexec_b64 s[2:3], vcc
	s_cbranch_execz .LBB56_152
; %bb.151:
	v_mov_b32_e32 v4, 0
	ds_read_b32 v1, v4 offset:2096
	ds_read_u8 v2, v4 offset:2100
	s_add_u32 s6, s48, 0x400
	s_addc_u32 s7, s49, 0
	v_mov_b32_e32 v5, s6
	v_mov_b32_e32 v3, 2
	;; [unrolled: 1-line block ×3, first 2 shown]
	s_waitcnt lgkmcnt(0)
	;;#ASMSTART
	global_store_dwordx4 v[5:6], v[1:4] off	
s_waitcnt vmcnt(0)
	;;#ASMEND
.LBB56_152:
	s_or_b64 exec, exec, s[2:3]
	v_mov_b32_e32 v1, v9
	v_mov_b32_e32 v2, v10
.LBB56_153:
	s_load_dwordx2 s[2:3], s[4:5], 0x18
	s_lshl_b64 s[4:5], s[46:47], 3
	s_waitcnt lgkmcnt(0)
	s_add_u32 s2, s2, s4
	s_addc_u32 s3, s3, s5
	s_and_b64 vcc, exec, s[0:1]
	s_cbranch_vccz .LBB56_207
; %bb.154:
	s_add_i32 s33, s33, s50
	v_mul_u32_u24_e32 v2, 15, v0
	v_cmp_gt_u32_e32 vcc, s33, v2
	s_and_saveexec_b64 s[0:1], vcc
	s_cbranch_execz .LBB56_178
; %bb.155:
	v_add_u32_e32 v3, 1, v2
	v_cmp_gt_u32_e32 vcc, s33, v3
	s_and_saveexec_b64 s[4:5], vcc
	s_cbranch_execz .LBB56_177
; %bb.156:
	v_add_u32_e32 v3, 2, v2
	;; [unrolled: 5-line block ×11, first 2 shown]
	v_cmp_gt_u32_e32 vcc, s33, v3
	s_and_saveexec_b64 s[24:25], vcc
; %bb.166:
	v_add_u32_e32 v3, 12, v2
	v_cmp_gt_u32_e32 vcc, s33, v3
	s_and_saveexec_b64 s[26:27], vcc
	s_or_b64 exec, exec, s[26:27]
; %bb.167:
	s_or_b64 exec, exec, s[24:25]
.LBB56_168:
	s_or_b64 exec, exec, s[22:23]
.LBB56_169:
	s_or_b64 exec, exec, s[20:21]
.LBB56_170:
	s_or_b64 exec, exec, s[18:19]
.LBB56_171:
	s_or_b64 exec, exec, s[16:17]
.LBB56_172:
	s_or_b64 exec, exec, s[14:15]
.LBB56_173:
	s_or_b64 exec, exec, s[12:13]
.LBB56_174:
	s_or_b64 exec, exec, s[10:11]
.LBB56_175:
	s_or_b64 exec, exec, s[8:9]
.LBB56_176:
	s_or_b64 exec, exec, s[6:7]
.LBB56_177:
	s_or_b64 exec, exec, s[4:5]
.LBB56_178:
	s_or_b64 exec, exec, s[0:1]
	v_lshlrev_b32_e32 v18, 2, v2
	s_movk_i32 s0, 0xffc8
	v_mad_i32_i24 v2, v0, s0, v18
	s_barrier
	ds_write2_b32 v18, v1, v39 offset1:1
	ds_write2_b32 v18, v40, v41 offset0:2 offset1:3
	ds_write2_b32 v18, v42, v43 offset0:4 offset1:5
	;; [unrolled: 1-line block ×6, first 2 shown]
	ds_write_b32 v18, v52 offset:56
	s_waitcnt lgkmcnt(0)
	s_barrier
	ds_read2st64_b32 v[16:17], v2 offset0:4 offset1:8
	ds_read2st64_b32 v[14:15], v2 offset0:12 offset1:16
	;; [unrolled: 1-line block ×7, first 2 shown]
	v_lshlrev_b32_e32 v4, 3, v0
	v_mov_b32_e32 v5, s3
	v_add_co_u32_e32 v4, vcc, s2, v4
	v_addc_co_u32_e32 v5, vcc, 0, v5, vcc
	v_cmp_gt_u32_e32 vcc, s33, v0
	s_and_saveexec_b64 s[0:1], vcc
	s_cbranch_execz .LBB56_180
; %bb.179:
	v_mul_i32_i24_e32 v19, 0xffffffc8, v0
	v_add_u32_e32 v18, v18, v19
	ds_read_b32 v18, v18
	s_waitcnt lgkmcnt(0)
	v_cvt_f64_i32_e32 v[18:19], v18
	global_store_dwordx2 v[4:5], v[18:19], off
.LBB56_180:
	s_or_b64 exec, exec, s[0:1]
	v_or_b32_e32 v18, 0x100, v0
	v_cmp_gt_u32_e32 vcc, s33, v18
	s_and_saveexec_b64 s[0:1], vcc
	s_cbranch_execz .LBB56_182
; %bb.181:
	s_waitcnt lgkmcnt(6)
	v_cvt_f64_i32_e32 v[18:19], v16
	global_store_dwordx2 v[4:5], v[18:19], off offset:2048
.LBB56_182:
	s_or_b64 exec, exec, s[0:1]
	s_waitcnt lgkmcnt(6)
	v_or_b32_e32 v16, 0x200, v0
	v_cmp_gt_u32_e32 vcc, s33, v16
	s_and_saveexec_b64 s[0:1], vcc
	s_cbranch_execz .LBB56_184
; %bb.183:
	v_cvt_f64_i32_e32 v[16:17], v17
	v_add_co_u32_e32 v18, vcc, 0x1000, v4
	v_addc_co_u32_e32 v19, vcc, 0, v5, vcc
	global_store_dwordx2 v[18:19], v[16:17], off
.LBB56_184:
	s_or_b64 exec, exec, s[0:1]
	v_or_b32_e32 v16, 0x300, v0
	v_cmp_gt_u32_e32 vcc, s33, v16
	s_and_saveexec_b64 s[0:1], vcc
	s_cbranch_execz .LBB56_186
; %bb.185:
	s_waitcnt lgkmcnt(5)
	v_cvt_f64_i32_e32 v[16:17], v14
	v_add_co_u32_e32 v18, vcc, 0x1000, v4
	v_addc_co_u32_e32 v19, vcc, 0, v5, vcc
	global_store_dwordx2 v[18:19], v[16:17], off offset:2048
.LBB56_186:
	s_or_b64 exec, exec, s[0:1]
	s_waitcnt lgkmcnt(5)
	v_or_b32_e32 v14, 0x400, v0
	v_cmp_gt_u32_e32 vcc, s33, v14
	s_and_saveexec_b64 s[0:1], vcc
	s_cbranch_execz .LBB56_188
; %bb.187:
	v_cvt_f64_i32_e32 v[14:15], v15
	v_add_co_u32_e32 v16, vcc, 0x2000, v4
	v_addc_co_u32_e32 v17, vcc, 0, v5, vcc
	global_store_dwordx2 v[16:17], v[14:15], off
.LBB56_188:
	s_or_b64 exec, exec, s[0:1]
	v_or_b32_e32 v14, 0x500, v0
	v_cmp_gt_u32_e32 vcc, s33, v14
	s_and_saveexec_b64 s[0:1], vcc
	s_cbranch_execz .LBB56_190
; %bb.189:
	s_waitcnt lgkmcnt(4)
	v_cvt_f64_i32_e32 v[14:15], v12
	v_add_co_u32_e32 v16, vcc, 0x2000, v4
	v_addc_co_u32_e32 v17, vcc, 0, v5, vcc
	global_store_dwordx2 v[16:17], v[14:15], off offset:2048
.LBB56_190:
	;; [unrolled: 24-line block ×6, first 2 shown]
	s_or_b64 exec, exec, s[0:1]
	s_waitcnt lgkmcnt(0)
	v_or_b32_e32 v2, 0xe00, v0
	v_cmp_gt_u32_e64 s[0:1], s33, v2
	s_branch .LBB56_209
.LBB56_207:
	s_mov_b64 s[0:1], 0
                                        ; implicit-def: $vgpr3
	s_cbranch_execz .LBB56_209
; %bb.208:
	v_mul_u32_u24_e32 v2, 60, v0
	s_waitcnt vmcnt(0)
	s_barrier
	ds_write2_b32 v2, v1, v39 offset1:1
	ds_write2_b32 v2, v40, v41 offset0:2 offset1:3
	ds_write2_b32 v2, v42, v43 offset0:4 offset1:5
	;; [unrolled: 1-line block ×6, first 2 shown]
	ds_write_b32 v2, v52 offset:56
	v_mul_i32_i24_e32 v1, 0xffffffc8, v0
	v_mad_u32_u24 v3, v0, 60, v1
	s_waitcnt lgkmcnt(0)
	s_barrier
	ds_read2st64_b32 v[1:2], v3 offset1:4
	ds_read2st64_b32 v[4:5], v3 offset0:8 offset1:12
	ds_read2st64_b32 v[6:7], v3 offset0:16 offset1:20
	ds_read2st64_b32 v[8:9], v3 offset0:24 offset1:28
	ds_read2st64_b32 v[10:11], v3 offset0:32 offset1:36
	ds_read2st64_b32 v[12:13], v3 offset0:40 offset1:44
	ds_read2st64_b32 v[14:15], v3 offset0:48 offset1:52
	ds_read_b32 v3, v3 offset:14336
	s_waitcnt lgkmcnt(7)
	v_cvt_f64_i32_e32 v[16:17], v1
	v_lshlrev_b32_e32 v18, 3, v0
	v_cvt_f64_i32_e32 v[1:2], v2
	v_mov_b32_e32 v19, s3
	v_add_co_u32_e32 v22, vcc, s2, v18
	v_addc_co_u32_e32 v23, vcc, 0, v19, vcc
	s_movk_i32 s4, 0x1000
	global_store_dwordx2 v18, v[16:17], s[2:3]
	global_store_dwordx2 v18, v[1:2], s[2:3] offset:2048
	s_waitcnt lgkmcnt(6)
	v_cvt_f64_i32_e32 v[1:2], v4
	v_add_co_u32_e32 v16, vcc, s4, v22
	v_addc_co_u32_e32 v17, vcc, 0, v23, vcc
	s_movk_i32 s4, 0x2000
	v_cvt_f64_i32_e32 v[4:5], v5
	v_add_co_u32_e32 v18, vcc, s4, v22
	s_waitcnt lgkmcnt(5)
	v_cvt_f64_i32_e32 v[20:21], v6
	v_addc_co_u32_e32 v19, vcc, 0, v23, vcc
	v_cvt_f64_i32_e32 v[6:7], v7
	s_movk_i32 s4, 0x3000
	global_store_dwordx2 v[18:19], v[1:2], off offset:-4096
	global_store_dwordx2 v[16:17], v[4:5], off offset:2048
	global_store_dwordx2 v[18:19], v[20:21], off
	global_store_dwordx2 v[18:19], v[6:7], off offset:2048
	s_waitcnt lgkmcnt(4)
	v_cvt_f64_i32_e32 v[1:2], v8
	v_add_co_u32_e32 v4, vcc, s4, v22
	v_addc_co_u32_e32 v5, vcc, 0, v23, vcc
	s_movk_i32 s4, 0x4000
	v_cvt_f64_i32_e32 v[8:9], v9
	v_add_co_u32_e32 v6, vcc, s4, v22
	s_waitcnt lgkmcnt(3)
	v_cvt_f64_i32_e32 v[16:17], v10
	v_addc_co_u32_e32 v7, vcc, 0, v23, vcc
	v_cvt_f64_i32_e32 v[10:11], v11
	global_store_dwordx2 v[6:7], v[1:2], off offset:-4096
	global_store_dwordx2 v[4:5], v[8:9], off offset:2048
	global_store_dwordx2 v[6:7], v[16:17], off
	global_store_dwordx2 v[6:7], v[10:11], off offset:2048
	s_waitcnt lgkmcnt(2)
	v_cvt_f64_i32_e32 v[1:2], v12
	s_movk_i32 s4, 0x5000
	v_cvt_f64_i32_e32 v[6:7], v13
	v_add_co_u32_e32 v4, vcc, s4, v22
	v_addc_co_u32_e32 v5, vcc, 0, v23, vcc
	global_store_dwordx2 v[4:5], v[1:2], off
	global_store_dwordx2 v[4:5], v[6:7], off offset:2048
	s_waitcnt lgkmcnt(1)
	v_cvt_f64_i32_e32 v[1:2], v14
	v_cvt_f64_i32_e32 v[6:7], v15
	v_add_co_u32_e32 v4, vcc, 0x6000, v22
	v_addc_co_u32_e32 v5, vcc, 0, v23, vcc
	s_or_b64 s[0:1], s[0:1], exec
	global_store_dwordx2 v[4:5], v[1:2], off
	global_store_dwordx2 v[4:5], v[6:7], off offset:2048
.LBB56_209:
	s_and_saveexec_b64 s[4:5], s[0:1]
	s_cbranch_execz .LBB56_211
; %bb.210:
	v_lshlrev_b32_e32 v0, 3, v0
	v_mov_b32_e32 v1, s3
	v_add_co_u32_e32 v2, vcc, s2, v0
	v_addc_co_u32_e32 v4, vcc, 0, v1, vcc
	s_waitcnt lgkmcnt(0)
	v_cvt_f64_i32_e32 v[0:1], v3
	v_add_co_u32_e32 v2, vcc, 0x7000, v2
	v_addc_co_u32_e32 v3, vcc, 0, v4, vcc
	global_store_dwordx2 v[2:3], v[0:1], off
	s_endpgm
.LBB56_211:
	s_endpgm
	.section	.rodata,"a",@progbits
	.p2align	6, 0x0
	.amdhsa_kernel _ZN7rocprim6detail25device_scan_by_key_kernelILNS0_25lookback_scan_determinismE0ELb0ENS0_26wrapped_scan_by_key_configINS_14default_configEiiEEPiN6hipcub22TransformInputIteratorIiNS7_6CastOpIiEES6_lEEPdiNS7_8EqualityENS7_3SumENS0_19lookback_scan_stateINS_5tupleIJibEEELb0ELb1EEEiEEvT2_T3_T4_T5_T6_T7_T8_mmmPKNSG_IJT9_bEEE
		.amdhsa_group_segment_fixed_size 17408
		.amdhsa_private_segment_fixed_size 0
		.amdhsa_kernarg_size 80
		.amdhsa_user_sgpr_count 6
		.amdhsa_user_sgpr_private_segment_buffer 1
		.amdhsa_user_sgpr_dispatch_ptr 0
		.amdhsa_user_sgpr_queue_ptr 0
		.amdhsa_user_sgpr_kernarg_segment_ptr 1
		.amdhsa_user_sgpr_dispatch_id 0
		.amdhsa_user_sgpr_flat_scratch_init 0
		.amdhsa_user_sgpr_private_segment_size 0
		.amdhsa_uses_dynamic_stack 0
		.amdhsa_system_sgpr_private_segment_wavefront_offset 0
		.amdhsa_system_sgpr_workgroup_id_x 1
		.amdhsa_system_sgpr_workgroup_id_y 0
		.amdhsa_system_sgpr_workgroup_id_z 0
		.amdhsa_system_sgpr_workgroup_info 0
		.amdhsa_system_vgpr_workitem_id 0
		.amdhsa_next_free_vgpr 73
		.amdhsa_next_free_sgpr 98
		.amdhsa_reserve_vcc 1
		.amdhsa_reserve_flat_scratch 0
		.amdhsa_float_round_mode_32 0
		.amdhsa_float_round_mode_16_64 0
		.amdhsa_float_denorm_mode_32 3
		.amdhsa_float_denorm_mode_16_64 3
		.amdhsa_dx10_clamp 1
		.amdhsa_ieee_mode 1
		.amdhsa_fp16_overflow 0
		.amdhsa_exception_fp_ieee_invalid_op 0
		.amdhsa_exception_fp_denorm_src 0
		.amdhsa_exception_fp_ieee_div_zero 0
		.amdhsa_exception_fp_ieee_overflow 0
		.amdhsa_exception_fp_ieee_underflow 0
		.amdhsa_exception_fp_ieee_inexact 0
		.amdhsa_exception_int_div_zero 0
	.end_amdhsa_kernel
	.section	.text._ZN7rocprim6detail25device_scan_by_key_kernelILNS0_25lookback_scan_determinismE0ELb0ENS0_26wrapped_scan_by_key_configINS_14default_configEiiEEPiN6hipcub22TransformInputIteratorIiNS7_6CastOpIiEES6_lEEPdiNS7_8EqualityENS7_3SumENS0_19lookback_scan_stateINS_5tupleIJibEEELb0ELb1EEEiEEvT2_T3_T4_T5_T6_T7_T8_mmmPKNSG_IJT9_bEEE,"axG",@progbits,_ZN7rocprim6detail25device_scan_by_key_kernelILNS0_25lookback_scan_determinismE0ELb0ENS0_26wrapped_scan_by_key_configINS_14default_configEiiEEPiN6hipcub22TransformInputIteratorIiNS7_6CastOpIiEES6_lEEPdiNS7_8EqualityENS7_3SumENS0_19lookback_scan_stateINS_5tupleIJibEEELb0ELb1EEEiEEvT2_T3_T4_T5_T6_T7_T8_mmmPKNSG_IJT9_bEEE,comdat
.Lfunc_end56:
	.size	_ZN7rocprim6detail25device_scan_by_key_kernelILNS0_25lookback_scan_determinismE0ELb0ENS0_26wrapped_scan_by_key_configINS_14default_configEiiEEPiN6hipcub22TransformInputIteratorIiNS7_6CastOpIiEES6_lEEPdiNS7_8EqualityENS7_3SumENS0_19lookback_scan_stateINS_5tupleIJibEEELb0ELb1EEEiEEvT2_T3_T4_T5_T6_T7_T8_mmmPKNSG_IJT9_bEEE, .Lfunc_end56-_ZN7rocprim6detail25device_scan_by_key_kernelILNS0_25lookback_scan_determinismE0ELb0ENS0_26wrapped_scan_by_key_configINS_14default_configEiiEEPiN6hipcub22TransformInputIteratorIiNS7_6CastOpIiEES6_lEEPdiNS7_8EqualityENS7_3SumENS0_19lookback_scan_stateINS_5tupleIJibEEELb0ELb1EEEiEEvT2_T3_T4_T5_T6_T7_T8_mmmPKNSG_IJT9_bEEE
                                        ; -- End function
	.set _ZN7rocprim6detail25device_scan_by_key_kernelILNS0_25lookback_scan_determinismE0ELb0ENS0_26wrapped_scan_by_key_configINS_14default_configEiiEEPiN6hipcub22TransformInputIteratorIiNS7_6CastOpIiEES6_lEEPdiNS7_8EqualityENS7_3SumENS0_19lookback_scan_stateINS_5tupleIJibEEELb0ELb1EEEiEEvT2_T3_T4_T5_T6_T7_T8_mmmPKNSG_IJT9_bEEE.num_vgpr, 73
	.set _ZN7rocprim6detail25device_scan_by_key_kernelILNS0_25lookback_scan_determinismE0ELb0ENS0_26wrapped_scan_by_key_configINS_14default_configEiiEEPiN6hipcub22TransformInputIteratorIiNS7_6CastOpIiEES6_lEEPdiNS7_8EqualityENS7_3SumENS0_19lookback_scan_stateINS_5tupleIJibEEELb0ELb1EEEiEEvT2_T3_T4_T5_T6_T7_T8_mmmPKNSG_IJT9_bEEE.num_agpr, 0
	.set _ZN7rocprim6detail25device_scan_by_key_kernelILNS0_25lookback_scan_determinismE0ELb0ENS0_26wrapped_scan_by_key_configINS_14default_configEiiEEPiN6hipcub22TransformInputIteratorIiNS7_6CastOpIiEES6_lEEPdiNS7_8EqualityENS7_3SumENS0_19lookback_scan_stateINS_5tupleIJibEEELb0ELb1EEEiEEvT2_T3_T4_T5_T6_T7_T8_mmmPKNSG_IJT9_bEEE.numbered_sgpr, 58
	.set _ZN7rocprim6detail25device_scan_by_key_kernelILNS0_25lookback_scan_determinismE0ELb0ENS0_26wrapped_scan_by_key_configINS_14default_configEiiEEPiN6hipcub22TransformInputIteratorIiNS7_6CastOpIiEES6_lEEPdiNS7_8EqualityENS7_3SumENS0_19lookback_scan_stateINS_5tupleIJibEEELb0ELb1EEEiEEvT2_T3_T4_T5_T6_T7_T8_mmmPKNSG_IJT9_bEEE.num_named_barrier, 0
	.set _ZN7rocprim6detail25device_scan_by_key_kernelILNS0_25lookback_scan_determinismE0ELb0ENS0_26wrapped_scan_by_key_configINS_14default_configEiiEEPiN6hipcub22TransformInputIteratorIiNS7_6CastOpIiEES6_lEEPdiNS7_8EqualityENS7_3SumENS0_19lookback_scan_stateINS_5tupleIJibEEELb0ELb1EEEiEEvT2_T3_T4_T5_T6_T7_T8_mmmPKNSG_IJT9_bEEE.private_seg_size, 0
	.set _ZN7rocprim6detail25device_scan_by_key_kernelILNS0_25lookback_scan_determinismE0ELb0ENS0_26wrapped_scan_by_key_configINS_14default_configEiiEEPiN6hipcub22TransformInputIteratorIiNS7_6CastOpIiEES6_lEEPdiNS7_8EqualityENS7_3SumENS0_19lookback_scan_stateINS_5tupleIJibEEELb0ELb1EEEiEEvT2_T3_T4_T5_T6_T7_T8_mmmPKNSG_IJT9_bEEE.uses_vcc, 1
	.set _ZN7rocprim6detail25device_scan_by_key_kernelILNS0_25lookback_scan_determinismE0ELb0ENS0_26wrapped_scan_by_key_configINS_14default_configEiiEEPiN6hipcub22TransformInputIteratorIiNS7_6CastOpIiEES6_lEEPdiNS7_8EqualityENS7_3SumENS0_19lookback_scan_stateINS_5tupleIJibEEELb0ELb1EEEiEEvT2_T3_T4_T5_T6_T7_T8_mmmPKNSG_IJT9_bEEE.uses_flat_scratch, 0
	.set _ZN7rocprim6detail25device_scan_by_key_kernelILNS0_25lookback_scan_determinismE0ELb0ENS0_26wrapped_scan_by_key_configINS_14default_configEiiEEPiN6hipcub22TransformInputIteratorIiNS7_6CastOpIiEES6_lEEPdiNS7_8EqualityENS7_3SumENS0_19lookback_scan_stateINS_5tupleIJibEEELb0ELb1EEEiEEvT2_T3_T4_T5_T6_T7_T8_mmmPKNSG_IJT9_bEEE.has_dyn_sized_stack, 0
	.set _ZN7rocprim6detail25device_scan_by_key_kernelILNS0_25lookback_scan_determinismE0ELb0ENS0_26wrapped_scan_by_key_configINS_14default_configEiiEEPiN6hipcub22TransformInputIteratorIiNS7_6CastOpIiEES6_lEEPdiNS7_8EqualityENS7_3SumENS0_19lookback_scan_stateINS_5tupleIJibEEELb0ELb1EEEiEEvT2_T3_T4_T5_T6_T7_T8_mmmPKNSG_IJT9_bEEE.has_recursion, 0
	.set _ZN7rocprim6detail25device_scan_by_key_kernelILNS0_25lookback_scan_determinismE0ELb0ENS0_26wrapped_scan_by_key_configINS_14default_configEiiEEPiN6hipcub22TransformInputIteratorIiNS7_6CastOpIiEES6_lEEPdiNS7_8EqualityENS7_3SumENS0_19lookback_scan_stateINS_5tupleIJibEEELb0ELb1EEEiEEvT2_T3_T4_T5_T6_T7_T8_mmmPKNSG_IJT9_bEEE.has_indirect_call, 0
	.section	.AMDGPU.csdata,"",@progbits
; Kernel info:
; codeLenInByte = 12656
; TotalNumSgprs: 62
; NumVgprs: 73
; ScratchSize: 0
; MemoryBound: 0
; FloatMode: 240
; IeeeMode: 1
; LDSByteSize: 17408 bytes/workgroup (compile time only)
; SGPRBlocks: 12
; VGPRBlocks: 18
; NumSGPRsForWavesPerEU: 102
; NumVGPRsForWavesPerEU: 73
; Occupancy: 3
; WaveLimiterHint : 1
; COMPUTE_PGM_RSRC2:SCRATCH_EN: 0
; COMPUTE_PGM_RSRC2:USER_SGPR: 6
; COMPUTE_PGM_RSRC2:TRAP_HANDLER: 0
; COMPUTE_PGM_RSRC2:TGID_X_EN: 1
; COMPUTE_PGM_RSRC2:TGID_Y_EN: 0
; COMPUTE_PGM_RSRC2:TGID_Z_EN: 0
; COMPUTE_PGM_RSRC2:TIDIG_COMP_CNT: 0
	.section	.text._ZN7rocprim6detail25device_scan_by_key_kernelILNS0_25lookback_scan_determinismE0ELb0ENS0_26wrapped_scan_by_key_configINS_14default_configEiiEEPiN6hipcub22TransformInputIteratorIsNS7_6CastOpIsEEPslEEPfsNS7_8EqualityENS7_3SumENS0_19lookback_scan_stateINS_5tupleIJibEEELb1ELb1EEEiEEvT2_T3_T4_T5_T6_T7_T8_mmmPKNSH_IJT9_bEEE,"axG",@progbits,_ZN7rocprim6detail25device_scan_by_key_kernelILNS0_25lookback_scan_determinismE0ELb0ENS0_26wrapped_scan_by_key_configINS_14default_configEiiEEPiN6hipcub22TransformInputIteratorIsNS7_6CastOpIsEEPslEEPfsNS7_8EqualityENS7_3SumENS0_19lookback_scan_stateINS_5tupleIJibEEELb1ELb1EEEiEEvT2_T3_T4_T5_T6_T7_T8_mmmPKNSH_IJT9_bEEE,comdat
	.protected	_ZN7rocprim6detail25device_scan_by_key_kernelILNS0_25lookback_scan_determinismE0ELb0ENS0_26wrapped_scan_by_key_configINS_14default_configEiiEEPiN6hipcub22TransformInputIteratorIsNS7_6CastOpIsEEPslEEPfsNS7_8EqualityENS7_3SumENS0_19lookback_scan_stateINS_5tupleIJibEEELb1ELb1EEEiEEvT2_T3_T4_T5_T6_T7_T8_mmmPKNSH_IJT9_bEEE ; -- Begin function _ZN7rocprim6detail25device_scan_by_key_kernelILNS0_25lookback_scan_determinismE0ELb0ENS0_26wrapped_scan_by_key_configINS_14default_configEiiEEPiN6hipcub22TransformInputIteratorIsNS7_6CastOpIsEEPslEEPfsNS7_8EqualityENS7_3SumENS0_19lookback_scan_stateINS_5tupleIJibEEELb1ELb1EEEiEEvT2_T3_T4_T5_T6_T7_T8_mmmPKNSH_IJT9_bEEE
	.globl	_ZN7rocprim6detail25device_scan_by_key_kernelILNS0_25lookback_scan_determinismE0ELb0ENS0_26wrapped_scan_by_key_configINS_14default_configEiiEEPiN6hipcub22TransformInputIteratorIsNS7_6CastOpIsEEPslEEPfsNS7_8EqualityENS7_3SumENS0_19lookback_scan_stateINS_5tupleIJibEEELb1ELb1EEEiEEvT2_T3_T4_T5_T6_T7_T8_mmmPKNSH_IJT9_bEEE
	.p2align	8
	.type	_ZN7rocprim6detail25device_scan_by_key_kernelILNS0_25lookback_scan_determinismE0ELb0ENS0_26wrapped_scan_by_key_configINS_14default_configEiiEEPiN6hipcub22TransformInputIteratorIsNS7_6CastOpIsEEPslEEPfsNS7_8EqualityENS7_3SumENS0_19lookback_scan_stateINS_5tupleIJibEEELb1ELb1EEEiEEvT2_T3_T4_T5_T6_T7_T8_mmmPKNSH_IJT9_bEEE,@function
_ZN7rocprim6detail25device_scan_by_key_kernelILNS0_25lookback_scan_determinismE0ELb0ENS0_26wrapped_scan_by_key_configINS_14default_configEiiEEPiN6hipcub22TransformInputIteratorIsNS7_6CastOpIsEEPslEEPfsNS7_8EqualityENS7_3SumENS0_19lookback_scan_stateINS_5tupleIJibEEELb1ELb1EEEiEEvT2_T3_T4_T5_T6_T7_T8_mmmPKNSH_IJT9_bEEE: ; @_ZN7rocprim6detail25device_scan_by_key_kernelILNS0_25lookback_scan_determinismE0ELb0ENS0_26wrapped_scan_by_key_configINS_14default_configEiiEEPiN6hipcub22TransformInputIteratorIsNS7_6CastOpIsEEPslEEPfsNS7_8EqualityENS7_3SumENS0_19lookback_scan_stateINS_5tupleIJibEEELb1ELb1EEEiEEvT2_T3_T4_T5_T6_T7_T8_mmmPKNSH_IJT9_bEEE
; %bb.0:
	s_endpgm
	.section	.rodata,"a",@progbits
	.p2align	6, 0x0
	.amdhsa_kernel _ZN7rocprim6detail25device_scan_by_key_kernelILNS0_25lookback_scan_determinismE0ELb0ENS0_26wrapped_scan_by_key_configINS_14default_configEiiEEPiN6hipcub22TransformInputIteratorIsNS7_6CastOpIsEEPslEEPfsNS7_8EqualityENS7_3SumENS0_19lookback_scan_stateINS_5tupleIJibEEELb1ELb1EEEiEEvT2_T3_T4_T5_T6_T7_T8_mmmPKNSH_IJT9_bEEE
		.amdhsa_group_segment_fixed_size 0
		.amdhsa_private_segment_fixed_size 0
		.amdhsa_kernarg_size 80
		.amdhsa_user_sgpr_count 6
		.amdhsa_user_sgpr_private_segment_buffer 1
		.amdhsa_user_sgpr_dispatch_ptr 0
		.amdhsa_user_sgpr_queue_ptr 0
		.amdhsa_user_sgpr_kernarg_segment_ptr 1
		.amdhsa_user_sgpr_dispatch_id 0
		.amdhsa_user_sgpr_flat_scratch_init 0
		.amdhsa_user_sgpr_private_segment_size 0
		.amdhsa_uses_dynamic_stack 0
		.amdhsa_system_sgpr_private_segment_wavefront_offset 0
		.amdhsa_system_sgpr_workgroup_id_x 1
		.amdhsa_system_sgpr_workgroup_id_y 0
		.amdhsa_system_sgpr_workgroup_id_z 0
		.amdhsa_system_sgpr_workgroup_info 0
		.amdhsa_system_vgpr_workitem_id 0
		.amdhsa_next_free_vgpr 1
		.amdhsa_next_free_sgpr 0
		.amdhsa_reserve_vcc 0
		.amdhsa_reserve_flat_scratch 0
		.amdhsa_float_round_mode_32 0
		.amdhsa_float_round_mode_16_64 0
		.amdhsa_float_denorm_mode_32 3
		.amdhsa_float_denorm_mode_16_64 3
		.amdhsa_dx10_clamp 1
		.amdhsa_ieee_mode 1
		.amdhsa_fp16_overflow 0
		.amdhsa_exception_fp_ieee_invalid_op 0
		.amdhsa_exception_fp_denorm_src 0
		.amdhsa_exception_fp_ieee_div_zero 0
		.amdhsa_exception_fp_ieee_overflow 0
		.amdhsa_exception_fp_ieee_underflow 0
		.amdhsa_exception_fp_ieee_inexact 0
		.amdhsa_exception_int_div_zero 0
	.end_amdhsa_kernel
	.section	.text._ZN7rocprim6detail25device_scan_by_key_kernelILNS0_25lookback_scan_determinismE0ELb0ENS0_26wrapped_scan_by_key_configINS_14default_configEiiEEPiN6hipcub22TransformInputIteratorIsNS7_6CastOpIsEEPslEEPfsNS7_8EqualityENS7_3SumENS0_19lookback_scan_stateINS_5tupleIJibEEELb1ELb1EEEiEEvT2_T3_T4_T5_T6_T7_T8_mmmPKNSH_IJT9_bEEE,"axG",@progbits,_ZN7rocprim6detail25device_scan_by_key_kernelILNS0_25lookback_scan_determinismE0ELb0ENS0_26wrapped_scan_by_key_configINS_14default_configEiiEEPiN6hipcub22TransformInputIteratorIsNS7_6CastOpIsEEPslEEPfsNS7_8EqualityENS7_3SumENS0_19lookback_scan_stateINS_5tupleIJibEEELb1ELb1EEEiEEvT2_T3_T4_T5_T6_T7_T8_mmmPKNSH_IJT9_bEEE,comdat
.Lfunc_end57:
	.size	_ZN7rocprim6detail25device_scan_by_key_kernelILNS0_25lookback_scan_determinismE0ELb0ENS0_26wrapped_scan_by_key_configINS_14default_configEiiEEPiN6hipcub22TransformInputIteratorIsNS7_6CastOpIsEEPslEEPfsNS7_8EqualityENS7_3SumENS0_19lookback_scan_stateINS_5tupleIJibEEELb1ELb1EEEiEEvT2_T3_T4_T5_T6_T7_T8_mmmPKNSH_IJT9_bEEE, .Lfunc_end57-_ZN7rocprim6detail25device_scan_by_key_kernelILNS0_25lookback_scan_determinismE0ELb0ENS0_26wrapped_scan_by_key_configINS_14default_configEiiEEPiN6hipcub22TransformInputIteratorIsNS7_6CastOpIsEEPslEEPfsNS7_8EqualityENS7_3SumENS0_19lookback_scan_stateINS_5tupleIJibEEELb1ELb1EEEiEEvT2_T3_T4_T5_T6_T7_T8_mmmPKNSH_IJT9_bEEE
                                        ; -- End function
	.set _ZN7rocprim6detail25device_scan_by_key_kernelILNS0_25lookback_scan_determinismE0ELb0ENS0_26wrapped_scan_by_key_configINS_14default_configEiiEEPiN6hipcub22TransformInputIteratorIsNS7_6CastOpIsEEPslEEPfsNS7_8EqualityENS7_3SumENS0_19lookback_scan_stateINS_5tupleIJibEEELb1ELb1EEEiEEvT2_T3_T4_T5_T6_T7_T8_mmmPKNSH_IJT9_bEEE.num_vgpr, 0
	.set _ZN7rocprim6detail25device_scan_by_key_kernelILNS0_25lookback_scan_determinismE0ELb0ENS0_26wrapped_scan_by_key_configINS_14default_configEiiEEPiN6hipcub22TransformInputIteratorIsNS7_6CastOpIsEEPslEEPfsNS7_8EqualityENS7_3SumENS0_19lookback_scan_stateINS_5tupleIJibEEELb1ELb1EEEiEEvT2_T3_T4_T5_T6_T7_T8_mmmPKNSH_IJT9_bEEE.num_agpr, 0
	.set _ZN7rocprim6detail25device_scan_by_key_kernelILNS0_25lookback_scan_determinismE0ELb0ENS0_26wrapped_scan_by_key_configINS_14default_configEiiEEPiN6hipcub22TransformInputIteratorIsNS7_6CastOpIsEEPslEEPfsNS7_8EqualityENS7_3SumENS0_19lookback_scan_stateINS_5tupleIJibEEELb1ELb1EEEiEEvT2_T3_T4_T5_T6_T7_T8_mmmPKNSH_IJT9_bEEE.numbered_sgpr, 0
	.set _ZN7rocprim6detail25device_scan_by_key_kernelILNS0_25lookback_scan_determinismE0ELb0ENS0_26wrapped_scan_by_key_configINS_14default_configEiiEEPiN6hipcub22TransformInputIteratorIsNS7_6CastOpIsEEPslEEPfsNS7_8EqualityENS7_3SumENS0_19lookback_scan_stateINS_5tupleIJibEEELb1ELb1EEEiEEvT2_T3_T4_T5_T6_T7_T8_mmmPKNSH_IJT9_bEEE.num_named_barrier, 0
	.set _ZN7rocprim6detail25device_scan_by_key_kernelILNS0_25lookback_scan_determinismE0ELb0ENS0_26wrapped_scan_by_key_configINS_14default_configEiiEEPiN6hipcub22TransformInputIteratorIsNS7_6CastOpIsEEPslEEPfsNS7_8EqualityENS7_3SumENS0_19lookback_scan_stateINS_5tupleIJibEEELb1ELb1EEEiEEvT2_T3_T4_T5_T6_T7_T8_mmmPKNSH_IJT9_bEEE.private_seg_size, 0
	.set _ZN7rocprim6detail25device_scan_by_key_kernelILNS0_25lookback_scan_determinismE0ELb0ENS0_26wrapped_scan_by_key_configINS_14default_configEiiEEPiN6hipcub22TransformInputIteratorIsNS7_6CastOpIsEEPslEEPfsNS7_8EqualityENS7_3SumENS0_19lookback_scan_stateINS_5tupleIJibEEELb1ELb1EEEiEEvT2_T3_T4_T5_T6_T7_T8_mmmPKNSH_IJT9_bEEE.uses_vcc, 0
	.set _ZN7rocprim6detail25device_scan_by_key_kernelILNS0_25lookback_scan_determinismE0ELb0ENS0_26wrapped_scan_by_key_configINS_14default_configEiiEEPiN6hipcub22TransformInputIteratorIsNS7_6CastOpIsEEPslEEPfsNS7_8EqualityENS7_3SumENS0_19lookback_scan_stateINS_5tupleIJibEEELb1ELb1EEEiEEvT2_T3_T4_T5_T6_T7_T8_mmmPKNSH_IJT9_bEEE.uses_flat_scratch, 0
	.set _ZN7rocprim6detail25device_scan_by_key_kernelILNS0_25lookback_scan_determinismE0ELb0ENS0_26wrapped_scan_by_key_configINS_14default_configEiiEEPiN6hipcub22TransformInputIteratorIsNS7_6CastOpIsEEPslEEPfsNS7_8EqualityENS7_3SumENS0_19lookback_scan_stateINS_5tupleIJibEEELb1ELb1EEEiEEvT2_T3_T4_T5_T6_T7_T8_mmmPKNSH_IJT9_bEEE.has_dyn_sized_stack, 0
	.set _ZN7rocprim6detail25device_scan_by_key_kernelILNS0_25lookback_scan_determinismE0ELb0ENS0_26wrapped_scan_by_key_configINS_14default_configEiiEEPiN6hipcub22TransformInputIteratorIsNS7_6CastOpIsEEPslEEPfsNS7_8EqualityENS7_3SumENS0_19lookback_scan_stateINS_5tupleIJibEEELb1ELb1EEEiEEvT2_T3_T4_T5_T6_T7_T8_mmmPKNSH_IJT9_bEEE.has_recursion, 0
	.set _ZN7rocprim6detail25device_scan_by_key_kernelILNS0_25lookback_scan_determinismE0ELb0ENS0_26wrapped_scan_by_key_configINS_14default_configEiiEEPiN6hipcub22TransformInputIteratorIsNS7_6CastOpIsEEPslEEPfsNS7_8EqualityENS7_3SumENS0_19lookback_scan_stateINS_5tupleIJibEEELb1ELb1EEEiEEvT2_T3_T4_T5_T6_T7_T8_mmmPKNSH_IJT9_bEEE.has_indirect_call, 0
	.section	.AMDGPU.csdata,"",@progbits
; Kernel info:
; codeLenInByte = 4
; TotalNumSgprs: 4
; NumVgprs: 0
; ScratchSize: 0
; MemoryBound: 0
; FloatMode: 240
; IeeeMode: 1
; LDSByteSize: 0 bytes/workgroup (compile time only)
; SGPRBlocks: 0
; VGPRBlocks: 0
; NumSGPRsForWavesPerEU: 4
; NumVGPRsForWavesPerEU: 1
; Occupancy: 10
; WaveLimiterHint : 0
; COMPUTE_PGM_RSRC2:SCRATCH_EN: 0
; COMPUTE_PGM_RSRC2:USER_SGPR: 6
; COMPUTE_PGM_RSRC2:TRAP_HANDLER: 0
; COMPUTE_PGM_RSRC2:TGID_X_EN: 1
; COMPUTE_PGM_RSRC2:TGID_Y_EN: 0
; COMPUTE_PGM_RSRC2:TGID_Z_EN: 0
; COMPUTE_PGM_RSRC2:TIDIG_COMP_CNT: 0
	.section	.text._ZN7rocprim6detail25device_scan_by_key_kernelILNS0_25lookback_scan_determinismE0ELb0ENS0_26wrapped_scan_by_key_configINS_14default_configEiiEEPiN6hipcub22TransformInputIteratorIsNS7_6CastOpIsEEPslEEPfsNS7_8EqualityENS7_3SumENS0_19lookback_scan_stateINS_5tupleIJibEEELb0ELb1EEEiEEvT2_T3_T4_T5_T6_T7_T8_mmmPKNSH_IJT9_bEEE,"axG",@progbits,_ZN7rocprim6detail25device_scan_by_key_kernelILNS0_25lookback_scan_determinismE0ELb0ENS0_26wrapped_scan_by_key_configINS_14default_configEiiEEPiN6hipcub22TransformInputIteratorIsNS7_6CastOpIsEEPslEEPfsNS7_8EqualityENS7_3SumENS0_19lookback_scan_stateINS_5tupleIJibEEELb0ELb1EEEiEEvT2_T3_T4_T5_T6_T7_T8_mmmPKNSH_IJT9_bEEE,comdat
	.protected	_ZN7rocprim6detail25device_scan_by_key_kernelILNS0_25lookback_scan_determinismE0ELb0ENS0_26wrapped_scan_by_key_configINS_14default_configEiiEEPiN6hipcub22TransformInputIteratorIsNS7_6CastOpIsEEPslEEPfsNS7_8EqualityENS7_3SumENS0_19lookback_scan_stateINS_5tupleIJibEEELb0ELb1EEEiEEvT2_T3_T4_T5_T6_T7_T8_mmmPKNSH_IJT9_bEEE ; -- Begin function _ZN7rocprim6detail25device_scan_by_key_kernelILNS0_25lookback_scan_determinismE0ELb0ENS0_26wrapped_scan_by_key_configINS_14default_configEiiEEPiN6hipcub22TransformInputIteratorIsNS7_6CastOpIsEEPslEEPfsNS7_8EqualityENS7_3SumENS0_19lookback_scan_stateINS_5tupleIJibEEELb0ELb1EEEiEEvT2_T3_T4_T5_T6_T7_T8_mmmPKNSH_IJT9_bEEE
	.globl	_ZN7rocprim6detail25device_scan_by_key_kernelILNS0_25lookback_scan_determinismE0ELb0ENS0_26wrapped_scan_by_key_configINS_14default_configEiiEEPiN6hipcub22TransformInputIteratorIsNS7_6CastOpIsEEPslEEPfsNS7_8EqualityENS7_3SumENS0_19lookback_scan_stateINS_5tupleIJibEEELb0ELb1EEEiEEvT2_T3_T4_T5_T6_T7_T8_mmmPKNSH_IJT9_bEEE
	.p2align	8
	.type	_ZN7rocprim6detail25device_scan_by_key_kernelILNS0_25lookback_scan_determinismE0ELb0ENS0_26wrapped_scan_by_key_configINS_14default_configEiiEEPiN6hipcub22TransformInputIteratorIsNS7_6CastOpIsEEPslEEPfsNS7_8EqualityENS7_3SumENS0_19lookback_scan_stateINS_5tupleIJibEEELb0ELb1EEEiEEvT2_T3_T4_T5_T6_T7_T8_mmmPKNSH_IJT9_bEEE,@function
_ZN7rocprim6detail25device_scan_by_key_kernelILNS0_25lookback_scan_determinismE0ELb0ENS0_26wrapped_scan_by_key_configINS_14default_configEiiEEPiN6hipcub22TransformInputIteratorIsNS7_6CastOpIsEEPslEEPfsNS7_8EqualityENS7_3SumENS0_19lookback_scan_stateINS_5tupleIJibEEELb0ELb1EEEiEEvT2_T3_T4_T5_T6_T7_T8_mmmPKNSH_IJT9_bEEE: ; @_ZN7rocprim6detail25device_scan_by_key_kernelILNS0_25lookback_scan_determinismE0ELb0ENS0_26wrapped_scan_by_key_configINS_14default_configEiiEEPiN6hipcub22TransformInputIteratorIsNS7_6CastOpIsEEPslEEPfsNS7_8EqualityENS7_3SumENS0_19lookback_scan_stateINS_5tupleIJibEEELb0ELb1EEEiEEvT2_T3_T4_T5_T6_T7_T8_mmmPKNSH_IJT9_bEEE
; %bb.0:
	s_load_dwordx4 s[0:3], s[4:5], 0x0
	s_load_dwordx8 s[48:55], s[4:5], 0x28
	s_load_dwordx2 s[56:57], s[4:5], 0x48
	s_mul_i32 s8, s6, 0xf00
	s_mov_b32 s9, 0
	s_lshl_b64 s[46:47], s[8:9], 2
	s_waitcnt lgkmcnt(0)
	s_add_u32 s40, s0, s46
	s_addc_u32 s41, s1, s47
	s_lshl_b64 s[0:1], s[8:9], 1
	s_add_u32 s38, s2, s0
	s_addc_u32 s39, s3, s1
	s_add_u32 s0, s52, s6
	s_addc_u32 s1, s53, 0
	s_add_u32 s8, s54, -1
	s_addc_u32 s9, s55, -1
	v_mov_b32_e32 v1, s8
	v_mov_b32_e32 v2, s9
	v_cmp_ge_u64_e64 s[0:1], s[0:1], v[1:2]
	s_mov_b64 s[2:3], -1
	s_and_b64 vcc, exec, s[0:1]
	s_mul_i32 s33, s8, 0xfffff100
	v_lshlrev_b32_e32 v69, 2, v0
	s_cbranch_vccz .LBB58_78
; %bb.1:
	s_load_dword s42, s[40:41], 0x0
	s_add_i32 s7, s33, s50
	v_mov_b32_e32 v2, s41
	v_add_co_u32_e32 v1, vcc, s40, v69
	v_addc_co_u32_e32 v2, vcc, 0, v2, vcc
	v_cmp_gt_u32_e64 s[2:3], s7, v0
	s_waitcnt lgkmcnt(0)
	v_mov_b32_e32 v3, s42
	s_and_saveexec_b64 s[8:9], s[2:3]
	s_cbranch_execz .LBB58_3
; %bb.2:
	global_load_dword v3, v[1:2], off
.LBB58_3:
	s_or_b64 exec, exec, s[8:9]
	v_or_b32_e32 v4, 0x100, v0
	v_cmp_gt_u32_e64 s[36:37], s7, v4
	v_mov_b32_e32 v4, s42
	s_and_saveexec_b64 s[8:9], s[36:37]
	s_cbranch_execz .LBB58_5
; %bb.4:
	global_load_dword v4, v[1:2], off offset:1024
.LBB58_5:
	s_or_b64 exec, exec, s[8:9]
	v_or_b32_e32 v5, 0x200, v0
	v_cmp_gt_u32_e64 s[8:9], s7, v5
	v_mov_b32_e32 v5, s42
	s_and_saveexec_b64 s[10:11], s[8:9]
	s_cbranch_execz .LBB58_7
; %bb.6:
	global_load_dword v5, v[1:2], off offset:2048
.LBB58_7:
	;; [unrolled: 9-line block ×3, first 2 shown]
	s_or_b64 exec, exec, s[12:13]
	v_or_b32_e32 v7, 0x400, v0
	v_cmp_gt_u32_e64 s[12:13], s7, v7
	v_mov_b32_e32 v7, s42
	s_and_saveexec_b64 s[14:15], s[12:13]
	s_cbranch_execz .LBB58_11
; %bb.10:
	v_add_co_u32_e32 v7, vcc, 0x1000, v1
	v_addc_co_u32_e32 v8, vcc, 0, v2, vcc
	global_load_dword v7, v[7:8], off
.LBB58_11:
	s_or_b64 exec, exec, s[14:15]
	v_or_b32_e32 v8, 0x500, v0
	v_cmp_gt_u32_e64 s[14:15], s7, v8
	v_mov_b32_e32 v8, s42
	s_and_saveexec_b64 s[16:17], s[14:15]
	s_cbranch_execz .LBB58_13
; %bb.12:
	v_add_co_u32_e32 v8, vcc, 0x1000, v1
	v_addc_co_u32_e32 v9, vcc, 0, v2, vcc
	global_load_dword v8, v[8:9], off offset:1024
.LBB58_13:
	s_or_b64 exec, exec, s[16:17]
	v_or_b32_e32 v9, 0x600, v0
	v_cmp_gt_u32_e64 s[16:17], s7, v9
	v_mov_b32_e32 v9, s42
	s_and_saveexec_b64 s[18:19], s[16:17]
	s_cbranch_execz .LBB58_15
; %bb.14:
	v_add_co_u32_e32 v9, vcc, 0x1000, v1
	v_addc_co_u32_e32 v10, vcc, 0, v2, vcc
	global_load_dword v9, v[9:10], off offset:2048
.LBB58_15:
	;; [unrolled: 11-line block ×3, first 2 shown]
	s_or_b64 exec, exec, s[20:21]
	v_or_b32_e32 v11, 0x800, v0
	v_cmp_gt_u32_e64 s[20:21], s7, v11
	v_mov_b32_e32 v11, s42
	s_and_saveexec_b64 s[22:23], s[20:21]
	s_cbranch_execz .LBB58_19
; %bb.18:
	v_add_co_u32_e32 v11, vcc, 0x2000, v1
	v_addc_co_u32_e32 v12, vcc, 0, v2, vcc
	global_load_dword v11, v[11:12], off
.LBB58_19:
	s_or_b64 exec, exec, s[22:23]
	v_or_b32_e32 v12, 0x900, v0
	v_cmp_gt_u32_e64 s[22:23], s7, v12
	v_mov_b32_e32 v12, s42
	s_and_saveexec_b64 s[24:25], s[22:23]
	s_cbranch_execz .LBB58_21
; %bb.20:
	v_add_co_u32_e32 v12, vcc, 0x2000, v1
	v_addc_co_u32_e32 v13, vcc, 0, v2, vcc
	global_load_dword v12, v[12:13], off offset:1024
.LBB58_21:
	s_or_b64 exec, exec, s[24:25]
	v_or_b32_e32 v13, 0xa00, v0
	v_cmp_gt_u32_e64 s[24:25], s7, v13
	v_mov_b32_e32 v13, s42
	s_and_saveexec_b64 s[26:27], s[24:25]
	s_cbranch_execz .LBB58_23
; %bb.22:
	v_add_co_u32_e32 v13, vcc, 0x2000, v1
	v_addc_co_u32_e32 v14, vcc, 0, v2, vcc
	global_load_dword v13, v[13:14], off offset:2048
.LBB58_23:
	;; [unrolled: 11-line block ×3, first 2 shown]
	s_or_b64 exec, exec, s[28:29]
	v_or_b32_e32 v15, 0xc00, v0
	v_cmp_gt_u32_e64 s[28:29], s7, v15
	v_mov_b32_e32 v15, s42
	s_and_saveexec_b64 s[30:31], s[28:29]
	s_cbranch_execz .LBB58_27
; %bb.26:
	v_add_co_u32_e32 v15, vcc, 0x3000, v1
	v_addc_co_u32_e32 v16, vcc, 0, v2, vcc
	global_load_dword v15, v[15:16], off
.LBB58_27:
	s_or_b64 exec, exec, s[30:31]
	v_or_b32_e32 v16, 0xd00, v0
	v_cmp_gt_u32_e64 s[30:31], s7, v16
	v_mov_b32_e32 v16, s42
	s_and_saveexec_b64 s[34:35], s[30:31]
	s_cbranch_execz .LBB58_29
; %bb.28:
	v_add_co_u32_e32 v16, vcc, 0x3000, v1
	v_addc_co_u32_e32 v17, vcc, 0, v2, vcc
	global_load_dword v16, v[16:17], off offset:1024
.LBB58_29:
	s_or_b64 exec, exec, s[34:35]
	v_or_b32_e32 v17, 0xe00, v0
	v_cmp_gt_u32_e64 s[34:35], s7, v17
	v_mov_b32_e32 v17, s42
	s_and_saveexec_b64 s[42:43], s[34:35]
	s_cbranch_execz .LBB58_31
; %bb.30:
	v_add_co_u32_e32 v1, vcc, 0x3000, v1
	v_addc_co_u32_e32 v2, vcc, 0, v2, vcc
	global_load_dword v17, v[1:2], off offset:2048
.LBB58_31:
	s_or_b64 exec, exec, s[42:43]
	s_sub_u32 s42, 0, s6
	s_subb_u32 s43, 0, 0
	s_cmp_eq_u64 s[52:53], s[42:43]
	s_cselect_b32 s42, 0, -4
	s_cselect_b32 s43, 0, -1
	s_add_u32 s42, s40, s42
	v_mad_u32_u24 v55, v0, 56, v69
	s_addc_u32 s43, s41, s43
	s_waitcnt vmcnt(0)
	ds_write2st64_b32 v69, v3, v4 offset1:4
	ds_write2st64_b32 v69, v5, v6 offset0:8 offset1:12
	ds_write2st64_b32 v69, v7, v8 offset0:16 offset1:20
	;; [unrolled: 1-line block ×6, first 2 shown]
	ds_write_b32 v69, v17 offset:14336
	s_waitcnt lgkmcnt(0)
	s_barrier
	ds_read2_b32 v[67:68], v55 offset1:1
	ds_read2_b32 v[65:66], v55 offset0:2 offset1:3
	ds_read2_b32 v[63:64], v55 offset0:4 offset1:5
	;; [unrolled: 1-line block ×6, first 2 shown]
	ds_read_b32 v70, v55 offset:56
	s_load_dword s42, s[42:43], 0x0
	s_movk_i32 s43, 0xffc8
	v_mad_i32_i24 v1, v0, s43, v55
	v_cmp_ne_u32_e32 vcc, 0, v0
	s_waitcnt lgkmcnt(0)
	ds_write_b32 v1, v70 offset:15360
	v_mov_b32_e32 v72, s42
	s_waitcnt lgkmcnt(0)
	s_barrier
	s_and_saveexec_b64 s[42:43], vcc
; %bb.32:
	v_mul_i32_i24_e32 v1, 0xffffffc8, v0
	v_add_u32_e32 v1, v55, v1
	ds_read_b32 v72, v1 offset:15356
; %bb.33:
	s_or_b64 exec, exec, s[42:43]
	v_lshlrev_b32_e32 v1, 1, v0
	v_mov_b32_e32 v2, s39
	v_add_co_u32_e32 v1, vcc, s38, v1
	v_addc_co_u32_e32 v2, vcc, 0, v2, vcc
	s_waitcnt lgkmcnt(0)
	s_barrier
                                        ; implicit-def: $vgpr3
	s_and_saveexec_b64 s[42:43], s[2:3]
	s_cbranch_execnz .LBB58_198
; %bb.34:
	s_or_b64 exec, exec, s[42:43]
                                        ; implicit-def: $vgpr4
	s_and_saveexec_b64 s[2:3], s[36:37]
	s_cbranch_execnz .LBB58_199
.LBB58_35:
	s_or_b64 exec, exec, s[2:3]
                                        ; implicit-def: $vgpr5
	s_and_saveexec_b64 s[2:3], s[8:9]
	s_cbranch_execnz .LBB58_200
.LBB58_36:
	s_or_b64 exec, exec, s[2:3]
                                        ; implicit-def: $vgpr6
	s_and_saveexec_b64 s[2:3], s[10:11]
	s_cbranch_execnz .LBB58_201
.LBB58_37:
	s_or_b64 exec, exec, s[2:3]
                                        ; implicit-def: $vgpr7
	s_and_saveexec_b64 s[2:3], s[12:13]
	s_cbranch_execnz .LBB58_202
.LBB58_38:
	s_or_b64 exec, exec, s[2:3]
                                        ; implicit-def: $vgpr8
	s_and_saveexec_b64 s[2:3], s[14:15]
	s_cbranch_execnz .LBB58_203
.LBB58_39:
	s_or_b64 exec, exec, s[2:3]
                                        ; implicit-def: $vgpr9
	s_and_saveexec_b64 s[2:3], s[16:17]
	s_cbranch_execnz .LBB58_204
.LBB58_40:
	s_or_b64 exec, exec, s[2:3]
                                        ; implicit-def: $vgpr10
	s_and_saveexec_b64 s[2:3], s[18:19]
	s_cbranch_execnz .LBB58_205
.LBB58_41:
	s_or_b64 exec, exec, s[2:3]
                                        ; implicit-def: $vgpr11
	s_and_saveexec_b64 s[2:3], s[20:21]
	s_cbranch_execnz .LBB58_206
.LBB58_42:
	s_or_b64 exec, exec, s[2:3]
                                        ; implicit-def: $vgpr12
	s_and_saveexec_b64 s[2:3], s[22:23]
	s_cbranch_execnz .LBB58_207
.LBB58_43:
	s_or_b64 exec, exec, s[2:3]
                                        ; implicit-def: $vgpr13
	s_and_saveexec_b64 s[2:3], s[24:25]
	s_cbranch_execnz .LBB58_208
.LBB58_44:
	s_or_b64 exec, exec, s[2:3]
                                        ; implicit-def: $vgpr14
	s_and_saveexec_b64 s[2:3], s[26:27]
	s_cbranch_execnz .LBB58_209
.LBB58_45:
	s_or_b64 exec, exec, s[2:3]
                                        ; implicit-def: $vgpr15
	s_and_saveexec_b64 s[2:3], s[28:29]
	s_cbranch_execnz .LBB58_210
.LBB58_46:
	s_or_b64 exec, exec, s[2:3]
                                        ; implicit-def: $vgpr16
	s_and_saveexec_b64 s[2:3], s[30:31]
	s_cbranch_execnz .LBB58_211
.LBB58_47:
	s_or_b64 exec, exec, s[2:3]
                                        ; implicit-def: $vgpr17
	s_and_saveexec_b64 s[2:3], s[34:35]
	s_cbranch_execz .LBB58_49
.LBB58_48:
	v_add_co_u32_e32 v1, vcc, 0x1000, v1
	v_addc_co_u32_e32 v2, vcc, 0, v2, vcc
	global_load_sshort v17, v[1:2], off offset:3072
.LBB58_49:
	s_or_b64 exec, exec, s[2:3]
	s_waitcnt vmcnt(0)
	ds_write2st64_b32 v69, v3, v4 offset1:4
	ds_write2st64_b32 v69, v5, v6 offset0:8 offset1:12
	ds_write2st64_b32 v69, v7, v8 offset0:16 offset1:20
	;; [unrolled: 1-line block ×6, first 2 shown]
	ds_write_b32 v69, v17 offset:14336
	v_mul_u32_u24_e32 v71, 15, v0
	v_mov_b32_e32 v9, 0
	v_mov_b32_e32 v1, 0
	v_mov_b32_e32 v3, 0
	v_mov_b32_e32 v5, 0
	v_mov_b32_e32 v7, 0
	v_mov_b32_e32 v39, 0
	v_mov_b32_e32 v41, 0
	v_mov_b32_e32 v43, 0
	v_mov_b32_e32 v45, 0
	v_mov_b32_e32 v47, 0
	v_mov_b32_e32 v49, 0
	v_mov_b32_e32 v51, 0
	v_mov_b32_e32 v53, 0
	v_mov_b32_e32 v35, 0
	v_mov_b32_e32 v33, 0
	v_mov_b32_e32 v31, 0
	v_mov_b32_e32 v29, 0
	v_mov_b32_e32 v27, 0
	v_mov_b32_e32 v25, 0
	v_mov_b32_e32 v23, 0
	v_mov_b32_e32 v21, 0
	v_mov_b32_e32 v19, 0
	v_mov_b32_e32 v17, 0
	v_mov_b32_e32 v15, 0
	v_mov_b32_e32 v13, 0
	v_mov_b32_e32 v11, 0
	v_cmp_gt_u32_e32 vcc, s7, v71
	s_mov_b64 s[2:3], 0
	v_mov_b32_e32 v10, 0
	v_mov_b32_e32 v2, 0
	;; [unrolled: 1-line block ×26, first 2 shown]
	s_mov_b64 s[12:13], 0
	s_waitcnt lgkmcnt(0)
	s_barrier
                                        ; implicit-def: $sgpr8_sgpr9
                                        ; implicit-def: $vgpr56
	s_and_saveexec_b64 s[10:11], vcc
	s_cbranch_execz .LBB58_77
; %bb.50:
	ds_read_b32 v9, v55
	v_cmp_ne_u32_e32 vcc, v72, v67
	v_add_u32_e32 v1, 1, v71
	v_cndmask_b32_e64 v10, 0, 1, vcc
	v_cmp_gt_u32_e32 vcc, s7, v1
	v_mov_b32_e32 v1, 0
	v_mov_b32_e32 v3, 0
	;; [unrolled: 1-line block ×48, first 2 shown]
	s_mov_b64 s[14:15], 0
                                        ; implicit-def: $sgpr8_sgpr9
                                        ; implicit-def: $vgpr56
	s_and_saveexec_b64 s[12:13], vcc
	s_cbranch_execz .LBB58_76
; %bb.51:
	ds_read2_b32 v[1:2], v55 offset0:1 offset1:2
	v_cmp_ne_u32_e32 vcc, v67, v68
	v_add_u32_e32 v3, 2, v71
	v_cndmask_b32_e64 v33, 0, 1, vcc
	v_cmp_gt_u32_e32 vcc, s7, v3
	v_mov_b32_e32 v3, 0
	v_mov_b32_e32 v5, 0
	;; [unrolled: 1-line block ×44, first 2 shown]
	s_mov_b64 s[16:17], 0
                                        ; implicit-def: $sgpr8_sgpr9
                                        ; implicit-def: $vgpr56
	s_and_saveexec_b64 s[14:15], vcc
	s_cbranch_execz .LBB58_75
; %bb.52:
	v_cmp_ne_u32_e32 vcc, v68, v65
	v_add_u32_e32 v3, 3, v71
	v_mov_b32_e32 v5, 0
	v_mov_b32_e32 v7, 0
	;; [unrolled: 1-line block ×20, first 2 shown]
	v_cndmask_b32_e64 v4, 0, 1, vcc
	v_cmp_gt_u32_e32 vcc, s7, v3
	v_mov_b32_e32 v6, 0
	v_mov_b32_e32 v8, 0
	;; [unrolled: 1-line block ×20, first 2 shown]
	s_mov_b64 s[18:19], 0
                                        ; implicit-def: $sgpr8_sgpr9
                                        ; implicit-def: $vgpr56
	s_and_saveexec_b64 s[16:17], vcc
	s_cbranch_execz .LBB58_74
; %bb.53:
	ds_read2_b32 v[5:6], v55 offset0:3 offset1:4
	v_cmp_ne_u32_e32 vcc, v65, v66
	v_add_u32_e32 v7, 4, v71
	v_cndmask_b32_e64 v3, 0, 1, vcc
	v_cmp_gt_u32_e32 vcc, s7, v7
	v_mov_b32_e32 v7, 0
	v_mov_b32_e32 v39, 0
	;; [unrolled: 1-line block ×36, first 2 shown]
	s_mov_b64 s[20:21], 0
                                        ; implicit-def: $sgpr8_sgpr9
                                        ; implicit-def: $vgpr56
	s_and_saveexec_b64 s[18:19], vcc
	s_cbranch_execz .LBB58_73
; %bb.54:
	v_cmp_ne_u32_e32 vcc, v66, v63
	v_add_u32_e32 v7, 5, v71
	v_mov_b32_e32 v39, 0
	v_mov_b32_e32 v41, 0
	;; [unrolled: 1-line block ×16, first 2 shown]
	v_cndmask_b32_e64 v8, 0, 1, vcc
	v_cmp_gt_u32_e32 vcc, s7, v7
	v_mov_b32_e32 v40, 0
	v_mov_b32_e32 v42, 0
	;; [unrolled: 1-line block ×16, first 2 shown]
	s_mov_b64 s[22:23], 0
                                        ; implicit-def: $sgpr8_sgpr9
                                        ; implicit-def: $vgpr56
	s_and_saveexec_b64 s[20:21], vcc
	s_cbranch_execz .LBB58_72
; %bb.55:
	ds_read2_b32 v[39:40], v55 offset0:5 offset1:6
	v_cmp_ne_u32_e32 vcc, v63, v64
	v_add_u32_e32 v11, 6, v71
	v_cndmask_b32_e64 v7, 0, 1, vcc
	v_cmp_gt_u32_e32 vcc, s7, v11
	v_mov_b32_e32 v41, 0
	v_mov_b32_e32 v43, 0
	;; [unrolled: 1-line block ×28, first 2 shown]
	s_mov_b64 s[24:25], 0
                                        ; implicit-def: $sgpr8_sgpr9
                                        ; implicit-def: $vgpr56
	s_and_saveexec_b64 s[22:23], vcc
	s_cbranch_execz .LBB58_71
; %bb.56:
	v_cmp_ne_u32_e32 vcc, v64, v61
	v_add_u32_e32 v11, 7, v71
	v_cndmask_b32_e64 v42, 0, 1, vcc
	v_cmp_gt_u32_e32 vcc, s7, v11
	v_mov_b32_e32 v43, 0
	v_mov_b32_e32 v45, 0
	;; [unrolled: 1-line block ×24, first 2 shown]
	s_mov_b64 s[26:27], 0
                                        ; implicit-def: $sgpr8_sgpr9
                                        ; implicit-def: $vgpr56
	s_and_saveexec_b64 s[24:25], vcc
	s_cbranch_execz .LBB58_70
; %bb.57:
	ds_read2_b32 v[43:44], v55 offset0:7 offset1:8
	v_cmp_ne_u32_e32 vcc, v61, v62
	v_add_u32_e32 v11, 8, v71
	v_cndmask_b32_e64 v21, 0, 1, vcc
	v_cmp_gt_u32_e32 vcc, s7, v11
	v_mov_b32_e32 v45, 0
	v_mov_b32_e32 v47, 0
	;; [unrolled: 1-line block ×20, first 2 shown]
	s_mov_b64 s[28:29], 0
                                        ; implicit-def: $sgpr8_sgpr9
                                        ; implicit-def: $vgpr56
	s_and_saveexec_b64 s[26:27], vcc
	s_cbranch_execz .LBB58_69
; %bb.58:
	v_cmp_ne_u32_e32 vcc, v62, v59
	v_add_u32_e32 v11, 9, v71
	v_cndmask_b32_e64 v46, 0, 1, vcc
	v_cmp_gt_u32_e32 vcc, s7, v11
	v_mov_b32_e32 v47, 0
	v_mov_b32_e32 v49, 0
	;; [unrolled: 1-line block ×16, first 2 shown]
	s_mov_b64 s[30:31], 0
                                        ; implicit-def: $sgpr8_sgpr9
                                        ; implicit-def: $vgpr56
	s_and_saveexec_b64 s[28:29], vcc
	s_cbranch_execz .LBB58_68
; %bb.59:
	ds_read2_b32 v[47:48], v55 offset0:9 offset1:10
	v_cmp_ne_u32_e32 vcc, v59, v60
	v_add_u32_e32 v11, 10, v71
	v_cndmask_b32_e64 v17, 0, 1, vcc
	v_cmp_gt_u32_e32 vcc, s7, v11
	v_mov_b32_e32 v49, 0
	v_mov_b32_e32 v51, 0
	;; [unrolled: 1-line block ×12, first 2 shown]
	s_mov_b64 s[34:35], 0
                                        ; implicit-def: $sgpr8_sgpr9
                                        ; implicit-def: $vgpr56
	s_and_saveexec_b64 s[30:31], vcc
	s_cbranch_execz .LBB58_67
; %bb.60:
	v_cmp_ne_u32_e32 vcc, v60, v57
	v_add_u32_e32 v11, 11, v71
	v_cndmask_b32_e64 v50, 0, 1, vcc
	v_cmp_gt_u32_e32 vcc, s7, v11
	v_mov_b32_e32 v51, 0
	v_mov_b32_e32 v53, 0
	v_mov_b32_e32 v13, 0
	v_mov_b32_e32 v11, 0
	v_mov_b32_e32 v52, 0
	v_mov_b32_e32 v54, 0
	v_mov_b32_e32 v14, 0
	v_mov_b32_e32 v12, 0
	s_mov_b64 s[36:37], 0
                                        ; implicit-def: $sgpr8_sgpr9
                                        ; implicit-def: $vgpr56
	s_and_saveexec_b64 s[34:35], vcc
	s_cbranch_execz .LBB58_66
; %bb.61:
	ds_read2_b32 v[51:52], v55 offset0:11 offset1:12
	v_cmp_ne_u32_e32 vcc, v57, v58
	v_add_u32_e32 v11, 12, v71
	v_cndmask_b32_e64 v13, 0, 1, vcc
	v_cmp_gt_u32_e32 vcc, s7, v11
	v_mov_b32_e32 v53, 0
	v_mov_b32_e32 v11, 0
	;; [unrolled: 1-line block ×4, first 2 shown]
	s_mov_b64 s[42:43], 0
                                        ; implicit-def: $sgpr8_sgpr9
                                        ; implicit-def: $vgpr56
	s_and_saveexec_b64 s[36:37], vcc
	s_cbranch_execz .LBB58_65
; %bb.62:
	v_cmp_ne_u32_e32 vcc, v58, v37
	v_add_u32_e32 v11, 13, v71
	v_cndmask_b32_e64 v54, 0, 1, vcc
	v_cmp_gt_u32_e32 vcc, s7, v11
	v_mov_b32_e32 v11, 0
	v_mov_b32_e32 v12, 0
                                        ; implicit-def: $sgpr8_sgpr9
                                        ; implicit-def: $vgpr56
	s_and_saveexec_b64 s[44:45], vcc
	s_xor_b64 s[44:45], exec, s[44:45]
	s_cbranch_execz .LBB58_64
; %bb.63:
	ds_read2_b32 v[55:56], v55 offset0:13 offset1:14
	v_cmp_ne_u32_e32 vcc, v37, v38
	v_add_u32_e32 v14, 14, v71
	v_cndmask_b32_e64 v12, 0, 1, vcc
	v_cmp_gt_u32_e32 vcc, s7, v14
	v_cmp_ne_u32_e64 s[8:9], v38, v70
	s_waitcnt lgkmcnt(0)
	v_mov_b32_e32 v11, v55
	s_and_b64 s[42:43], vcc, exec
.LBB58_64:
	s_or_b64 exec, exec, s[44:45]
	s_waitcnt lgkmcnt(0)
	v_mov_b32_e32 v53, v52
	s_and_b64 s[42:43], s[42:43], exec
.LBB58_65:
	s_or_b64 exec, exec, s[36:37]
	s_waitcnt lgkmcnt(0)
	v_mov_b32_e32 v52, v13
	v_mov_b32_e32 v13, v53
	s_and_b64 s[36:37], s[42:43], exec
	v_mov_b32_e32 v14, v54
.LBB58_66:
	s_or_b64 exec, exec, s[34:35]
	v_mov_b32_e32 v15, v51
	s_waitcnt lgkmcnt(0)
	v_mov_b32_e32 v49, v48
	s_and_b64 s[34:35], s[36:37], exec
	v_mov_b32_e32 v16, v52
.LBB58_67:
	s_or_b64 exec, exec, s[30:31]
	s_waitcnt lgkmcnt(0)
	v_mov_b32_e32 v48, v17
	v_mov_b32_e32 v17, v49
	s_and_b64 s[30:31], s[34:35], exec
	v_mov_b32_e32 v18, v50
.LBB58_68:
	s_or_b64 exec, exec, s[28:29]
	v_mov_b32_e32 v19, v47
	s_waitcnt lgkmcnt(0)
	v_mov_b32_e32 v45, v44
	s_and_b64 s[28:29], s[30:31], exec
	v_mov_b32_e32 v20, v48
.LBB58_69:
	s_or_b64 exec, exec, s[26:27]
	s_waitcnt lgkmcnt(0)
	v_mov_b32_e32 v44, v21
	v_mov_b32_e32 v21, v45
	s_and_b64 s[26:27], s[28:29], exec
	v_mov_b32_e32 v22, v46
.LBB58_70:
	s_or_b64 exec, exec, s[24:25]
	v_mov_b32_e32 v23, v43
	s_waitcnt lgkmcnt(0)
	v_mov_b32_e32 v41, v40
	s_and_b64 s[24:25], s[26:27], exec
	v_mov_b32_e32 v24, v44
.LBB58_71:
	s_or_b64 exec, exec, s[22:23]
	v_mov_b32_e32 v25, v41
	s_waitcnt lgkmcnt(0)
	v_mov_b32_e32 v40, v7
	s_and_b64 s[22:23], s[24:25], exec
	v_mov_b32_e32 v26, v42
.LBB58_72:
	s_or_b64 exec, exec, s[20:21]
	v_mov_b32_e32 v27, v39
	s_waitcnt lgkmcnt(0)
	v_mov_b32_e32 v7, v6
	s_and_b64 s[20:21], s[22:23], exec
	v_mov_b32_e32 v28, v40
.LBB58_73:
	s_or_b64 exec, exec, s[18:19]
	v_mov_b32_e32 v30, v8
	s_waitcnt lgkmcnt(0)
	v_mov_b32_e32 v6, v3
	s_and_b64 s[18:19], s[20:21], exec
	v_mov_b32_e32 v29, v7
.LBB58_74:
	s_or_b64 exec, exec, s[16:17]
	v_mov_b32_e32 v32, v6
	s_waitcnt lgkmcnt(0)
	v_mov_b32_e32 v3, v2
	s_and_b64 s[16:17], s[18:19], exec
	v_mov_b32_e32 v31, v5
.LBB58_75:
	s_or_b64 exec, exec, s[14:15]
	s_waitcnt lgkmcnt(0)
	v_mov_b32_e32 v2, v33
	v_mov_b32_e32 v34, v4
	s_and_b64 s[14:15], s[16:17], exec
	v_mov_b32_e32 v33, v3
.LBB58_76:
	s_or_b64 exec, exec, s[12:13]
	v_mov_b32_e32 v36, v2
	s_and_b64 s[12:13], s[14:15], exec
	v_mov_b32_e32 v35, v1
.LBB58_77:
	s_or_b64 exec, exec, s[10:11]
	s_and_b64 vcc, exec, s[2:3]
	v_cmp_ne_u32_e64 s[2:3], 0, v0
	s_cbranch_vccnz .LBB58_79
	s_branch .LBB58_82
.LBB58_78:
	s_mov_b64 s[12:13], 0
                                        ; implicit-def: $sgpr8_sgpr9
                                        ; implicit-def: $vgpr56
                                        ; implicit-def: $vgpr9_vgpr10
                                        ; implicit-def: $vgpr1_vgpr2
                                        ; implicit-def: $vgpr3_vgpr4
                                        ; implicit-def: $vgpr5_vgpr6
                                        ; implicit-def: $vgpr7_vgpr8
                                        ; implicit-def: $vgpr39_vgpr40
                                        ; implicit-def: $vgpr41_vgpr42
                                        ; implicit-def: $vgpr43_vgpr44
                                        ; implicit-def: $vgpr45_vgpr46
                                        ; implicit-def: $vgpr47_vgpr48
                                        ; implicit-def: $vgpr49_vgpr50
                                        ; implicit-def: $vgpr51_vgpr52
                                        ; implicit-def: $vgpr53_vgpr54
                                        ; implicit-def: $vgpr35_vgpr36
                                        ; implicit-def: $vgpr33_vgpr34
                                        ; implicit-def: $vgpr31_vgpr32
                                        ; implicit-def: $vgpr29_vgpr30
                                        ; implicit-def: $vgpr27_vgpr28
                                        ; implicit-def: $vgpr25_vgpr26
                                        ; implicit-def: $vgpr23_vgpr24
                                        ; implicit-def: $vgpr21_vgpr22
                                        ; implicit-def: $vgpr19_vgpr20
                                        ; implicit-def: $vgpr17_vgpr18
                                        ; implicit-def: $vgpr15_vgpr16
                                        ; implicit-def: $vgpr13_vgpr14
                                        ; implicit-def: $vgpr11_vgpr12
	s_and_b64 vcc, exec, s[2:3]
	v_cmp_ne_u32_e64 s[2:3], 0, v0
	s_cbranch_vccz .LBB58_82
.LBB58_79:
	v_mov_b32_e32 v1, s41
	v_add_co_u32_e32 v5, vcc, s40, v69
	v_addc_co_u32_e32 v6, vcc, 0, v1, vcc
	v_add_co_u32_e32 v1, vcc, 0x1000, v5
	v_addc_co_u32_e32 v2, vcc, 0, v6, vcc
	;; [unrolled: 2-line block ×3, first 2 shown]
	global_load_dword v7, v69, s[40:41]
	global_load_dword v8, v69, s[40:41] offset:1024
	s_waitcnt lgkmcnt(0)
	global_load_dword v9, v69, s[40:41] offset:2048
	global_load_dword v10, v69, s[40:41] offset:3072
	global_load_dword v11, v[1:2], off
	global_load_dword v12, v[1:2], off offset:1024
	global_load_dword v13, v[1:2], off offset:2048
	;; [unrolled: 1-line block ×3, first 2 shown]
	global_load_dword v15, v[3:4], off
	global_load_dword v16, v[3:4], off offset:1024
	global_load_dword v17, v[3:4], off offset:2048
	;; [unrolled: 1-line block ×3, first 2 shown]
	v_add_co_u32_e32 v1, vcc, 0x3000, v5
	v_addc_co_u32_e32 v2, vcc, 0, v6, vcc
	global_load_dword v3, v[1:2], off
	global_load_dword v4, v[1:2], off offset:1024
	global_load_dword v5, v[1:2], off offset:2048
	s_sub_u32 s8, 0, s6
	s_subb_u32 s9, 0, 0
	s_cmp_eq_u64 s[52:53], s[8:9]
	s_cselect_b32 s8, 0, -4
	s_cselect_b32 s9, 0, -1
	s_add_u32 s8, s40, s8
	v_mad_u32_u24 v1, v0, 56, v69
	s_addc_u32 s9, s41, s9
	s_movk_i32 s10, 0xffc8
	s_movk_i32 s7, 0x1000
	v_mad_i32_i24 v21, v0, s10, v1
	s_waitcnt vmcnt(13)
	ds_write2st64_b32 v69, v7, v8 offset1:4
	s_waitcnt vmcnt(11)
	ds_write2st64_b32 v69, v9, v10 offset0:8 offset1:12
	s_waitcnt vmcnt(9)
	ds_write2st64_b32 v69, v11, v12 offset0:16 offset1:20
	;; [unrolled: 2-line block ×6, first 2 shown]
	s_waitcnt vmcnt(0)
	ds_write_b32 v69, v5 offset:14336
	s_waitcnt lgkmcnt(0)
	s_barrier
	ds_read2_b32 v[15:16], v1 offset0:8 offset1:9
	ds_read2_b32 v[13:14], v1 offset0:10 offset1:11
	;; [unrolled: 1-line block ×3, first 2 shown]
	ds_read_b32 v4, v1 offset:56
	ds_read2_b32 v[2:3], v1 offset1:1
	ds_read2_b32 v[6:7], v1 offset0:2 offset1:3
	ds_read2_b32 v[19:20], v1 offset0:4 offset1:5
	;; [unrolled: 1-line block ×3, first 2 shown]
	s_load_dword s8, s[8:9], 0x0
	s_waitcnt lgkmcnt(0)
	ds_write_b32 v21, v4 offset:15360
	s_waitcnt lgkmcnt(0)
	s_barrier
	v_mov_b32_e32 v5, s8
	s_and_saveexec_b64 s[8:9], s[2:3]
; %bb.80:
	v_mul_i32_i24_e32 v5, 0xffffffc8, v0
	v_add_u32_e32 v5, v1, v5
	ds_read_b32 v5, v5 offset:15356
; %bb.81:
	s_or_b64 exec, exec, s[8:9]
	v_lshlrev_b32_e32 v8, 1, v0
	v_mov_b32_e32 v9, s39
	v_add_co_u32_e32 v10, vcc, s38, v8
	v_addc_co_u32_e32 v9, vcc, 0, v9, vcc
	s_waitcnt lgkmcnt(0)
	s_barrier
	global_load_sshort v21, v8, s[38:39]
	global_load_sshort v22, v8, s[38:39] offset:512
	global_load_sshort v23, v8, s[38:39] offset:1024
	;; [unrolled: 1-line block ×7, first 2 shown]
	v_add_co_u32_e32 v8, vcc, s7, v10
	v_addc_co_u32_e32 v9, vcc, 0, v9, vcc
	global_load_sshort v29, v[8:9], off
	global_load_sshort v30, v[8:9], off offset:512
	global_load_sshort v31, v[8:9], off offset:1024
	;; [unrolled: 1-line block ×6, first 2 shown]
	v_cmp_ne_u32_e32 vcc, v5, v2
	v_cndmask_b32_e64 v10, 0, 1, vcc
	v_cmp_ne_u32_e32 vcc, v2, v3
	v_cndmask_b32_e64 v2, 0, 1, vcc
	v_cmp_ne_u32_e32 vcc, v3, v6
	v_cmp_ne_u32_e64 s[8:9], v12, v4
	v_cndmask_b32_e64 v4, 0, 1, vcc
	v_cmp_ne_u32_e32 vcc, v6, v7
	v_cndmask_b32_e64 v6, 0, 1, vcc
	v_cmp_ne_u32_e32 vcc, v7, v19
	;; [unrolled: 2-line block ×11, first 2 shown]
	v_cndmask_b32_e64 v12, 0, 1, vcc
	s_mov_b64 s[12:13], -1
	s_waitcnt vmcnt(13)
	ds_write2st64_b32 v69, v21, v22 offset1:4
	s_waitcnt vmcnt(11)
	ds_write2st64_b32 v69, v23, v24 offset0:8 offset1:12
	s_waitcnt vmcnt(9)
	ds_write2st64_b32 v69, v25, v26 offset0:16 offset1:20
	;; [unrolled: 2-line block ×6, first 2 shown]
	s_waitcnt vmcnt(0)
	ds_write_b32 v69, v35 offset:14336
	s_waitcnt lgkmcnt(0)
	s_barrier
	ds_read2_b32 v[13:14], v1 offset1:1
	ds_read2_b32 v[15:16], v1 offset0:2 offset1:3
	ds_read2_b32 v[17:18], v1 offset0:4 offset1:5
	;; [unrolled: 1-line block ×6, first 2 shown]
	ds_read_b32 v56, v1 offset:56
	s_waitcnt lgkmcnt(5)
	v_mov_b32_e32 v39, v18
	s_waitcnt lgkmcnt(4)
	v_mov_b32_e32 v41, v19
	v_mov_b32_e32 v43, v20
	s_waitcnt lgkmcnt(3)
	v_mov_b32_e32 v45, v21
	;; [unrolled: 3-line block ×4, first 2 shown]
	v_mov_b32_e32 v9, v13
	v_mov_b32_e32 v1, v14
	;; [unrolled: 1-line block ×30, first 2 shown]
.LBB58_82:
	v_mov_b32_e32 v37, 0
	v_mov_b32_e32 v38, 0
	s_and_saveexec_b64 s[2:3], s[12:13]
	s_cbranch_execz .LBB58_84
; %bb.83:
	v_mov_b32_e32 v13, v53
	v_mov_b32_e32 v15, v51
	;; [unrolled: 1-line block ×12, first 2 shown]
	v_cndmask_b32_e64 v38, 0, 1, s[8:9]
	s_waitcnt lgkmcnt(0)
	v_mov_b32_e32 v37, v56
	v_mov_b32_e32 v14, v54
	;; [unrolled: 1-line block ×13, first 2 shown]
.LBB58_84:
	s_or_b64 exec, exec, s[2:3]
	s_mov_b32 s30, 0
	s_cmp_lg_u32 s6, 0
	v_or_b32_e32 v55, v24, v22
	v_or3_b32 v54, v12, v38, v14
	v_lshrrev_b32_e32 v53, 2, v0
	v_cmp_gt_u32_e32 vcc, 64, v0
	s_waitcnt lgkmcnt(0)
	s_barrier
	s_cbranch_scc0 .LBB58_114
; %bb.85:
	s_mov_b32 s31, 1
	v_cmp_gt_u64_e64 s[2:3], s[30:31], v[35:36]
	v_cmp_gt_u64_e64 s[42:43], s[30:31], v[33:34]
	v_cndmask_b32_e64 v1, 0, v9, s[2:3]
	v_add_u32_e32 v1, v1, v35
	v_cndmask_b32_e64 v1, 0, v1, s[42:43]
	v_cmp_gt_u64_e64 s[8:9], s[30:31], v[31:32]
	v_add_u32_e32 v1, v1, v33
	v_cndmask_b32_e64 v1, 0, v1, s[8:9]
	v_cmp_gt_u64_e64 s[10:11], s[30:31], v[29:30]
	v_add_u32_e32 v1, v1, v31
	v_cndmask_b32_e64 v1, 0, v1, s[10:11]
	v_cmp_gt_u64_e64 s[12:13], s[30:31], v[27:28]
	v_add_u32_e32 v1, v1, v29
	v_cndmask_b32_e64 v1, 0, v1, s[12:13]
	v_cmp_gt_u64_e64 s[14:15], s[30:31], v[25:26]
	v_add_u32_e32 v1, v1, v27
	v_cndmask_b32_e64 v1, 0, v1, s[14:15]
	v_cmp_gt_u64_e64 s[16:17], s[30:31], v[23:24]
	v_add_u32_e32 v1, v1, v25
	v_cndmask_b32_e64 v1, 0, v1, s[16:17]
	v_cmp_gt_u64_e64 s[18:19], s[30:31], v[21:22]
	v_add_u32_e32 v1, v1, v23
	v_cndmask_b32_e64 v1, 0, v1, s[18:19]
	v_cmp_gt_u64_e64 s[20:21], s[30:31], v[19:20]
	v_add_u32_e32 v1, v1, v21
	v_cndmask_b32_e64 v1, 0, v1, s[20:21]
	v_cmp_gt_u64_e64 s[22:23], s[30:31], v[17:18]
	v_add_u32_e32 v1, v1, v19
	v_cndmask_b32_e64 v1, 0, v1, s[22:23]
	v_cmp_gt_u64_e64 s[24:25], s[30:31], v[15:16]
	v_add_u32_e32 v1, v1, v17
	v_cndmask_b32_e64 v1, 0, v1, s[24:25]
	v_cmp_gt_u64_e64 s[26:27], s[30:31], v[13:14]
	v_add_u32_e32 v1, v1, v15
	v_cndmask_b32_e64 v1, 0, v1, s[26:27]
	v_cmp_gt_u64_e64 s[28:29], s[30:31], v[11:12]
	v_add_u32_e32 v1, v1, v13
	v_cndmask_b32_e64 v1, 0, v1, s[28:29]
	v_cmp_gt_u64_e64 s[30:31], s[30:31], v[37:38]
	v_or3_b32 v2, v55, v26, v28
	v_add_u32_e32 v1, v1, v11
	v_or3_b32 v2, v2, v30, v32
	v_cndmask_b32_e64 v1, 0, v1, s[30:31]
	v_or3_b32 v2, v2, v34, v36
	v_add_u32_e32 v43, v1, v37
	v_or3_b32 v1, v54, v16, v18
	v_or3_b32 v1, v1, v20, v2
	v_and_b32_e32 v2, 0xff, v1
	v_mov_b32_e32 v1, 0
	v_cmp_eq_u64_e64 s[34:35], 0, v[1:2]
	v_and_b32_e32 v1, 56, v53
	v_cndmask_b32_e64 v44, 1, v10, s[34:35]
	v_lshl_add_u32 v1, v0, 3, v1
	ds_write_b32 v1, v43
	ds_write_b8 v1, v44 offset:4
	s_waitcnt lgkmcnt(0)
	s_barrier
	s_and_saveexec_b64 s[52:53], vcc
	s_cbranch_execz .LBB58_97
; %bb.86:
	v_and_b32_e32 v1, 0xf8, v0
	v_lshlrev_b32_e32 v2, 5, v0
	v_add_u32_e32 v5, v1, v2
	ds_read2_b32 v[1:2], v5 offset0:2 offset1:4
	ds_read_b64 v[3:4], v5
	ds_read_u8 v42, v5 offset:12
	ds_read_u8 v8, v5 offset:20
	ds_read_b32 v6, v5 offset:24
	ds_read_u8 v39, v5 offset:28
	s_waitcnt lgkmcnt(4)
	v_and_b32_e32 v7, 1, v4
	s_waitcnt lgkmcnt(3)
	v_cmp_eq_u16_e64 s[38:39], 0, v42
	s_waitcnt lgkmcnt(2)
	v_or_b32_e32 v41, v8, v42
	v_cndmask_b32_e64 v40, 0, v3, s[38:39]
	v_cmp_eq_u16_e64 s[36:37], 0, v41
	v_add_u32_e32 v40, v40, v1
	v_cmp_eq_u16_e64 s[34:35], 0, v8
	v_cndmask_b32_e64 v41, 1, v7, s[36:37]
	s_waitcnt lgkmcnt(0)
	v_cmp_eq_u16_e64 s[36:37], 0, v39
	v_and_b32_e32 v39, 1, v39
	v_cndmask_b32_e64 v40, 0, v40, s[34:35]
	v_cmp_eq_u32_e64 s[40:41], 1, v39
	v_add_u32_e32 v40, v40, v2
	v_cndmask_b32_e64 v45, v41, 1, s[40:41]
	v_mbcnt_lo_u32_b32 v41, -1, 0
	v_cndmask_b32_e64 v40, 0, v40, s[36:37]
	v_and_b32_e32 v39, 0xffffff00, v4
	v_mbcnt_hi_u32_b32 v41, -1, v41
	v_add_u32_e32 v40, v40, v6
	v_and_b32_e32 v48, 15, v41
	v_or_b32_sdwa v46, v39, v45 dst_sel:DWORD dst_unused:UNUSED_PAD src0_sel:DWORD src1_sel:WORD_0
	v_mov_b32_dpp v47, v40 row_shr:1 row_mask:0xf bank_mask:0xf
	v_cmp_ne_u32_e64 s[44:45], 0, v48
	v_mov_b32_dpp v49, v46 row_shr:1 row_mask:0xf bank_mask:0xf
	s_and_saveexec_b64 s[54:55], s[44:45]
; %bb.87:
	v_and_b32_e32 v46, 1, v45
	v_and_b32_e32 v49, 1, v49
	v_cmp_eq_u32_e64 s[44:45], 1, v46
	v_cndmask_b32_e64 v49, v49, 1, s[44:45]
	v_cmp_eq_u16_e64 s[44:45], 0, v45
	v_cndmask_b32_e64 v45, 0, v47, s[44:45]
	v_add_u32_e32 v40, v45, v40
	v_or_b32_sdwa v46, v39, v49 dst_sel:DWORD dst_unused:UNUSED_PAD src0_sel:DWORD src1_sel:WORD_0
	v_mov_b32_e32 v45, v49
; %bb.88:
	s_or_b64 exec, exec, s[54:55]
	v_mov_b32_dpp v49, v40 row_shr:2 row_mask:0xf bank_mask:0xf
	v_mov_b32_dpp v50, v46 row_shr:2 row_mask:0xf bank_mask:0xf
	v_cmp_lt_u32_e64 s[44:45], 1, v48
	v_mov_b32_e32 v47, v46
	s_and_saveexec_b64 s[54:55], s[44:45]
	s_cbranch_execz .LBB58_90
; %bb.89:
	v_and_b32_e32 v45, 1, v46
	v_and_b32_e32 v47, 1, v50
	v_cmp_eq_u32_e64 s[44:45], 1, v45
	v_cndmask_b32_e64 v45, v47, 1, s[44:45]
	v_mov_b32_e32 v47, 0
	v_cmp_eq_u16_sdwa s[44:45], v46, v47 src0_sel:BYTE_0 src1_sel:DWORD
	v_cndmask_b32_e64 v46, 0, v49, s[44:45]
	v_add_u32_e32 v40, v46, v40
	v_or_b32_sdwa v46, v39, v45 dst_sel:DWORD dst_unused:UNUSED_PAD src0_sel:DWORD src1_sel:WORD_0
	v_mov_b32_e32 v47, v45
.LBB58_90:
	s_or_b64 exec, exec, s[54:55]
	v_mov_b32_dpp v49, v40 row_shr:4 row_mask:0xf bank_mask:0xf
	v_mov_b32_dpp v50, v46 row_shr:4 row_mask:0xf bank_mask:0xf
	v_cmp_lt_u32_e64 s[44:45], 3, v48
	s_and_saveexec_b64 s[54:55], s[44:45]
	s_cbranch_execz .LBB58_92
; %bb.91:
	v_and_b32_e32 v45, 1, v47
	v_and_b32_e32 v46, 1, v50
	v_cmp_eq_u32_e64 s[44:45], 1, v45
	v_cndmask_b32_e64 v45, v46, 1, s[44:45]
	v_mov_b32_e32 v46, 0
	v_cmp_eq_u16_sdwa s[44:45], v47, v46 src0_sel:BYTE_0 src1_sel:DWORD
	v_cndmask_b32_e64 v46, 0, v49, s[44:45]
	v_add_u32_e32 v40, v46, v40
	v_or_b32_sdwa v46, v39, v45 dst_sel:DWORD dst_unused:UNUSED_PAD src0_sel:DWORD src1_sel:WORD_0
	v_mov_b32_e32 v47, v45
.LBB58_92:
	s_or_b64 exec, exec, s[54:55]
	v_mov_b32_dpp v49, v40 row_shr:8 row_mask:0xf bank_mask:0xf
	v_mov_b32_dpp v50, v46 row_shr:8 row_mask:0xf bank_mask:0xf
	v_cmp_lt_u32_e64 s[44:45], 7, v48
	s_and_saveexec_b64 s[54:55], s[44:45]
	s_cbranch_execz .LBB58_94
; %bb.93:
	v_and_b32_e32 v45, 1, v47
	v_and_b32_e32 v46, 1, v50
	v_cmp_eq_u32_e64 s[44:45], 1, v45
	v_cndmask_b32_e64 v45, v46, 1, s[44:45]
	v_mov_b32_e32 v46, 0
	v_cmp_eq_u16_sdwa s[44:45], v47, v46 src0_sel:BYTE_0 src1_sel:DWORD
	v_cndmask_b32_e64 v46, 0, v49, s[44:45]
	v_add_u32_e32 v40, v46, v40
	v_or_b32_sdwa v46, v39, v45 dst_sel:DWORD dst_unused:UNUSED_PAD src0_sel:DWORD src1_sel:WORD_0
	v_mov_b32_e32 v47, v45
.LBB58_94:
	s_or_b64 exec, exec, s[54:55]
	v_and_b32_e32 v50, 16, v41
	v_mov_b32_dpp v48, v40 row_bcast:15 row_mask:0xf bank_mask:0xf
	v_mov_b32_dpp v49, v46 row_bcast:15 row_mask:0xf bank_mask:0xf
	v_cmp_ne_u32_e64 s[44:45], 0, v50
	s_and_saveexec_b64 s[54:55], s[44:45]
	s_cbranch_execz .LBB58_96
; %bb.95:
	v_and_b32_e32 v45, 1, v47
	v_and_b32_e32 v46, 1, v49
	v_cmp_eq_u32_e64 s[44:45], 1, v45
	v_cndmask_b32_e64 v45, v46, 1, s[44:45]
	v_mov_b32_e32 v46, 0
	v_cmp_eq_u16_sdwa s[44:45], v47, v46 src0_sel:BYTE_0 src1_sel:DWORD
	v_cndmask_b32_e64 v46, 0, v48, s[44:45]
	v_add_u32_e32 v40, v46, v40
	v_or_b32_sdwa v46, v39, v45 dst_sel:DWORD dst_unused:UNUSED_PAD src0_sel:DWORD src1_sel:WORD_0
	v_mov_b32_e32 v47, v45
.LBB58_96:
	s_or_b64 exec, exec, s[54:55]
	v_mov_b32_dpp v46, v46 row_bcast:31 row_mask:0xf bank_mask:0xf
	v_and_b32_e32 v49, 1, v47
	v_and_b32_e32 v46, 1, v46
	v_cmp_eq_u32_e64 s[44:45], 1, v49
	v_mov_b32_e32 v49, 0
	v_cndmask_b32_e64 v46, v46, 1, s[44:45]
	v_cmp_eq_u16_sdwa s[54:55], v47, v49 src0_sel:BYTE_0 src1_sel:DWORD
	v_cmp_lt_u32_e64 s[44:45], 31, v41
	v_mov_b32_dpp v48, v40 row_bcast:31 row_mask:0xf bank_mask:0xf
	v_cndmask_b32_e64 v45, v45, v46, s[44:45]
	s_and_b64 s[44:45], s[44:45], s[54:55]
	v_cndmask_b32_e64 v46, 0, v48, s[44:45]
	v_add_u32_e32 v40, v46, v40
	v_add_u32_e32 v46, -1, v41
	v_and_b32_e32 v47, 64, v41
	v_cmp_lt_i32_e64 s[44:45], v46, v47
	v_cndmask_b32_e64 v41, v46, v41, s[44:45]
	v_lshlrev_b32_e32 v41, 2, v41
	ds_bpermute_b32 v40, v41, v40
	v_or_b32_sdwa v39, v39, v45 dst_sel:DWORD dst_unused:UNUSED_PAD src0_sel:DWORD src1_sel:WORD_0
	ds_bpermute_b32 v39, v41, v39
	v_cmp_eq_u16_sdwa s[44:45], v4, v49 src0_sel:BYTE_0 src1_sel:DWORD
	v_and_b32_e32 v42, 1, v42
	s_waitcnt lgkmcnt(1)
	v_cndmask_b32_e64 v4, 0, v40, s[44:45]
	v_add_u32_e32 v3, v4, v3
	s_waitcnt lgkmcnt(0)
	v_and_b32_e32 v4, 1, v39
	v_cmp_eq_u32_e64 s[44:45], 1, v7
	v_cndmask_b32_e64 v4, v4, 1, s[44:45]
	v_cmp_eq_u32_e64 s[44:45], 0, v0
	v_cndmask_b32_e64 v3, v3, v43, s[44:45]
	v_cndmask_b32_e64 v7, 0, v3, s[38:39]
	;; [unrolled: 1-line block ×3, first 2 shown]
	v_add_u32_e32 v1, v7, v1
	v_cmp_eq_u32_e64 s[38:39], 1, v42
	ds_write_b8 v5, v4 offset:4
	v_cndmask_b32_e64 v4, v4, 1, s[38:39]
	ds_write2_b32 v5, v3, v1 offset1:2
	ds_write_b8 v5, v4 offset:12
	v_cndmask_b32_e64 v1, 0, v1, s[34:35]
	v_and_b32_e32 v8, 1, v8
	v_add_u32_e32 v1, v1, v2
	v_cmp_eq_u32_e64 s[34:35], 1, v8
	v_cndmask_b32_e64 v3, 0, v1, s[36:37]
	v_cndmask_b32_e64 v2, v4, 1, s[34:35]
	v_add_u32_e32 v3, v3, v6
	ds_write_b8 v5, v2 offset:20
	v_cndmask_b32_e64 v2, v2, 1, s[40:41]
	ds_write2_b32 v5, v1, v3 offset0:4 offset1:6
	ds_write_b8 v5, v2 offset:28
.LBB58_97:
	s_or_b64 exec, exec, s[52:53]
	v_cmp_eq_u32_e64 s[34:35], 0, v0
	v_cmp_ne_u32_e64 s[36:37], 0, v0
	s_waitcnt lgkmcnt(0)
	s_barrier
	s_and_saveexec_b64 s[38:39], s[36:37]
	s_cbranch_execz .LBB58_99
; %bb.98:
	v_add_u32_e32 v1, -1, v0
	v_lshrrev_b32_e32 v2, 2, v1
	v_and_b32_e32 v2, 0x3ffffff8, v2
	v_lshl_add_u32 v1, v1, 3, v2
	ds_read_b32 v43, v1
	ds_read_u8 v44, v1 offset:4
.LBB58_99:
	s_or_b64 exec, exec, s[38:39]
	s_and_saveexec_b64 s[38:39], vcc
	s_cbranch_execz .LBB58_119
; %bb.100:
	v_mov_b32_e32 v4, 0
	ds_read_b64 v[1:2], v4 offset:2096
	v_mbcnt_lo_u32_b32 v3, -1, 0
	v_mbcnt_hi_u32_b32 v42, -1, v3
	s_mov_b32 s45, 0
	v_cmp_eq_u32_e64 s[36:37], 0, v42
	s_and_saveexec_b64 s[40:41], s[36:37]
	s_cbranch_execz .LBB58_102
; %bb.101:
	s_add_i32 s44, s6, 64
	s_lshl_b64 s[44:45], s[44:45], 4
	s_add_u32 s44, s48, s44
	s_addc_u32 s45, s49, s45
	v_mov_b32_e32 v5, s44
	v_mov_b32_e32 v3, 1
	;; [unrolled: 1-line block ×3, first 2 shown]
	s_waitcnt lgkmcnt(0)
	;;#ASMSTART
	global_store_dwordx4 v[5:6], v[1:4] off	
s_waitcnt vmcnt(0)
	;;#ASMEND
.LBB58_102:
	s_or_b64 exec, exec, s[40:41]
	v_xad_u32 v39, v42, -1, s6
	v_add_u32_e32 v3, 64, v39
	v_lshlrev_b64 v[5:6], 4, v[3:4]
	v_mov_b32_e32 v3, s49
	v_add_co_u32_e32 v40, vcc, s48, v5
	v_addc_co_u32_e32 v41, vcc, v3, v6, vcc
	;;#ASMSTART
	global_load_dwordx4 v[5:8], v[40:41] off glc	
s_waitcnt vmcnt(0)
	;;#ASMEND
	v_cmp_eq_u16_sdwa s[44:45], v7, v4 src0_sel:BYTE_0 src1_sel:DWORD
	s_and_saveexec_b64 s[40:41], s[44:45]
	s_cbranch_execz .LBB58_106
; %bb.103:
	s_mov_b64 s[44:45], 0
	v_mov_b32_e32 v3, 0
.LBB58_104:                             ; =>This Inner Loop Header: Depth=1
	;;#ASMSTART
	global_load_dwordx4 v[5:8], v[40:41] off glc	
s_waitcnt vmcnt(0)
	;;#ASMEND
	v_cmp_ne_u16_sdwa s[52:53], v7, v3 src0_sel:BYTE_0 src1_sel:DWORD
	s_or_b64 s[44:45], s[52:53], s[44:45]
	s_andn2_b64 exec, exec, s[44:45]
	s_cbranch_execnz .LBB58_104
; %bb.105:
	s_or_b64 exec, exec, s[44:45]
.LBB58_106:
	s_or_b64 exec, exec, s[40:41]
	v_mov_b32_e32 v45, 2
	v_lshlrev_b64 v[3:4], v42, -1
	v_cmp_eq_u16_sdwa s[40:41], v7, v45 src0_sel:BYTE_0 src1_sel:DWORD
	v_and_b32_e32 v8, s41, v4
	v_or_b32_e32 v8, 0x80000000, v8
	v_and_b32_e32 v46, s40, v3
	v_ffbl_b32_e32 v8, v8
	v_and_b32_e32 v57, 63, v42
	v_add_u32_e32 v8, 32, v8
	v_ffbl_b32_e32 v46, v46
	v_cmp_ne_u32_e32 vcc, 63, v57
	v_min_u32_e32 v8, v46, v8
	v_addc_co_u32_e32 v46, vcc, 0, v42, vcc
	v_and_b32_e32 v41, 0xff, v6
	v_lshlrev_b32_e32 v46, 2, v46
	ds_bpermute_b32 v48, v46, v41
	ds_bpermute_b32 v49, v46, v5
	s_mov_b32 s40, 0
	v_and_b32_e32 v6, 1, v6
	v_mov_b32_e32 v40, v5
	s_mov_b32 s41, 1
	s_waitcnt lgkmcnt(1)
	v_and_b32_e32 v48, 1, v48
	v_cmp_eq_u32_e32 vcc, 1, v6
	v_cndmask_b32_e64 v6, v48, 1, vcc
	v_cmp_gt_u64_e32 vcc, s[40:41], v[40:41]
	v_add_u32_e32 v47, 1, v42
	v_and_b32_e32 v48, 0xffff, v6
	s_waitcnt lgkmcnt(0)
	v_cndmask_b32_e32 v40, 0, v49, vcc
	v_cmp_gt_u32_e32 vcc, v47, v8
	v_cndmask_b32_e32 v6, v6, v41, vcc
	v_cndmask_b32_e64 v40, v40, 0, vcc
	v_cndmask_b32_e32 v41, v48, v41, vcc
	v_cmp_gt_u32_e32 vcc, 62, v57
	v_cndmask_b32_e64 v48, 0, 2, vcc
	v_add_lshl_u32 v48, v48, v42, 2
	ds_bpermute_b32 v50, v48, v41
	v_add_u32_e32 v5, v40, v5
	ds_bpermute_b32 v40, v48, v5
	v_and_b32_e32 v51, 1, v6
	v_cmp_eq_u32_e32 vcc, 1, v51
	s_waitcnt lgkmcnt(1)
	v_and_b32_e32 v50, 1, v50
	v_add_u32_e32 v49, 2, v42
	v_cndmask_b32_e64 v50, v50, 1, vcc
	v_cmp_eq_u16_e32 vcc, 0, v6
	v_and_b32_e32 v51, 0xffff, v50
	s_waitcnt lgkmcnt(0)
	v_cndmask_b32_e32 v40, 0, v40, vcc
	v_cmp_gt_u32_e32 vcc, v49, v8
	v_cndmask_b32_e32 v6, v50, v6, vcc
	v_cndmask_b32_e64 v40, v40, 0, vcc
	v_cndmask_b32_e32 v41, v51, v41, vcc
	v_cmp_gt_u32_e32 vcc, 60, v57
	v_cndmask_b32_e64 v50, 0, 4, vcc
	v_add_lshl_u32 v50, v50, v42, 2
	ds_bpermute_b32 v52, v50, v41
	v_add_u32_e32 v5, v40, v5
	ds_bpermute_b32 v40, v50, v5
	v_and_b32_e32 v56, 1, v6
	v_cmp_eq_u32_e32 vcc, 1, v56
	s_waitcnt lgkmcnt(1)
	v_and_b32_e32 v52, 1, v52
	v_add_u32_e32 v51, 4, v42
	v_cndmask_b32_e64 v52, v52, 1, vcc
	v_cmp_eq_u16_e32 vcc, 0, v6
	;; [unrolled: 20-line block ×3, first 2 shown]
	v_and_b32_e32 v59, 0xffff, v58
	s_waitcnt lgkmcnt(0)
	v_cndmask_b32_e32 v40, 0, v40, vcc
	v_cmp_gt_u32_e32 vcc, v56, v8
	v_cndmask_b32_e32 v6, v58, v6, vcc
	v_cndmask_b32_e64 v40, v40, 0, vcc
	v_cndmask_b32_e32 v41, v59, v41, vcc
	v_cmp_gt_u32_e32 vcc, 48, v57
	v_cndmask_b32_e64 v57, 0, 16, vcc
	v_add_lshl_u32 v57, v57, v42, 2
	ds_bpermute_b32 v58, v57, v41
	v_add_u32_e32 v5, v40, v5
	ds_bpermute_b32 v59, v57, v5
	v_and_b32_e32 v40, 1, v6
	v_cmp_eq_u32_e32 vcc, 1, v40
	s_waitcnt lgkmcnt(1)
	v_and_b32_e32 v58, 1, v58
	v_mov_b32_e32 v40, 0
	v_add_u32_e32 v60, 16, v42
	v_cndmask_b32_e64 v58, v58, 1, vcc
	v_cmp_eq_u16_sdwa vcc, v6, v40 src0_sel:BYTE_0 src1_sel:DWORD
	s_waitcnt lgkmcnt(0)
	v_cndmask_b32_e32 v59, 0, v59, vcc
	v_cmp_gt_u32_e32 vcc, v60, v8
	v_and_b32_e32 v62, 0xffff, v58
	v_cndmask_b32_e32 v6, v58, v6, vcc
	v_cndmask_b32_e64 v58, v59, 0, vcc
	v_add_u32_e32 v5, v58, v5
	v_mov_b32_e32 v58, 0x80
	v_lshl_or_b32 v61, v42, 2, v58
	ds_bpermute_b32 v58, v61, v5
	v_cndmask_b32_e32 v41, v62, v41, vcc
	ds_bpermute_b32 v41, v61, v41
	v_cmp_eq_u16_sdwa vcc, v6, v40 src0_sel:BYTE_0 src1_sel:DWORD
	v_add_u32_e32 v62, 32, v42
	s_waitcnt lgkmcnt(1)
	v_cndmask_b32_e32 v42, 0, v58, vcc
	v_and_b32_e32 v58, 1, v6
	s_waitcnt lgkmcnt(0)
	v_and_b32_e32 v41, 1, v41
	v_cmp_eq_u32_e32 vcc, 1, v58
	v_cndmask_b32_e64 v41, v41, 1, vcc
	v_cmp_gt_u32_e32 vcc, v62, v8
	v_cndmask_b32_e64 v8, v42, 0, vcc
	v_cndmask_b32_e32 v6, v41, v6, vcc
	v_add_u32_e32 v5, v8, v5
	s_branch .LBB58_110
.LBB58_107:                             ;   in Loop: Header=BB58_110 Depth=1
	s_or_b64 exec, exec, s[52:53]
.LBB58_108:                             ;   in Loop: Header=BB58_110 Depth=1
	s_or_b64 exec, exec, s[44:45]
	v_cmp_eq_u16_sdwa s[44:45], v7, v45 src0_sel:BYTE_0 src1_sel:DWORD
	v_and_b32_e32 v42, 0xff, v6
	v_and_b32_e32 v8, s45, v4
	v_or_b32_e32 v8, 0x80000000, v8
	ds_bpermute_b32 v64, v46, v42
	v_and_b32_e32 v63, s44, v3
	v_ffbl_b32_e32 v8, v8
	v_add_u32_e32 v8, 32, v8
	v_ffbl_b32_e32 v63, v63
	v_min_u32_e32 v8, v63, v8
	ds_bpermute_b32 v63, v46, v5
	v_and_b32_e32 v6, 1, v6
	v_mov_b32_e32 v41, v5
	s_waitcnt lgkmcnt(1)
	v_and_b32_e32 v64, 1, v64
	v_cmp_eq_u32_e32 vcc, 1, v6
	v_cndmask_b32_e64 v6, v64, 1, vcc
	v_cmp_gt_u64_e32 vcc, s[40:41], v[41:42]
	v_and_b32_e32 v64, 0xffff, v6
	s_waitcnt lgkmcnt(0)
	v_cndmask_b32_e32 v41, 0, v63, vcc
	v_cmp_gt_u32_e32 vcc, v47, v8
	v_cndmask_b32_e32 v6, v6, v42, vcc
	v_cndmask_b32_e32 v42, v64, v42, vcc
	ds_bpermute_b32 v63, v48, v42
	v_cndmask_b32_e64 v41, v41, 0, vcc
	v_add_u32_e32 v5, v41, v5
	ds_bpermute_b32 v41, v48, v5
	v_and_b32_e32 v64, 1, v6
	s_waitcnt lgkmcnt(1)
	v_and_b32_e32 v63, 1, v63
	v_cmp_eq_u32_e32 vcc, 1, v64
	v_cndmask_b32_e64 v63, v63, 1, vcc
	v_cmp_eq_u16_e32 vcc, 0, v6
	v_and_b32_e32 v64, 0xffff, v63
	s_waitcnt lgkmcnt(0)
	v_cndmask_b32_e32 v41, 0, v41, vcc
	v_cmp_gt_u32_e32 vcc, v49, v8
	v_cndmask_b32_e32 v42, v64, v42, vcc
	v_cndmask_b32_e32 v6, v63, v6, vcc
	ds_bpermute_b32 v63, v50, v42
	v_cndmask_b32_e64 v41, v41, 0, vcc
	v_add_u32_e32 v5, v41, v5
	ds_bpermute_b32 v41, v50, v5
	v_and_b32_e32 v64, 1, v6
	s_waitcnt lgkmcnt(1)
	v_and_b32_e32 v63, 1, v63
	v_cmp_eq_u32_e32 vcc, 1, v64
	v_cndmask_b32_e64 v63, v63, 1, vcc
	v_cmp_eq_u16_e32 vcc, 0, v6
	;; [unrolled: 16-line block ×3, first 2 shown]
	v_and_b32_e32 v64, 0xffff, v63
	s_waitcnt lgkmcnt(0)
	v_cndmask_b32_e32 v41, 0, v41, vcc
	v_cmp_gt_u32_e32 vcc, v56, v8
	v_cndmask_b32_e32 v42, v64, v42, vcc
	v_cndmask_b32_e32 v6, v63, v6, vcc
	ds_bpermute_b32 v63, v57, v42
	v_cndmask_b32_e64 v41, v41, 0, vcc
	v_add_u32_e32 v5, v41, v5
	ds_bpermute_b32 v41, v57, v5
	v_and_b32_e32 v64, 1, v6
	s_waitcnt lgkmcnt(1)
	v_and_b32_e32 v63, 1, v63
	v_cmp_eq_u32_e32 vcc, 1, v64
	v_cndmask_b32_e64 v63, v63, 1, vcc
	v_cmp_eq_u16_sdwa vcc, v6, v40 src0_sel:BYTE_0 src1_sel:DWORD
	s_waitcnt lgkmcnt(0)
	v_cndmask_b32_e32 v41, 0, v41, vcc
	v_cmp_gt_u32_e32 vcc, v60, v8
	v_cndmask_b32_e64 v41, v41, 0, vcc
	v_cndmask_b32_e32 v6, v63, v6, vcc
	v_add_u32_e32 v5, v41, v5
	v_and_b32_e32 v63, 0xffff, v63
	ds_bpermute_b32 v41, v61, v5
	v_cndmask_b32_e32 v42, v63, v42, vcc
	ds_bpermute_b32 v42, v61, v42
	v_cmp_eq_u16_sdwa vcc, v6, v40 src0_sel:BYTE_0 src1_sel:DWORD
	v_and_b32_e32 v63, 1, v6
	s_waitcnt lgkmcnt(1)
	v_cndmask_b32_e32 v41, 0, v41, vcc
	v_cmp_eq_u32_e32 vcc, 1, v63
	s_waitcnt lgkmcnt(0)
	v_cndmask_b32_e64 v42, v42, 1, vcc
	v_cmp_gt_u32_e32 vcc, v62, v8
	v_cndmask_b32_e64 v8, v41, 0, vcc
	v_cndmask_b32_e32 v6, v42, v6, vcc
	v_add_u32_e32 v5, v8, v5
	v_cmp_eq_u16_sdwa vcc, v58, v40 src0_sel:BYTE_0 src1_sel:DWORD
	v_and_b32_e32 v8, 1, v58
	v_cndmask_b32_e32 v5, 0, v5, vcc
	v_and_b32_e32 v6, 1, v6
	v_cmp_eq_u32_e32 vcc, 1, v8
	v_subrev_u32_e32 v39, 64, v39
	v_add_u32_e32 v5, v5, v59
	v_cndmask_b32_e64 v6, v6, 1, vcc
	s_mov_b64 s[44:45], 0
.LBB58_109:                             ;   in Loop: Header=BB58_110 Depth=1
	s_and_b64 vcc, exec, s[44:45]
	s_cbranch_vccnz .LBB58_115
.LBB58_110:                             ; =>This Loop Header: Depth=1
                                        ;     Child Loop BB58_113 Depth 2
	v_cmp_ne_u16_sdwa s[44:45], v7, v45 src0_sel:BYTE_0 src1_sel:DWORD
	v_mov_b32_e32 v58, v6
	v_mov_b32_e32 v59, v5
	s_cmp_lg_u64 s[44:45], exec
	s_mov_b64 s[44:45], -1
                                        ; implicit-def: $vgpr6
                                        ; implicit-def: $vgpr5
                                        ; implicit-def: $vgpr7
	s_cbranch_scc1 .LBB58_109
; %bb.111:                              ;   in Loop: Header=BB58_110 Depth=1
	v_lshlrev_b64 v[5:6], 4, v[39:40]
	v_mov_b32_e32 v7, s49
	v_add_co_u32_e32 v41, vcc, s48, v5
	v_addc_co_u32_e32 v42, vcc, v7, v6, vcc
	;;#ASMSTART
	global_load_dwordx4 v[5:8], v[41:42] off glc	
s_waitcnt vmcnt(0)
	;;#ASMEND
	v_cmp_eq_u16_sdwa s[52:53], v7, v40 src0_sel:BYTE_0 src1_sel:DWORD
	s_and_saveexec_b64 s[44:45], s[52:53]
	s_cbranch_execz .LBB58_108
; %bb.112:                              ;   in Loop: Header=BB58_110 Depth=1
	s_mov_b64 s[52:53], 0
.LBB58_113:                             ;   Parent Loop BB58_110 Depth=1
                                        ; =>  This Inner Loop Header: Depth=2
	;;#ASMSTART
	global_load_dwordx4 v[5:8], v[41:42] off glc	
s_waitcnt vmcnt(0)
	;;#ASMEND
	v_cmp_ne_u16_sdwa s[54:55], v7, v40 src0_sel:BYTE_0 src1_sel:DWORD
	s_or_b64 s[52:53], s[54:55], s[52:53]
	s_andn2_b64 exec, exec, s[52:53]
	s_cbranch_execnz .LBB58_113
	s_branch .LBB58_107
.LBB58_114:
                                        ; implicit-def: $vgpr1_vgpr2
                                        ; implicit-def: $vgpr39
                                        ; implicit-def: $vgpr40
                                        ; implicit-def: $vgpr41
                                        ; implicit-def: $vgpr42
                                        ; implicit-def: $vgpr43
                                        ; implicit-def: $vgpr44
                                        ; implicit-def: $vgpr45
                                        ; implicit-def: $vgpr46
                                        ; implicit-def: $vgpr47
                                        ; implicit-def: $vgpr48
                                        ; implicit-def: $vgpr49
                                        ; implicit-def: $vgpr50
                                        ; implicit-def: $vgpr51
                                        ; implicit-def: $vgpr52
	s_cbranch_execnz .LBB58_120
	s_branch .LBB58_139
.LBB58_115:
	s_and_saveexec_b64 s[40:41], s[36:37]
	s_cbranch_execz .LBB58_117
; %bb.116:
	s_mov_b32 s7, 0
	v_mov_b32_e32 v4, 0
	s_add_i32 s6, s6, 64
	v_cmp_eq_u32_sdwa vcc, v2, v4 src0_sel:BYTE_0 src1_sel:DWORD
	s_lshl_b64 s[6:7], s[6:7], 4
	v_cndmask_b32_e32 v3, 0, v59, vcc
	v_and_b32_e32 v2, 1, v2
	s_add_u32 s6, s48, s6
	v_add_u32_e32 v1, v3, v1
	s_addc_u32 s7, s49, s7
	v_and_b32_e32 v3, 1, v58
	v_cmp_eq_u32_e32 vcc, 1, v2
	v_mov_b32_e32 v5, s6
	v_cndmask_b32_e64 v2, v3, 1, vcc
	v_mov_b32_e32 v3, 2
	v_mov_b32_e32 v6, s7
	;;#ASMSTART
	global_store_dwordx4 v[5:6], v[1:4] off	
s_waitcnt vmcnt(0)
	;;#ASMEND
.LBB58_117:
	s_or_b64 exec, exec, s[40:41]
	s_and_b64 exec, exec, s[34:35]
	s_cbranch_execz .LBB58_119
; %bb.118:
	v_mov_b32_e32 v1, 0
	ds_write_b32 v1, v59
	ds_write_b8 v1, v58 offset:4
.LBB58_119:
	s_or_b64 exec, exec, s[38:39]
	s_mov_b32 s6, 0
	s_mov_b32 s7, 1
	v_mov_b32_e32 v1, 0
	v_cmp_gt_u64_e32 vcc, s[6:7], v[9:10]
	s_waitcnt lgkmcnt(0)
	s_barrier
	ds_read_b32 v2, v1
	v_and_b32_e32 v4, 1, v10
	v_cndmask_b32_e32 v3, 0, v43, vcc
	v_cmp_eq_u32_e32 vcc, 1, v4
	v_cndmask_b32_e64 v4, v44, 1, vcc
	v_cndmask_b32_e64 v4, v4, v10, s[34:35]
	v_cmp_eq_u16_sdwa vcc, v4, v1 src0_sel:BYTE_0 src1_sel:DWORD
	v_cndmask_b32_e64 v3, v3, 0, s[34:35]
	s_waitcnt lgkmcnt(0)
	v_cndmask_b32_e32 v1, 0, v2, vcc
	v_add3_u32 v1, v3, v9, v1
	v_cndmask_b32_e64 v2, 0, v1, s[2:3]
	v_add_u32_e32 v39, v2, v35
	v_cndmask_b32_e64 v2, 0, v39, s[42:43]
	v_add_u32_e32 v40, v2, v33
	;; [unrolled: 2-line block ×14, first 2 shown]
	s_branch .LBB58_139
.LBB58_120:
	s_cmp_lg_u64 s[56:57], 0
	s_cselect_b64 s[6:7], -1, 0
	v_cmp_eq_u32_e32 vcc, 0, v0
	s_mov_b32 s34, 0
	v_cmp_ne_u32_e64 s[2:3], 0, v0
	s_and_b64 s[6:7], vcc, s[6:7]
	s_and_saveexec_b64 s[8:9], s[6:7]
	s_cbranch_execz .LBB58_122
; %bb.121:
	v_mov_b32_e32 v1, 0
	global_load_dword v3, v1, s[56:57]
	global_load_ubyte v4, v1, s[56:57] offset:4
	s_mov_b32 s35, 1
	v_cmp_gt_u64_e64 s[6:7], s[34:35], v[9:10]
	v_and_b32_e32 v2, 1, v10
	s_waitcnt vmcnt(1)
	v_cndmask_b32_e64 v3, 0, v3, s[6:7]
	v_cmp_eq_u64_e64 s[6:7], 0, v[1:2]
	s_waitcnt vmcnt(0)
	v_and_b32_e32 v4, 1, v4
	v_add_u32_e32 v9, v3, v9
	v_cndmask_b32_e64 v10, 1, v4, s[6:7]
.LBB58_122:
	s_or_b64 exec, exec, s[8:9]
	s_mov_b32 s35, 1
	v_cmp_gt_u64_e64 s[6:7], s[34:35], v[35:36]
	v_cmp_gt_u64_e64 s[8:9], s[34:35], v[33:34]
	v_cndmask_b32_e64 v1, 0, v9, s[6:7]
	v_add_u32_e32 v39, v1, v35
	v_cndmask_b32_e64 v1, 0, v39, s[8:9]
	v_cmp_gt_u64_e64 s[10:11], s[34:35], v[31:32]
	v_add_u32_e32 v40, v1, v33
	v_cndmask_b32_e64 v1, 0, v40, s[10:11]
	v_cmp_gt_u64_e64 s[12:13], s[34:35], v[29:30]
	;; [unrolled: 3-line block ×12, first 2 shown]
	v_or3_b32 v1, v55, v26, v28
	v_add_u32_e32 v51, v2, v11
	v_or3_b32 v1, v1, v30, v32
	v_cndmask_b32_e64 v2, 0, v51, s[34:35]
	v_or3_b32 v1, v1, v34, v36
	v_add_u32_e32 v52, v2, v37
	v_or3_b32 v2, v54, v16, v18
	v_or3_b32 v1, v2, v20, v1
	v_and_b32_e32 v2, 0xff, v1
	v_mov_b32_e32 v1, 0
	v_cmp_eq_u64_e64 s[36:37], 0, v[1:2]
	v_and_b32_e32 v1, 56, v53
	v_cndmask_b32_e64 v5, 1, v10, s[36:37]
	v_lshl_add_u32 v1, v0, 3, v1
	v_cmp_gt_u32_e64 s[36:37], 64, v0
	ds_write_b32 v1, v52
	ds_write_b8 v1, v5 offset:4
	s_waitcnt lgkmcnt(0)
	s_barrier
	s_and_saveexec_b64 s[52:53], s[36:37]
	s_cbranch_execz .LBB58_134
; %bb.123:
	v_and_b32_e32 v1, 0xf8, v0
	v_lshlrev_b32_e32 v2, 5, v0
	v_add_u32_e32 v6, v1, v2
	ds_read2_b32 v[1:2], v6 offset0:2 offset1:4
	ds_read_b64 v[3:4], v6
	ds_read_u8 v20, v6 offset:12
	ds_read_u8 v12, v6 offset:20
	ds_read_b32 v7, v6 offset:24
	ds_read_u8 v14, v6 offset:28
	s_waitcnt lgkmcnt(4)
	v_and_b32_e32 v8, 1, v4
	s_waitcnt lgkmcnt(3)
	v_cmp_eq_u16_e64 s[40:41], 0, v20
	s_waitcnt lgkmcnt(2)
	v_or_b32_e32 v18, v12, v20
	v_cndmask_b32_e64 v16, 0, v3, s[40:41]
	v_cmp_eq_u16_e64 s[38:39], 0, v18
	v_add_u32_e32 v16, v16, v1
	v_cmp_eq_u16_e64 s[36:37], 0, v12
	v_cndmask_b32_e64 v18, 1, v8, s[38:39]
	s_waitcnt lgkmcnt(0)
	v_cmp_eq_u16_e64 s[38:39], 0, v14
	v_and_b32_e32 v14, 1, v14
	v_cndmask_b32_e64 v16, 0, v16, s[36:37]
	v_cmp_eq_u32_e64 s[42:43], 1, v14
	v_add_u32_e32 v16, v16, v2
	v_cndmask_b32_e64 v22, v18, 1, s[42:43]
	v_mbcnt_lo_u32_b32 v18, -1, 0
	v_cndmask_b32_e64 v16, 0, v16, s[38:39]
	v_and_b32_e32 v14, 0xffffff00, v4
	v_mbcnt_hi_u32_b32 v18, -1, v18
	v_add_u32_e32 v16, v16, v7
	v_and_b32_e32 v28, 15, v18
	v_or_b32_sdwa v24, v14, v22 dst_sel:DWORD dst_unused:UNUSED_PAD src0_sel:DWORD src1_sel:WORD_0
	v_mov_b32_dpp v26, v16 row_shr:1 row_mask:0xf bank_mask:0xf
	v_cmp_ne_u32_e64 s[44:45], 0, v28
	v_mov_b32_dpp v30, v24 row_shr:1 row_mask:0xf bank_mask:0xf
	s_and_saveexec_b64 s[54:55], s[44:45]
; %bb.124:
	v_and_b32_e32 v24, 1, v22
	v_and_b32_e32 v30, 1, v30
	v_cmp_eq_u32_e64 s[44:45], 1, v24
	v_cndmask_b32_e64 v30, v30, 1, s[44:45]
	v_cmp_eq_u16_e64 s[44:45], 0, v22
	v_cndmask_b32_e64 v22, 0, v26, s[44:45]
	v_add_u32_e32 v16, v22, v16
	v_or_b32_sdwa v24, v14, v30 dst_sel:DWORD dst_unused:UNUSED_PAD src0_sel:DWORD src1_sel:WORD_0
	v_mov_b32_e32 v22, v30
; %bb.125:
	s_or_b64 exec, exec, s[54:55]
	v_mov_b32_dpp v30, v16 row_shr:2 row_mask:0xf bank_mask:0xf
	v_mov_b32_dpp v32, v24 row_shr:2 row_mask:0xf bank_mask:0xf
	v_cmp_lt_u32_e64 s[44:45], 1, v28
	v_mov_b32_e32 v26, v24
	s_and_saveexec_b64 s[54:55], s[44:45]
	s_cbranch_execz .LBB58_127
; %bb.126:
	v_and_b32_e32 v22, 1, v24
	v_and_b32_e32 v26, 1, v32
	v_cmp_eq_u32_e64 s[44:45], 1, v22
	v_cndmask_b32_e64 v22, v26, 1, s[44:45]
	v_mov_b32_e32 v26, 0
	v_cmp_eq_u16_sdwa s[44:45], v24, v26 src0_sel:BYTE_0 src1_sel:DWORD
	v_cndmask_b32_e64 v24, 0, v30, s[44:45]
	v_add_u32_e32 v16, v24, v16
	v_or_b32_sdwa v24, v14, v22 dst_sel:DWORD dst_unused:UNUSED_PAD src0_sel:DWORD src1_sel:WORD_0
	v_mov_b32_e32 v26, v22
.LBB58_127:
	s_or_b64 exec, exec, s[54:55]
	v_mov_b32_dpp v30, v16 row_shr:4 row_mask:0xf bank_mask:0xf
	v_mov_b32_dpp v32, v24 row_shr:4 row_mask:0xf bank_mask:0xf
	v_cmp_lt_u32_e64 s[44:45], 3, v28
	s_and_saveexec_b64 s[54:55], s[44:45]
	s_cbranch_execz .LBB58_129
; %bb.128:
	v_and_b32_e32 v22, 1, v26
	v_and_b32_e32 v24, 1, v32
	v_cmp_eq_u32_e64 s[44:45], 1, v22
	v_cndmask_b32_e64 v22, v24, 1, s[44:45]
	v_mov_b32_e32 v24, 0
	v_cmp_eq_u16_sdwa s[44:45], v26, v24 src0_sel:BYTE_0 src1_sel:DWORD
	v_cndmask_b32_e64 v24, 0, v30, s[44:45]
	v_add_u32_e32 v16, v24, v16
	v_or_b32_sdwa v24, v14, v22 dst_sel:DWORD dst_unused:UNUSED_PAD src0_sel:DWORD src1_sel:WORD_0
	v_mov_b32_e32 v26, v22
.LBB58_129:
	s_or_b64 exec, exec, s[54:55]
	v_mov_b32_dpp v30, v16 row_shr:8 row_mask:0xf bank_mask:0xf
	v_mov_b32_dpp v32, v24 row_shr:8 row_mask:0xf bank_mask:0xf
	v_cmp_lt_u32_e64 s[44:45], 7, v28
	s_and_saveexec_b64 s[54:55], s[44:45]
	s_cbranch_execz .LBB58_131
; %bb.130:
	v_and_b32_e32 v22, 1, v26
	v_and_b32_e32 v24, 1, v32
	v_cmp_eq_u32_e64 s[44:45], 1, v22
	v_cndmask_b32_e64 v22, v24, 1, s[44:45]
	v_mov_b32_e32 v24, 0
	v_cmp_eq_u16_sdwa s[44:45], v26, v24 src0_sel:BYTE_0 src1_sel:DWORD
	v_cndmask_b32_e64 v24, 0, v30, s[44:45]
	v_add_u32_e32 v16, v24, v16
	v_or_b32_sdwa v24, v14, v22 dst_sel:DWORD dst_unused:UNUSED_PAD src0_sel:DWORD src1_sel:WORD_0
	v_mov_b32_e32 v26, v22
.LBB58_131:
	s_or_b64 exec, exec, s[54:55]
	v_and_b32_e32 v32, 16, v18
	v_mov_b32_dpp v28, v16 row_bcast:15 row_mask:0xf bank_mask:0xf
	v_mov_b32_dpp v30, v24 row_bcast:15 row_mask:0xf bank_mask:0xf
	v_cmp_ne_u32_e64 s[44:45], 0, v32
	s_and_saveexec_b64 s[54:55], s[44:45]
	s_cbranch_execz .LBB58_133
; %bb.132:
	v_and_b32_e32 v22, 1, v26
	v_and_b32_e32 v24, 1, v30
	v_cmp_eq_u32_e64 s[44:45], 1, v22
	v_cndmask_b32_e64 v22, v24, 1, s[44:45]
	v_mov_b32_e32 v24, 0
	v_cmp_eq_u16_sdwa s[44:45], v26, v24 src0_sel:BYTE_0 src1_sel:DWORD
	v_cndmask_b32_e64 v24, 0, v28, s[44:45]
	v_add_u32_e32 v16, v24, v16
	v_or_b32_sdwa v24, v14, v22 dst_sel:DWORD dst_unused:UNUSED_PAD src0_sel:DWORD src1_sel:WORD_0
	v_mov_b32_e32 v26, v22
.LBB58_133:
	s_or_b64 exec, exec, s[54:55]
	v_mov_b32_dpp v24, v24 row_bcast:31 row_mask:0xf bank_mask:0xf
	v_and_b32_e32 v30, 1, v26
	v_and_b32_e32 v24, 1, v24
	v_cmp_eq_u32_e64 s[44:45], 1, v30
	v_mov_b32_e32 v30, 0
	v_cndmask_b32_e64 v24, v24, 1, s[44:45]
	v_cmp_eq_u16_sdwa s[54:55], v26, v30 src0_sel:BYTE_0 src1_sel:DWORD
	v_cmp_lt_u32_e64 s[44:45], 31, v18
	v_mov_b32_dpp v28, v16 row_bcast:31 row_mask:0xf bank_mask:0xf
	v_cndmask_b32_e64 v22, v22, v24, s[44:45]
	s_and_b64 s[44:45], s[44:45], s[54:55]
	v_cndmask_b32_e64 v24, 0, v28, s[44:45]
	v_add_u32_e32 v16, v24, v16
	v_add_u32_e32 v24, -1, v18
	v_and_b32_e32 v26, 64, v18
	v_cmp_lt_i32_e64 s[44:45], v24, v26
	v_cndmask_b32_e64 v18, v24, v18, s[44:45]
	v_lshlrev_b32_e32 v18, 2, v18
	ds_bpermute_b32 v16, v18, v16
	v_or_b32_sdwa v14, v14, v22 dst_sel:DWORD dst_unused:UNUSED_PAD src0_sel:DWORD src1_sel:WORD_0
	ds_bpermute_b32 v14, v18, v14
	v_cmp_eq_u16_sdwa s[44:45], v4, v30 src0_sel:BYTE_0 src1_sel:DWORD
	v_and_b32_e32 v20, 1, v20
	s_waitcnt lgkmcnt(1)
	v_cndmask_b32_e64 v4, 0, v16, s[44:45]
	v_add_u32_e32 v3, v4, v3
	s_waitcnt lgkmcnt(0)
	v_and_b32_e32 v4, 1, v14
	v_cmp_eq_u32_e64 s[44:45], 1, v8
	v_cndmask_b32_e64 v4, v4, 1, s[44:45]
	v_cndmask_b32_e32 v3, v3, v52, vcc
	v_cndmask_b32_e32 v4, v4, v5, vcc
	v_cndmask_b32_e64 v5, 0, v3, s[40:41]
	v_add_u32_e32 v1, v5, v1
	v_cmp_eq_u32_e64 s[40:41], 1, v20
	ds_write_b8 v6, v4 offset:4
	v_cndmask_b32_e64 v4, v4, 1, s[40:41]
	ds_write2_b32 v6, v3, v1 offset1:2
	ds_write_b8 v6, v4 offset:12
	v_cndmask_b32_e64 v1, 0, v1, s[36:37]
	v_and_b32_e32 v12, 1, v12
	v_add_u32_e32 v1, v1, v2
	v_cmp_eq_u32_e64 s[36:37], 1, v12
	v_cndmask_b32_e64 v3, 0, v1, s[38:39]
	v_cndmask_b32_e64 v2, v4, 1, s[36:37]
	v_add_u32_e32 v3, v3, v7
	ds_write_b8 v6, v2 offset:20
	v_cndmask_b32_e64 v2, v2, 1, s[42:43]
	ds_write2_b32 v6, v1, v3 offset0:4 offset1:6
	ds_write_b8 v6, v2 offset:28
.LBB58_134:
	s_or_b64 exec, exec, s[52:53]
	s_waitcnt lgkmcnt(0)
	s_barrier
	s_and_saveexec_b64 s[36:37], s[2:3]
	s_cbranch_execz .LBB58_136
; %bb.135:
	v_add_u32_e32 v1, -1, v0
	v_lshrrev_b32_e32 v2, 2, v1
	v_and_b32_e32 v2, 0x3ffffff8, v2
	v_lshl_add_u32 v1, v1, 3, v2
	ds_read_b32 v1, v1
	s_mov_b32 s2, 0
	s_mov_b32 s3, 1
	v_cmp_gt_u64_e64 s[2:3], s[2:3], v[9:10]
	s_waitcnt lgkmcnt(0)
	v_cndmask_b32_e64 v1, 0, v1, s[2:3]
	v_add_u32_e32 v9, v1, v9
	v_cndmask_b32_e64 v1, 0, v9, s[6:7]
	v_add_u32_e32 v39, v1, v35
	;; [unrolled: 2-line block ×15, first 2 shown]
.LBB58_136:
	s_or_b64 exec, exec, s[36:37]
	s_and_saveexec_b64 s[2:3], vcc
	s_cbranch_execz .LBB58_138
; %bb.137:
	v_mov_b32_e32 v4, 0
	ds_read_b32 v1, v4 offset:2096
	ds_read_u8 v2, v4 offset:2100
	s_add_u32 s6, s48, 0x400
	s_addc_u32 s7, s49, 0
	v_mov_b32_e32 v5, s6
	v_mov_b32_e32 v3, 2
	;; [unrolled: 1-line block ×3, first 2 shown]
	s_waitcnt lgkmcnt(0)
	;;#ASMSTART
	global_store_dwordx4 v[5:6], v[1:4] off	
s_waitcnt vmcnt(0)
	;;#ASMEND
.LBB58_138:
	s_or_b64 exec, exec, s[2:3]
	v_mov_b32_e32 v1, v9
	v_mov_b32_e32 v2, v10
.LBB58_139:
	s_load_dwordx2 s[2:3], s[4:5], 0x18
	s_waitcnt lgkmcnt(0)
	s_add_u32 s2, s2, s46
	s_addc_u32 s3, s3, s47
	s_and_b64 vcc, exec, s[0:1]
	s_cbranch_vccz .LBB58_193
; %bb.140:
	s_add_i32 s33, s33, s50
	v_mul_u32_u24_e32 v2, 15, v0
	v_cmp_gt_u32_e32 vcc, s33, v2
	s_and_saveexec_b64 s[0:1], vcc
	s_cbranch_execz .LBB58_164
; %bb.141:
	v_add_u32_e32 v3, 1, v2
	v_cmp_gt_u32_e32 vcc, s33, v3
	s_and_saveexec_b64 s[4:5], vcc
	s_cbranch_execz .LBB58_163
; %bb.142:
	v_add_u32_e32 v3, 2, v2
	;; [unrolled: 5-line block ×11, first 2 shown]
	v_cmp_gt_u32_e32 vcc, s33, v3
	s_and_saveexec_b64 s[24:25], vcc
; %bb.152:
	v_add_u32_e32 v3, 12, v2
	v_cmp_gt_u32_e32 vcc, s33, v3
	s_and_saveexec_b64 s[26:27], vcc
	s_or_b64 exec, exec, s[26:27]
; %bb.153:
	s_or_b64 exec, exec, s[24:25]
.LBB58_154:
	s_or_b64 exec, exec, s[22:23]
.LBB58_155:
	s_or_b64 exec, exec, s[20:21]
.LBB58_156:
	s_or_b64 exec, exec, s[18:19]
.LBB58_157:
	s_or_b64 exec, exec, s[16:17]
.LBB58_158:
	s_or_b64 exec, exec, s[14:15]
.LBB58_159:
	s_or_b64 exec, exec, s[12:13]
.LBB58_160:
	s_or_b64 exec, exec, s[10:11]
.LBB58_161:
	s_or_b64 exec, exec, s[8:9]
.LBB58_162:
	s_or_b64 exec, exec, s[6:7]
.LBB58_163:
	s_or_b64 exec, exec, s[4:5]
.LBB58_164:
	s_or_b64 exec, exec, s[0:1]
	v_lshlrev_b32_e32 v18, 2, v2
	s_movk_i32 s0, 0xffc8
	v_mad_i32_i24 v2, v0, s0, v18
	s_barrier
	ds_write2_b32 v18, v1, v39 offset1:1
	ds_write2_b32 v18, v40, v41 offset0:2 offset1:3
	ds_write2_b32 v18, v42, v43 offset0:4 offset1:5
	;; [unrolled: 1-line block ×6, first 2 shown]
	ds_write_b32 v18, v52 offset:56
	s_waitcnt lgkmcnt(0)
	s_barrier
	ds_read2st64_b32 v[16:17], v2 offset0:4 offset1:8
	ds_read2st64_b32 v[14:15], v2 offset0:12 offset1:16
	;; [unrolled: 1-line block ×7, first 2 shown]
	v_mov_b32_e32 v5, s3
	v_add_co_u32_e32 v4, vcc, s2, v69
	v_addc_co_u32_e32 v5, vcc, 0, v5, vcc
	v_cmp_gt_u32_e32 vcc, s33, v0
	s_and_saveexec_b64 s[0:1], vcc
	s_cbranch_execz .LBB58_166
; %bb.165:
	v_mul_i32_i24_e32 v19, 0xffffffc8, v0
	v_add_u32_e32 v18, v18, v19
	ds_read_b32 v18, v18
	s_waitcnt lgkmcnt(0)
	v_cvt_f32_i32_e32 v18, v18
	global_store_dword v[4:5], v18, off
.LBB58_166:
	s_or_b64 exec, exec, s[0:1]
	v_or_b32_e32 v18, 0x100, v0
	v_cmp_gt_u32_e32 vcc, s33, v18
	s_and_saveexec_b64 s[0:1], vcc
	s_cbranch_execz .LBB58_168
; %bb.167:
	s_waitcnt lgkmcnt(6)
	v_cvt_f32_i32_e32 v16, v16
	global_store_dword v[4:5], v16, off offset:1024
.LBB58_168:
	s_or_b64 exec, exec, s[0:1]
	s_waitcnt lgkmcnt(6)
	v_or_b32_e32 v16, 0x200, v0
	v_cmp_gt_u32_e32 vcc, s33, v16
	s_and_saveexec_b64 s[0:1], vcc
	s_cbranch_execz .LBB58_170
; %bb.169:
	v_cvt_f32_i32_e32 v16, v17
	global_store_dword v[4:5], v16, off offset:2048
.LBB58_170:
	s_or_b64 exec, exec, s[0:1]
	v_or_b32_e32 v16, 0x300, v0
	v_cmp_gt_u32_e32 vcc, s33, v16
	s_and_saveexec_b64 s[0:1], vcc
	s_cbranch_execz .LBB58_172
; %bb.171:
	s_waitcnt lgkmcnt(5)
	v_cvt_f32_i32_e32 v14, v14
	global_store_dword v[4:5], v14, off offset:3072
.LBB58_172:
	s_or_b64 exec, exec, s[0:1]
	s_waitcnt lgkmcnt(5)
	v_or_b32_e32 v14, 0x400, v0
	v_cmp_gt_u32_e32 vcc, s33, v14
	s_and_saveexec_b64 s[0:1], vcc
	s_cbranch_execz .LBB58_174
; %bb.173:
	v_cvt_f32_i32_e32 v16, v15
	v_add_co_u32_e32 v14, vcc, 0x1000, v4
	v_addc_co_u32_e32 v15, vcc, 0, v5, vcc
	global_store_dword v[14:15], v16, off
.LBB58_174:
	s_or_b64 exec, exec, s[0:1]
	v_or_b32_e32 v14, 0x500, v0
	v_cmp_gt_u32_e32 vcc, s33, v14
	s_and_saveexec_b64 s[0:1], vcc
	s_cbranch_execz .LBB58_176
; %bb.175:
	s_waitcnt lgkmcnt(4)
	v_cvt_f32_i32_e32 v12, v12
	v_add_co_u32_e32 v14, vcc, 0x1000, v4
	v_addc_co_u32_e32 v15, vcc, 0, v5, vcc
	global_store_dword v[14:15], v12, off offset:1024
.LBB58_176:
	s_or_b64 exec, exec, s[0:1]
	s_waitcnt lgkmcnt(4)
	v_or_b32_e32 v12, 0x600, v0
	v_cmp_gt_u32_e32 vcc, s33, v12
	s_and_saveexec_b64 s[0:1], vcc
	s_cbranch_execz .LBB58_178
; %bb.177:
	v_cvt_f32_i32_e32 v14, v13
	v_add_co_u32_e32 v12, vcc, 0x1000, v4
	v_addc_co_u32_e32 v13, vcc, 0, v5, vcc
	global_store_dword v[12:13], v14, off offset:2048
.LBB58_178:
	s_or_b64 exec, exec, s[0:1]
	v_or_b32_e32 v12, 0x700, v0
	v_cmp_gt_u32_e32 vcc, s33, v12
	s_and_saveexec_b64 s[0:1], vcc
	s_cbranch_execz .LBB58_180
; %bb.179:
	s_waitcnt lgkmcnt(3)
	v_cvt_f32_i32_e32 v10, v10
	v_add_co_u32_e32 v12, vcc, 0x1000, v4
	v_addc_co_u32_e32 v13, vcc, 0, v5, vcc
	global_store_dword v[12:13], v10, off offset:3072
.LBB58_180:
	s_or_b64 exec, exec, s[0:1]
	s_waitcnt lgkmcnt(3)
	v_or_b32_e32 v10, 0x800, v0
	v_cmp_gt_u32_e32 vcc, s33, v10
	s_and_saveexec_b64 s[0:1], vcc
	s_cbranch_execz .LBB58_182
; %bb.181:
	v_cvt_f32_i32_e32 v12, v11
	v_add_co_u32_e32 v10, vcc, 0x2000, v4
	v_addc_co_u32_e32 v11, vcc, 0, v5, vcc
	global_store_dword v[10:11], v12, off
.LBB58_182:
	s_or_b64 exec, exec, s[0:1]
	v_or_b32_e32 v10, 0x900, v0
	v_cmp_gt_u32_e32 vcc, s33, v10
	s_and_saveexec_b64 s[0:1], vcc
	s_cbranch_execz .LBB58_184
; %bb.183:
	s_waitcnt lgkmcnt(2)
	v_cvt_f32_i32_e32 v8, v8
	v_add_co_u32_e32 v10, vcc, 0x2000, v4
	v_addc_co_u32_e32 v11, vcc, 0, v5, vcc
	global_store_dword v[10:11], v8, off offset:1024
.LBB58_184:
	s_or_b64 exec, exec, s[0:1]
	s_waitcnt lgkmcnt(2)
	v_or_b32_e32 v8, 0xa00, v0
	v_cmp_gt_u32_e32 vcc, s33, v8
	s_and_saveexec_b64 s[0:1], vcc
	s_cbranch_execz .LBB58_186
; %bb.185:
	v_cvt_f32_i32_e32 v10, v9
	v_add_co_u32_e32 v8, vcc, 0x2000, v4
	v_addc_co_u32_e32 v9, vcc, 0, v5, vcc
	global_store_dword v[8:9], v10, off offset:2048
.LBB58_186:
	s_or_b64 exec, exec, s[0:1]
	v_or_b32_e32 v8, 0xb00, v0
	v_cmp_gt_u32_e32 vcc, s33, v8
	s_and_saveexec_b64 s[0:1], vcc
	s_cbranch_execz .LBB58_188
; %bb.187:
	s_waitcnt lgkmcnt(1)
	v_cvt_f32_i32_e32 v6, v6
	v_add_co_u32_e32 v8, vcc, 0x2000, v4
	v_addc_co_u32_e32 v9, vcc, 0, v5, vcc
	global_store_dword v[8:9], v6, off offset:3072
.LBB58_188:
	s_or_b64 exec, exec, s[0:1]
	s_waitcnt lgkmcnt(1)
	v_or_b32_e32 v6, 0xc00, v0
	v_cmp_gt_u32_e32 vcc, s33, v6
	s_and_saveexec_b64 s[0:1], vcc
	s_cbranch_execz .LBB58_190
; %bb.189:
	v_cvt_f32_i32_e32 v8, v7
	v_add_co_u32_e32 v6, vcc, 0x3000, v4
	v_addc_co_u32_e32 v7, vcc, 0, v5, vcc
	global_store_dword v[6:7], v8, off
.LBB58_190:
	s_or_b64 exec, exec, s[0:1]
	v_or_b32_e32 v6, 0xd00, v0
	v_cmp_gt_u32_e32 vcc, s33, v6
	s_and_saveexec_b64 s[0:1], vcc
	s_cbranch_execz .LBB58_192
; %bb.191:
	s_waitcnt lgkmcnt(0)
	v_cvt_f32_i32_e32 v2, v2
	v_add_co_u32_e32 v4, vcc, 0x3000, v4
	v_addc_co_u32_e32 v5, vcc, 0, v5, vcc
	global_store_dword v[4:5], v2, off offset:1024
.LBB58_192:
	s_or_b64 exec, exec, s[0:1]
	s_waitcnt lgkmcnt(0)
	v_or_b32_e32 v2, 0xe00, v0
	v_cmp_gt_u32_e64 s[0:1], s33, v2
	s_branch .LBB58_195
.LBB58_193:
	s_mov_b64 s[0:1], 0
                                        ; implicit-def: $vgpr3
	s_cbranch_execz .LBB58_195
; %bb.194:
	v_mul_u32_u24_e32 v2, 60, v0
	s_waitcnt vmcnt(0)
	s_barrier
	ds_write2_b32 v2, v1, v39 offset1:1
	ds_write2_b32 v2, v40, v41 offset0:2 offset1:3
	ds_write2_b32 v2, v42, v43 offset0:4 offset1:5
	ds_write2_b32 v2, v44, v45 offset0:6 offset1:7
	ds_write2_b32 v2, v46, v47 offset0:8 offset1:9
	ds_write2_b32 v2, v48, v49 offset0:10 offset1:11
	ds_write2_b32 v2, v50, v51 offset0:12 offset1:13
	ds_write_b32 v2, v52 offset:56
	v_mul_i32_i24_e32 v1, 0xffffffc8, v0
	v_mad_u32_u24 v3, v0, 60, v1
	s_waitcnt lgkmcnt(0)
	s_barrier
	ds_read2st64_b32 v[1:2], v3 offset1:4
	ds_read2st64_b32 v[4:5], v3 offset0:8 offset1:12
	ds_read2st64_b32 v[6:7], v3 offset0:16 offset1:20
	ds_read2st64_b32 v[8:9], v3 offset0:24 offset1:28
	ds_read2st64_b32 v[10:11], v3 offset0:32 offset1:36
	ds_read2st64_b32 v[12:13], v3 offset0:40 offset1:44
	ds_read2st64_b32 v[14:15], v3 offset0:48 offset1:52
	ds_read_b32 v3, v3 offset:14336
	s_waitcnt lgkmcnt(7)
	v_cvt_f32_i32_e32 v1, v1
	v_cvt_f32_i32_e32 v2, v2
	v_mov_b32_e32 v16, s3
	v_add_co_u32_e32 v17, vcc, s2, v69
	s_waitcnt lgkmcnt(6)
	v_cvt_f32_i32_e32 v4, v4
	v_addc_co_u32_e32 v16, vcc, 0, v16, vcc
	v_cvt_f32_i32_e32 v5, v5
	s_movk_i32 s4, 0x1000
	global_store_dword v69, v1, s[2:3]
	global_store_dword v69, v2, s[2:3] offset:1024
	global_store_dword v69, v4, s[2:3] offset:2048
	;; [unrolled: 1-line block ×3, first 2 shown]
	s_waitcnt lgkmcnt(5)
	v_cvt_f32_i32_e32 v6, v6
	v_add_co_u32_e32 v1, vcc, s4, v17
	v_addc_co_u32_e32 v2, vcc, 0, v16, vcc
	s_movk_i32 s4, 0x2000
	v_cvt_f32_i32_e32 v7, v7
	v_add_co_u32_e32 v4, vcc, s4, v17
	s_waitcnt lgkmcnt(4)
	v_cvt_f32_i32_e32 v8, v8
	v_addc_co_u32_e32 v5, vcc, 0, v16, vcc
	v_cvt_f32_i32_e32 v9, v9
	global_store_dword v[4:5], v6, off offset:-4096
	global_store_dword v[1:2], v7, off offset:1024
	global_store_dword v[1:2], v8, off offset:2048
	;; [unrolled: 1-line block ×3, first 2 shown]
	s_waitcnt lgkmcnt(3)
	v_cvt_f32_i32_e32 v1, v10
	v_cvt_f32_i32_e32 v2, v11
	s_waitcnt lgkmcnt(2)
	v_cvt_f32_i32_e32 v6, v12
	v_cvt_f32_i32_e32 v7, v13
	global_store_dword v[4:5], v1, off
	global_store_dword v[4:5], v2, off offset:1024
	global_store_dword v[4:5], v6, off offset:2048
	global_store_dword v[4:5], v7, off offset:3072
	s_waitcnt lgkmcnt(1)
	v_cvt_f32_i32_e32 v4, v14
	v_cvt_f32_i32_e32 v5, v15
	v_add_co_u32_e32 v1, vcc, 0x3000, v17
	v_addc_co_u32_e32 v2, vcc, 0, v16, vcc
	s_or_b64 s[0:1], s[0:1], exec
	global_store_dword v[1:2], v4, off
	global_store_dword v[1:2], v5, off offset:1024
.LBB58_195:
	s_and_saveexec_b64 s[4:5], s[0:1]
	s_cbranch_execnz .LBB58_197
; %bb.196:
	s_endpgm
.LBB58_197:
	v_lshlrev_b32_e32 v0, 2, v0
	v_mov_b32_e32 v1, s3
	v_add_co_u32_e32 v0, vcc, s2, v0
	s_waitcnt lgkmcnt(0)
	v_cvt_f32_i32_e32 v2, v3
	v_addc_co_u32_e32 v1, vcc, 0, v1, vcc
	v_add_co_u32_e32 v0, vcc, 0x3000, v0
	v_addc_co_u32_e32 v1, vcc, 0, v1, vcc
	global_store_dword v[0:1], v2, off offset:2048
	s_endpgm
.LBB58_198:
	global_load_sshort v3, v[1:2], off
	s_or_b64 exec, exec, s[42:43]
                                        ; implicit-def: $vgpr4
	s_and_saveexec_b64 s[2:3], s[36:37]
	s_cbranch_execz .LBB58_35
.LBB58_199:
	global_load_sshort v4, v[1:2], off offset:512
	s_or_b64 exec, exec, s[2:3]
                                        ; implicit-def: $vgpr5
	s_and_saveexec_b64 s[2:3], s[8:9]
	s_cbranch_execz .LBB58_36
.LBB58_200:
	global_load_sshort v5, v[1:2], off offset:1024
	s_or_b64 exec, exec, s[2:3]
                                        ; implicit-def: $vgpr6
	s_and_saveexec_b64 s[2:3], s[10:11]
	s_cbranch_execz .LBB58_37
.LBB58_201:
	global_load_sshort v6, v[1:2], off offset:1536
	s_or_b64 exec, exec, s[2:3]
                                        ; implicit-def: $vgpr7
	s_and_saveexec_b64 s[2:3], s[12:13]
	s_cbranch_execz .LBB58_38
.LBB58_202:
	global_load_sshort v7, v[1:2], off offset:2048
	s_or_b64 exec, exec, s[2:3]
                                        ; implicit-def: $vgpr8
	s_and_saveexec_b64 s[2:3], s[14:15]
	s_cbranch_execz .LBB58_39
.LBB58_203:
	global_load_sshort v8, v[1:2], off offset:2560
	s_or_b64 exec, exec, s[2:3]
                                        ; implicit-def: $vgpr9
	s_and_saveexec_b64 s[2:3], s[16:17]
	s_cbranch_execz .LBB58_40
.LBB58_204:
	global_load_sshort v9, v[1:2], off offset:3072
	s_or_b64 exec, exec, s[2:3]
                                        ; implicit-def: $vgpr10
	s_and_saveexec_b64 s[2:3], s[18:19]
	s_cbranch_execz .LBB58_41
.LBB58_205:
	global_load_sshort v10, v[1:2], off offset:3584
	s_or_b64 exec, exec, s[2:3]
                                        ; implicit-def: $vgpr11
	s_and_saveexec_b64 s[2:3], s[20:21]
	s_cbranch_execz .LBB58_42
.LBB58_206:
	v_add_co_u32_e32 v11, vcc, 0x1000, v1
	v_addc_co_u32_e32 v12, vcc, 0, v2, vcc
	global_load_sshort v11, v[11:12], off
	s_or_b64 exec, exec, s[2:3]
                                        ; implicit-def: $vgpr12
	s_and_saveexec_b64 s[2:3], s[22:23]
	s_cbranch_execz .LBB58_43
.LBB58_207:
	v_add_co_u32_e32 v12, vcc, 0x1000, v1
	v_addc_co_u32_e32 v13, vcc, 0, v2, vcc
	global_load_sshort v12, v[12:13], off offset:512
	s_or_b64 exec, exec, s[2:3]
                                        ; implicit-def: $vgpr13
	s_and_saveexec_b64 s[2:3], s[24:25]
	s_cbranch_execz .LBB58_44
.LBB58_208:
	v_add_co_u32_e32 v13, vcc, 0x1000, v1
	v_addc_co_u32_e32 v14, vcc, 0, v2, vcc
	global_load_sshort v13, v[13:14], off offset:1024
	s_or_b64 exec, exec, s[2:3]
                                        ; implicit-def: $vgpr14
	s_and_saveexec_b64 s[2:3], s[26:27]
	s_cbranch_execz .LBB58_45
.LBB58_209:
	v_add_co_u32_e32 v14, vcc, 0x1000, v1
	v_addc_co_u32_e32 v15, vcc, 0, v2, vcc
	global_load_sshort v14, v[14:15], off offset:1536
	s_or_b64 exec, exec, s[2:3]
                                        ; implicit-def: $vgpr15
	s_and_saveexec_b64 s[2:3], s[28:29]
	s_cbranch_execz .LBB58_46
.LBB58_210:
	v_add_co_u32_e32 v15, vcc, 0x1000, v1
	v_addc_co_u32_e32 v16, vcc, 0, v2, vcc
	global_load_sshort v15, v[15:16], off offset:2048
	s_or_b64 exec, exec, s[2:3]
                                        ; implicit-def: $vgpr16
	s_and_saveexec_b64 s[2:3], s[30:31]
	s_cbranch_execz .LBB58_47
.LBB58_211:
	v_add_co_u32_e32 v16, vcc, 0x1000, v1
	v_addc_co_u32_e32 v17, vcc, 0, v2, vcc
	global_load_sshort v16, v[16:17], off offset:2560
	s_or_b64 exec, exec, s[2:3]
                                        ; implicit-def: $vgpr17
	s_and_saveexec_b64 s[2:3], s[34:35]
	s_cbranch_execnz .LBB58_48
	s_branch .LBB58_49
	.section	.rodata,"a",@progbits
	.p2align	6, 0x0
	.amdhsa_kernel _ZN7rocprim6detail25device_scan_by_key_kernelILNS0_25lookback_scan_determinismE0ELb0ENS0_26wrapped_scan_by_key_configINS_14default_configEiiEEPiN6hipcub22TransformInputIteratorIsNS7_6CastOpIsEEPslEEPfsNS7_8EqualityENS7_3SumENS0_19lookback_scan_stateINS_5tupleIJibEEELb0ELb1EEEiEEvT2_T3_T4_T5_T6_T7_T8_mmmPKNSH_IJT9_bEEE
		.amdhsa_group_segment_fixed_size 17408
		.amdhsa_private_segment_fixed_size 0
		.amdhsa_kernarg_size 80
		.amdhsa_user_sgpr_count 6
		.amdhsa_user_sgpr_private_segment_buffer 1
		.amdhsa_user_sgpr_dispatch_ptr 0
		.amdhsa_user_sgpr_queue_ptr 0
		.amdhsa_user_sgpr_kernarg_segment_ptr 1
		.amdhsa_user_sgpr_dispatch_id 0
		.amdhsa_user_sgpr_flat_scratch_init 0
		.amdhsa_user_sgpr_private_segment_size 0
		.amdhsa_uses_dynamic_stack 0
		.amdhsa_system_sgpr_private_segment_wavefront_offset 0
		.amdhsa_system_sgpr_workgroup_id_x 1
		.amdhsa_system_sgpr_workgroup_id_y 0
		.amdhsa_system_sgpr_workgroup_id_z 0
		.amdhsa_system_sgpr_workgroup_info 0
		.amdhsa_system_vgpr_workitem_id 0
		.amdhsa_next_free_vgpr 73
		.amdhsa_next_free_sgpr 98
		.amdhsa_reserve_vcc 1
		.amdhsa_reserve_flat_scratch 0
		.amdhsa_float_round_mode_32 0
		.amdhsa_float_round_mode_16_64 0
		.amdhsa_float_denorm_mode_32 3
		.amdhsa_float_denorm_mode_16_64 3
		.amdhsa_dx10_clamp 1
		.amdhsa_ieee_mode 1
		.amdhsa_fp16_overflow 0
		.amdhsa_exception_fp_ieee_invalid_op 0
		.amdhsa_exception_fp_denorm_src 0
		.amdhsa_exception_fp_ieee_div_zero 0
		.amdhsa_exception_fp_ieee_overflow 0
		.amdhsa_exception_fp_ieee_underflow 0
		.amdhsa_exception_fp_ieee_inexact 0
		.amdhsa_exception_int_div_zero 0
	.end_amdhsa_kernel
	.section	.text._ZN7rocprim6detail25device_scan_by_key_kernelILNS0_25lookback_scan_determinismE0ELb0ENS0_26wrapped_scan_by_key_configINS_14default_configEiiEEPiN6hipcub22TransformInputIteratorIsNS7_6CastOpIsEEPslEEPfsNS7_8EqualityENS7_3SumENS0_19lookback_scan_stateINS_5tupleIJibEEELb0ELb1EEEiEEvT2_T3_T4_T5_T6_T7_T8_mmmPKNSH_IJT9_bEEE,"axG",@progbits,_ZN7rocprim6detail25device_scan_by_key_kernelILNS0_25lookback_scan_determinismE0ELb0ENS0_26wrapped_scan_by_key_configINS_14default_configEiiEEPiN6hipcub22TransformInputIteratorIsNS7_6CastOpIsEEPslEEPfsNS7_8EqualityENS7_3SumENS0_19lookback_scan_stateINS_5tupleIJibEEELb0ELb1EEEiEEvT2_T3_T4_T5_T6_T7_T8_mmmPKNSH_IJT9_bEEE,comdat
.Lfunc_end58:
	.size	_ZN7rocprim6detail25device_scan_by_key_kernelILNS0_25lookback_scan_determinismE0ELb0ENS0_26wrapped_scan_by_key_configINS_14default_configEiiEEPiN6hipcub22TransformInputIteratorIsNS7_6CastOpIsEEPslEEPfsNS7_8EqualityENS7_3SumENS0_19lookback_scan_stateINS_5tupleIJibEEELb0ELb1EEEiEEvT2_T3_T4_T5_T6_T7_T8_mmmPKNSH_IJT9_bEEE, .Lfunc_end58-_ZN7rocprim6detail25device_scan_by_key_kernelILNS0_25lookback_scan_determinismE0ELb0ENS0_26wrapped_scan_by_key_configINS_14default_configEiiEEPiN6hipcub22TransformInputIteratorIsNS7_6CastOpIsEEPslEEPfsNS7_8EqualityENS7_3SumENS0_19lookback_scan_stateINS_5tupleIJibEEELb0ELb1EEEiEEvT2_T3_T4_T5_T6_T7_T8_mmmPKNSH_IJT9_bEEE
                                        ; -- End function
	.set _ZN7rocprim6detail25device_scan_by_key_kernelILNS0_25lookback_scan_determinismE0ELb0ENS0_26wrapped_scan_by_key_configINS_14default_configEiiEEPiN6hipcub22TransformInputIteratorIsNS7_6CastOpIsEEPslEEPfsNS7_8EqualityENS7_3SumENS0_19lookback_scan_stateINS_5tupleIJibEEELb0ELb1EEEiEEvT2_T3_T4_T5_T6_T7_T8_mmmPKNSH_IJT9_bEEE.num_vgpr, 73
	.set _ZN7rocprim6detail25device_scan_by_key_kernelILNS0_25lookback_scan_determinismE0ELb0ENS0_26wrapped_scan_by_key_configINS_14default_configEiiEEPiN6hipcub22TransformInputIteratorIsNS7_6CastOpIsEEPslEEPfsNS7_8EqualityENS7_3SumENS0_19lookback_scan_stateINS_5tupleIJibEEELb0ELb1EEEiEEvT2_T3_T4_T5_T6_T7_T8_mmmPKNSH_IJT9_bEEE.num_agpr, 0
	.set _ZN7rocprim6detail25device_scan_by_key_kernelILNS0_25lookback_scan_determinismE0ELb0ENS0_26wrapped_scan_by_key_configINS_14default_configEiiEEPiN6hipcub22TransformInputIteratorIsNS7_6CastOpIsEEPslEEPfsNS7_8EqualityENS7_3SumENS0_19lookback_scan_stateINS_5tupleIJibEEELb0ELb1EEEiEEvT2_T3_T4_T5_T6_T7_T8_mmmPKNSH_IJT9_bEEE.numbered_sgpr, 58
	.set _ZN7rocprim6detail25device_scan_by_key_kernelILNS0_25lookback_scan_determinismE0ELb0ENS0_26wrapped_scan_by_key_configINS_14default_configEiiEEPiN6hipcub22TransformInputIteratorIsNS7_6CastOpIsEEPslEEPfsNS7_8EqualityENS7_3SumENS0_19lookback_scan_stateINS_5tupleIJibEEELb0ELb1EEEiEEvT2_T3_T4_T5_T6_T7_T8_mmmPKNSH_IJT9_bEEE.num_named_barrier, 0
	.set _ZN7rocprim6detail25device_scan_by_key_kernelILNS0_25lookback_scan_determinismE0ELb0ENS0_26wrapped_scan_by_key_configINS_14default_configEiiEEPiN6hipcub22TransformInputIteratorIsNS7_6CastOpIsEEPslEEPfsNS7_8EqualityENS7_3SumENS0_19lookback_scan_stateINS_5tupleIJibEEELb0ELb1EEEiEEvT2_T3_T4_T5_T6_T7_T8_mmmPKNSH_IJT9_bEEE.private_seg_size, 0
	.set _ZN7rocprim6detail25device_scan_by_key_kernelILNS0_25lookback_scan_determinismE0ELb0ENS0_26wrapped_scan_by_key_configINS_14default_configEiiEEPiN6hipcub22TransformInputIteratorIsNS7_6CastOpIsEEPslEEPfsNS7_8EqualityENS7_3SumENS0_19lookback_scan_stateINS_5tupleIJibEEELb0ELb1EEEiEEvT2_T3_T4_T5_T6_T7_T8_mmmPKNSH_IJT9_bEEE.uses_vcc, 1
	.set _ZN7rocprim6detail25device_scan_by_key_kernelILNS0_25lookback_scan_determinismE0ELb0ENS0_26wrapped_scan_by_key_configINS_14default_configEiiEEPiN6hipcub22TransformInputIteratorIsNS7_6CastOpIsEEPslEEPfsNS7_8EqualityENS7_3SumENS0_19lookback_scan_stateINS_5tupleIJibEEELb0ELb1EEEiEEvT2_T3_T4_T5_T6_T7_T8_mmmPKNSH_IJT9_bEEE.uses_flat_scratch, 0
	.set _ZN7rocprim6detail25device_scan_by_key_kernelILNS0_25lookback_scan_determinismE0ELb0ENS0_26wrapped_scan_by_key_configINS_14default_configEiiEEPiN6hipcub22TransformInputIteratorIsNS7_6CastOpIsEEPslEEPfsNS7_8EqualityENS7_3SumENS0_19lookback_scan_stateINS_5tupleIJibEEELb0ELb1EEEiEEvT2_T3_T4_T5_T6_T7_T8_mmmPKNSH_IJT9_bEEE.has_dyn_sized_stack, 0
	.set _ZN7rocprim6detail25device_scan_by_key_kernelILNS0_25lookback_scan_determinismE0ELb0ENS0_26wrapped_scan_by_key_configINS_14default_configEiiEEPiN6hipcub22TransformInputIteratorIsNS7_6CastOpIsEEPslEEPfsNS7_8EqualityENS7_3SumENS0_19lookback_scan_stateINS_5tupleIJibEEELb0ELb1EEEiEEvT2_T3_T4_T5_T6_T7_T8_mmmPKNSH_IJT9_bEEE.has_recursion, 0
	.set _ZN7rocprim6detail25device_scan_by_key_kernelILNS0_25lookback_scan_determinismE0ELb0ENS0_26wrapped_scan_by_key_configINS_14default_configEiiEEPiN6hipcub22TransformInputIteratorIsNS7_6CastOpIsEEPslEEPfsNS7_8EqualityENS7_3SumENS0_19lookback_scan_stateINS_5tupleIJibEEELb0ELb1EEEiEEvT2_T3_T4_T5_T6_T7_T8_mmmPKNSH_IJT9_bEEE.has_indirect_call, 0
	.section	.AMDGPU.csdata,"",@progbits
; Kernel info:
; codeLenInByte = 12540
; TotalNumSgprs: 62
; NumVgprs: 73
; ScratchSize: 0
; MemoryBound: 0
; FloatMode: 240
; IeeeMode: 1
; LDSByteSize: 17408 bytes/workgroup (compile time only)
; SGPRBlocks: 12
; VGPRBlocks: 18
; NumSGPRsForWavesPerEU: 102
; NumVGPRsForWavesPerEU: 73
; Occupancy: 3
; WaveLimiterHint : 1
; COMPUTE_PGM_RSRC2:SCRATCH_EN: 0
; COMPUTE_PGM_RSRC2:USER_SGPR: 6
; COMPUTE_PGM_RSRC2:TRAP_HANDLER: 0
; COMPUTE_PGM_RSRC2:TGID_X_EN: 1
; COMPUTE_PGM_RSRC2:TGID_Y_EN: 0
; COMPUTE_PGM_RSRC2:TGID_Z_EN: 0
; COMPUTE_PGM_RSRC2:TIDIG_COMP_CNT: 0
	.section	.text._ZN7rocprim6detail31init_lookback_scan_state_kernelINS0_19lookback_scan_stateINS_5tupleIJsbEEELb1ELb1EEEEEvT_jjPNS6_10value_typeE,"axG",@progbits,_ZN7rocprim6detail31init_lookback_scan_state_kernelINS0_19lookback_scan_stateINS_5tupleIJsbEEELb1ELb1EEEEEvT_jjPNS6_10value_typeE,comdat
	.protected	_ZN7rocprim6detail31init_lookback_scan_state_kernelINS0_19lookback_scan_stateINS_5tupleIJsbEEELb1ELb1EEEEEvT_jjPNS6_10value_typeE ; -- Begin function _ZN7rocprim6detail31init_lookback_scan_state_kernelINS0_19lookback_scan_stateINS_5tupleIJsbEEELb1ELb1EEEEEvT_jjPNS6_10value_typeE
	.globl	_ZN7rocprim6detail31init_lookback_scan_state_kernelINS0_19lookback_scan_stateINS_5tupleIJsbEEELb1ELb1EEEEEvT_jjPNS6_10value_typeE
	.p2align	8
	.type	_ZN7rocprim6detail31init_lookback_scan_state_kernelINS0_19lookback_scan_stateINS_5tupleIJsbEEELb1ELb1EEEEEvT_jjPNS6_10value_typeE,@function
_ZN7rocprim6detail31init_lookback_scan_state_kernelINS0_19lookback_scan_stateINS_5tupleIJsbEEELb1ELb1EEEEEvT_jjPNS6_10value_typeE: ; @_ZN7rocprim6detail31init_lookback_scan_state_kernelINS0_19lookback_scan_stateINS_5tupleIJsbEEELb1ELb1EEEEEvT_jjPNS6_10value_typeE
; %bb.0:
	s_load_dword s7, s[4:5], 0x24
	s_load_dwordx2 s[8:9], s[4:5], 0x10
	s_load_dwordx4 s[0:3], s[4:5], 0x0
	s_waitcnt lgkmcnt(0)
	s_and_b32 s4, s7, 0xffff
	s_mul_i32 s6, s6, s4
	s_cmp_eq_u64 s[8:9], 0
	v_add_u32_e32 v0, s6, v0
	s_cbranch_scc1 .LBB59_9
; %bb.1:
	s_cmp_lt_u32 s3, s2
	s_cselect_b32 s4, s3, 0
	s_mov_b32 s7, 0
	v_cmp_eq_u32_e32 vcc, s4, v0
	s_and_saveexec_b64 s[4:5], vcc
	s_cbranch_execz .LBB59_8
; %bb.2:
	s_add_i32 s6, s3, 64
	s_lshl_b64 s[6:7], s[6:7], 3
	s_add_u32 s6, s0, s6
	s_addc_u32 s7, s1, s7
	v_mov_b32_e32 v1, 0
	global_load_dwordx2 v[3:4], v1, s[6:7] glc
	s_waitcnt vmcnt(0)
	v_and_b32_e32 v2, 0xff, v4
	v_cmp_ne_u64_e32 vcc, 0, v[1:2]
	s_cbranch_vccnz .LBB59_7
; %bb.3:
	s_mov_b32 s3, 1
.LBB59_4:                               ; =>This Loop Header: Depth=1
                                        ;     Child Loop BB59_5 Depth 2
	s_mov_b32 s10, s3
.LBB59_5:                               ;   Parent Loop BB59_4 Depth=1
                                        ; =>  This Inner Loop Header: Depth=2
	s_add_i32 s10, s10, -1
	s_cmp_eq_u32 s10, 0
	s_sleep 1
	s_cbranch_scc0 .LBB59_5
; %bb.6:                                ;   in Loop: Header=BB59_4 Depth=1
	global_load_dwordx2 v[3:4], v1, s[6:7] glc
	s_cmp_lt_u32 s3, 32
	s_cselect_b64 s[10:11], -1, 0
	s_cmp_lg_u64 s[10:11], 0
	s_addc_u32 s3, s3, 0
	s_waitcnt vmcnt(0)
	v_and_b32_e32 v2, 0xff, v4
	v_cmp_ne_u64_e32 vcc, 0, v[1:2]
	s_cbranch_vccz .LBB59_4
.LBB59_7:
	v_mov_b32_e32 v1, 0
	global_store_short v1, v3, s[8:9]
	global_store_byte_d16_hi v1, v3, s[8:9] offset:2
.LBB59_8:
	s_or_b64 exec, exec, s[4:5]
.LBB59_9:
	v_cmp_gt_u32_e32 vcc, s2, v0
	s_and_saveexec_b64 s[2:3], vcc
	s_cbranch_execnz .LBB59_12
; %bb.10:
	s_or_b64 exec, exec, s[2:3]
	v_cmp_gt_u32_e32 vcc, 64, v0
	s_and_saveexec_b64 s[2:3], vcc
	s_cbranch_execnz .LBB59_13
.LBB59_11:
	s_endpgm
.LBB59_12:
	v_add_u32_e32 v1, 64, v0
	v_mov_b32_e32 v2, 0
	v_lshlrev_b64 v[3:4], 3, v[1:2]
	v_mov_b32_e32 v1, s1
	v_add_co_u32_e32 v3, vcc, s0, v3
	v_addc_co_u32_e32 v4, vcc, v1, v4, vcc
	v_mov_b32_e32 v1, v2
	global_store_dwordx2 v[3:4], v[1:2], off
	s_or_b64 exec, exec, s[2:3]
	v_cmp_gt_u32_e32 vcc, 64, v0
	s_and_saveexec_b64 s[2:3], vcc
	s_cbranch_execz .LBB59_11
.LBB59_13:
	v_mov_b32_e32 v1, 0
	v_lshlrev_b64 v[2:3], 3, v[0:1]
	v_mov_b32_e32 v0, s1
	v_add_co_u32_e32 v2, vcc, s0, v2
	v_addc_co_u32_e32 v3, vcc, v0, v3, vcc
	v_mov_b32_e32 v5, 0xff
	v_mov_b32_e32 v4, v1
	global_store_dwordx2 v[2:3], v[4:5], off
	s_endpgm
	.section	.rodata,"a",@progbits
	.p2align	6, 0x0
	.amdhsa_kernel _ZN7rocprim6detail31init_lookback_scan_state_kernelINS0_19lookback_scan_stateINS_5tupleIJsbEEELb1ELb1EEEEEvT_jjPNS6_10value_typeE
		.amdhsa_group_segment_fixed_size 0
		.amdhsa_private_segment_fixed_size 0
		.amdhsa_kernarg_size 280
		.amdhsa_user_sgpr_count 6
		.amdhsa_user_sgpr_private_segment_buffer 1
		.amdhsa_user_sgpr_dispatch_ptr 0
		.amdhsa_user_sgpr_queue_ptr 0
		.amdhsa_user_sgpr_kernarg_segment_ptr 1
		.amdhsa_user_sgpr_dispatch_id 0
		.amdhsa_user_sgpr_flat_scratch_init 0
		.amdhsa_user_sgpr_private_segment_size 0
		.amdhsa_uses_dynamic_stack 0
		.amdhsa_system_sgpr_private_segment_wavefront_offset 0
		.amdhsa_system_sgpr_workgroup_id_x 1
		.amdhsa_system_sgpr_workgroup_id_y 0
		.amdhsa_system_sgpr_workgroup_id_z 0
		.amdhsa_system_sgpr_workgroup_info 0
		.amdhsa_system_vgpr_workitem_id 0
		.amdhsa_next_free_vgpr 6
		.amdhsa_next_free_sgpr 12
		.amdhsa_reserve_vcc 1
		.amdhsa_reserve_flat_scratch 0
		.amdhsa_float_round_mode_32 0
		.amdhsa_float_round_mode_16_64 0
		.amdhsa_float_denorm_mode_32 3
		.amdhsa_float_denorm_mode_16_64 3
		.amdhsa_dx10_clamp 1
		.amdhsa_ieee_mode 1
		.amdhsa_fp16_overflow 0
		.amdhsa_exception_fp_ieee_invalid_op 0
		.amdhsa_exception_fp_denorm_src 0
		.amdhsa_exception_fp_ieee_div_zero 0
		.amdhsa_exception_fp_ieee_overflow 0
		.amdhsa_exception_fp_ieee_underflow 0
		.amdhsa_exception_fp_ieee_inexact 0
		.amdhsa_exception_int_div_zero 0
	.end_amdhsa_kernel
	.section	.text._ZN7rocprim6detail31init_lookback_scan_state_kernelINS0_19lookback_scan_stateINS_5tupleIJsbEEELb1ELb1EEEEEvT_jjPNS6_10value_typeE,"axG",@progbits,_ZN7rocprim6detail31init_lookback_scan_state_kernelINS0_19lookback_scan_stateINS_5tupleIJsbEEELb1ELb1EEEEEvT_jjPNS6_10value_typeE,comdat
.Lfunc_end59:
	.size	_ZN7rocprim6detail31init_lookback_scan_state_kernelINS0_19lookback_scan_stateINS_5tupleIJsbEEELb1ELb1EEEEEvT_jjPNS6_10value_typeE, .Lfunc_end59-_ZN7rocprim6detail31init_lookback_scan_state_kernelINS0_19lookback_scan_stateINS_5tupleIJsbEEELb1ELb1EEEEEvT_jjPNS6_10value_typeE
                                        ; -- End function
	.set _ZN7rocprim6detail31init_lookback_scan_state_kernelINS0_19lookback_scan_stateINS_5tupleIJsbEEELb1ELb1EEEEEvT_jjPNS6_10value_typeE.num_vgpr, 6
	.set _ZN7rocprim6detail31init_lookback_scan_state_kernelINS0_19lookback_scan_stateINS_5tupleIJsbEEELb1ELb1EEEEEvT_jjPNS6_10value_typeE.num_agpr, 0
	.set _ZN7rocprim6detail31init_lookback_scan_state_kernelINS0_19lookback_scan_stateINS_5tupleIJsbEEELb1ELb1EEEEEvT_jjPNS6_10value_typeE.numbered_sgpr, 12
	.set _ZN7rocprim6detail31init_lookback_scan_state_kernelINS0_19lookback_scan_stateINS_5tupleIJsbEEELb1ELb1EEEEEvT_jjPNS6_10value_typeE.num_named_barrier, 0
	.set _ZN7rocprim6detail31init_lookback_scan_state_kernelINS0_19lookback_scan_stateINS_5tupleIJsbEEELb1ELb1EEEEEvT_jjPNS6_10value_typeE.private_seg_size, 0
	.set _ZN7rocprim6detail31init_lookback_scan_state_kernelINS0_19lookback_scan_stateINS_5tupleIJsbEEELb1ELb1EEEEEvT_jjPNS6_10value_typeE.uses_vcc, 1
	.set _ZN7rocprim6detail31init_lookback_scan_state_kernelINS0_19lookback_scan_stateINS_5tupleIJsbEEELb1ELb1EEEEEvT_jjPNS6_10value_typeE.uses_flat_scratch, 0
	.set _ZN7rocprim6detail31init_lookback_scan_state_kernelINS0_19lookback_scan_stateINS_5tupleIJsbEEELb1ELb1EEEEEvT_jjPNS6_10value_typeE.has_dyn_sized_stack, 0
	.set _ZN7rocprim6detail31init_lookback_scan_state_kernelINS0_19lookback_scan_stateINS_5tupleIJsbEEELb1ELb1EEEEEvT_jjPNS6_10value_typeE.has_recursion, 0
	.set _ZN7rocprim6detail31init_lookback_scan_state_kernelINS0_19lookback_scan_stateINS_5tupleIJsbEEELb1ELb1EEEEEvT_jjPNS6_10value_typeE.has_indirect_call, 0
	.section	.AMDGPU.csdata,"",@progbits
; Kernel info:
; codeLenInByte = 352
; TotalNumSgprs: 16
; NumVgprs: 6
; ScratchSize: 0
; MemoryBound: 0
; FloatMode: 240
; IeeeMode: 1
; LDSByteSize: 0 bytes/workgroup (compile time only)
; SGPRBlocks: 1
; VGPRBlocks: 1
; NumSGPRsForWavesPerEU: 16
; NumVGPRsForWavesPerEU: 6
; Occupancy: 10
; WaveLimiterHint : 0
; COMPUTE_PGM_RSRC2:SCRATCH_EN: 0
; COMPUTE_PGM_RSRC2:USER_SGPR: 6
; COMPUTE_PGM_RSRC2:TRAP_HANDLER: 0
; COMPUTE_PGM_RSRC2:TGID_X_EN: 1
; COMPUTE_PGM_RSRC2:TGID_Y_EN: 0
; COMPUTE_PGM_RSRC2:TGID_Z_EN: 0
; COMPUTE_PGM_RSRC2:TIDIG_COMP_CNT: 0
	.section	.text._ZN7rocprim6detail31init_lookback_scan_state_kernelINS0_19lookback_scan_stateINS_5tupleIJsbEEELb0ELb1EEEEEvT_jjPNS6_10value_typeE,"axG",@progbits,_ZN7rocprim6detail31init_lookback_scan_state_kernelINS0_19lookback_scan_stateINS_5tupleIJsbEEELb0ELb1EEEEEvT_jjPNS6_10value_typeE,comdat
	.protected	_ZN7rocprim6detail31init_lookback_scan_state_kernelINS0_19lookback_scan_stateINS_5tupleIJsbEEELb0ELb1EEEEEvT_jjPNS6_10value_typeE ; -- Begin function _ZN7rocprim6detail31init_lookback_scan_state_kernelINS0_19lookback_scan_stateINS_5tupleIJsbEEELb0ELb1EEEEEvT_jjPNS6_10value_typeE
	.globl	_ZN7rocprim6detail31init_lookback_scan_state_kernelINS0_19lookback_scan_stateINS_5tupleIJsbEEELb0ELb1EEEEEvT_jjPNS6_10value_typeE
	.p2align	8
	.type	_ZN7rocprim6detail31init_lookback_scan_state_kernelINS0_19lookback_scan_stateINS_5tupleIJsbEEELb0ELb1EEEEEvT_jjPNS6_10value_typeE,@function
_ZN7rocprim6detail31init_lookback_scan_state_kernelINS0_19lookback_scan_stateINS_5tupleIJsbEEELb0ELb1EEEEEvT_jjPNS6_10value_typeE: ; @_ZN7rocprim6detail31init_lookback_scan_state_kernelINS0_19lookback_scan_stateINS_5tupleIJsbEEELb0ELb1EEEEEvT_jjPNS6_10value_typeE
; %bb.0:
	s_load_dword s7, s[4:5], 0x24
	s_load_dwordx2 s[8:9], s[4:5], 0x10
	s_load_dwordx4 s[0:3], s[4:5], 0x0
	s_waitcnt lgkmcnt(0)
	s_and_b32 s4, s7, 0xffff
	s_mul_i32 s6, s6, s4
	s_cmp_eq_u64 s[8:9], 0
	v_add_u32_e32 v0, s6, v0
	s_cbranch_scc1 .LBB60_6
; %bb.1:
	s_cmp_lt_u32 s3, s2
	s_cselect_b32 s4, s3, 0
	s_mov_b32 s7, 0
	v_cmp_eq_u32_e32 vcc, s4, v0
	s_and_saveexec_b64 s[4:5], vcc
	s_cbranch_execz .LBB60_5
; %bb.2:
	s_add_i32 s6, s3, 64
	s_lshl_b64 s[6:7], s[6:7], 3
	s_add_u32 s6, s0, s6
	s_addc_u32 s7, s1, s7
	v_mov_b32_e32 v3, 0
	global_load_dwordx2 v[1:2], v3, s[6:7] glc
	s_waitcnt vmcnt(0)
	v_and_b32_e32 v4, 0xff, v2
	v_cmp_ne_u64_e32 vcc, 0, v[3:4]
	s_cbranch_vccnz .LBB60_4
.LBB60_3:                               ; =>This Inner Loop Header: Depth=1
	global_load_dwordx2 v[1:2], v3, s[6:7] glc
	s_waitcnt vmcnt(0)
	v_and_b32_e32 v4, 0xff, v2
	v_cmp_eq_u64_e32 vcc, 0, v[3:4]
	s_cbranch_vccnz .LBB60_3
.LBB60_4:
	v_mov_b32_e32 v2, 0
	global_store_short v2, v1, s[8:9]
	global_store_byte_d16_hi v2, v1, s[8:9] offset:2
.LBB60_5:
	s_or_b64 exec, exec, s[4:5]
.LBB60_6:
	v_cmp_gt_u32_e32 vcc, s2, v0
	s_and_saveexec_b64 s[2:3], vcc
	s_cbranch_execnz .LBB60_9
; %bb.7:
	s_or_b64 exec, exec, s[2:3]
	v_cmp_gt_u32_e32 vcc, 64, v0
	s_and_saveexec_b64 s[2:3], vcc
	s_cbranch_execnz .LBB60_10
.LBB60_8:
	s_endpgm
.LBB60_9:
	v_add_u32_e32 v1, 64, v0
	v_mov_b32_e32 v2, 0
	v_lshlrev_b64 v[3:4], 3, v[1:2]
	v_mov_b32_e32 v1, s1
	v_add_co_u32_e32 v3, vcc, s0, v3
	v_addc_co_u32_e32 v4, vcc, v1, v4, vcc
	v_mov_b32_e32 v1, v2
	global_store_dwordx2 v[3:4], v[1:2], off
	s_or_b64 exec, exec, s[2:3]
	v_cmp_gt_u32_e32 vcc, 64, v0
	s_and_saveexec_b64 s[2:3], vcc
	s_cbranch_execz .LBB60_8
.LBB60_10:
	v_mov_b32_e32 v1, 0
	v_lshlrev_b64 v[2:3], 3, v[0:1]
	v_mov_b32_e32 v0, s1
	v_add_co_u32_e32 v2, vcc, s0, v2
	v_addc_co_u32_e32 v3, vcc, v0, v3, vcc
	v_mov_b32_e32 v5, 0xff
	v_mov_b32_e32 v4, v1
	global_store_dwordx2 v[2:3], v[4:5], off
	s_endpgm
	.section	.rodata,"a",@progbits
	.p2align	6, 0x0
	.amdhsa_kernel _ZN7rocprim6detail31init_lookback_scan_state_kernelINS0_19lookback_scan_stateINS_5tupleIJsbEEELb0ELb1EEEEEvT_jjPNS6_10value_typeE
		.amdhsa_group_segment_fixed_size 0
		.amdhsa_private_segment_fixed_size 0
		.amdhsa_kernarg_size 280
		.amdhsa_user_sgpr_count 6
		.amdhsa_user_sgpr_private_segment_buffer 1
		.amdhsa_user_sgpr_dispatch_ptr 0
		.amdhsa_user_sgpr_queue_ptr 0
		.amdhsa_user_sgpr_kernarg_segment_ptr 1
		.amdhsa_user_sgpr_dispatch_id 0
		.amdhsa_user_sgpr_flat_scratch_init 0
		.amdhsa_user_sgpr_private_segment_size 0
		.amdhsa_uses_dynamic_stack 0
		.amdhsa_system_sgpr_private_segment_wavefront_offset 0
		.amdhsa_system_sgpr_workgroup_id_x 1
		.amdhsa_system_sgpr_workgroup_id_y 0
		.amdhsa_system_sgpr_workgroup_id_z 0
		.amdhsa_system_sgpr_workgroup_info 0
		.amdhsa_system_vgpr_workitem_id 0
		.amdhsa_next_free_vgpr 6
		.amdhsa_next_free_sgpr 10
		.amdhsa_reserve_vcc 1
		.amdhsa_reserve_flat_scratch 0
		.amdhsa_float_round_mode_32 0
		.amdhsa_float_round_mode_16_64 0
		.amdhsa_float_denorm_mode_32 3
		.amdhsa_float_denorm_mode_16_64 3
		.amdhsa_dx10_clamp 1
		.amdhsa_ieee_mode 1
		.amdhsa_fp16_overflow 0
		.amdhsa_exception_fp_ieee_invalid_op 0
		.amdhsa_exception_fp_denorm_src 0
		.amdhsa_exception_fp_ieee_div_zero 0
		.amdhsa_exception_fp_ieee_overflow 0
		.amdhsa_exception_fp_ieee_underflow 0
		.amdhsa_exception_fp_ieee_inexact 0
		.amdhsa_exception_int_div_zero 0
	.end_amdhsa_kernel
	.section	.text._ZN7rocprim6detail31init_lookback_scan_state_kernelINS0_19lookback_scan_stateINS_5tupleIJsbEEELb0ELb1EEEEEvT_jjPNS6_10value_typeE,"axG",@progbits,_ZN7rocprim6detail31init_lookback_scan_state_kernelINS0_19lookback_scan_stateINS_5tupleIJsbEEELb0ELb1EEEEEvT_jjPNS6_10value_typeE,comdat
.Lfunc_end60:
	.size	_ZN7rocprim6detail31init_lookback_scan_state_kernelINS0_19lookback_scan_stateINS_5tupleIJsbEEELb0ELb1EEEEEvT_jjPNS6_10value_typeE, .Lfunc_end60-_ZN7rocprim6detail31init_lookback_scan_state_kernelINS0_19lookback_scan_stateINS_5tupleIJsbEEELb0ELb1EEEEEvT_jjPNS6_10value_typeE
                                        ; -- End function
	.set _ZN7rocprim6detail31init_lookback_scan_state_kernelINS0_19lookback_scan_stateINS_5tupleIJsbEEELb0ELb1EEEEEvT_jjPNS6_10value_typeE.num_vgpr, 6
	.set _ZN7rocprim6detail31init_lookback_scan_state_kernelINS0_19lookback_scan_stateINS_5tupleIJsbEEELb0ELb1EEEEEvT_jjPNS6_10value_typeE.num_agpr, 0
	.set _ZN7rocprim6detail31init_lookback_scan_state_kernelINS0_19lookback_scan_stateINS_5tupleIJsbEEELb0ELb1EEEEEvT_jjPNS6_10value_typeE.numbered_sgpr, 10
	.set _ZN7rocprim6detail31init_lookback_scan_state_kernelINS0_19lookback_scan_stateINS_5tupleIJsbEEELb0ELb1EEEEEvT_jjPNS6_10value_typeE.num_named_barrier, 0
	.set _ZN7rocprim6detail31init_lookback_scan_state_kernelINS0_19lookback_scan_stateINS_5tupleIJsbEEELb0ELb1EEEEEvT_jjPNS6_10value_typeE.private_seg_size, 0
	.set _ZN7rocprim6detail31init_lookback_scan_state_kernelINS0_19lookback_scan_stateINS_5tupleIJsbEEELb0ELb1EEEEEvT_jjPNS6_10value_typeE.uses_vcc, 1
	.set _ZN7rocprim6detail31init_lookback_scan_state_kernelINS0_19lookback_scan_stateINS_5tupleIJsbEEELb0ELb1EEEEEvT_jjPNS6_10value_typeE.uses_flat_scratch, 0
	.set _ZN7rocprim6detail31init_lookback_scan_state_kernelINS0_19lookback_scan_stateINS_5tupleIJsbEEELb0ELb1EEEEEvT_jjPNS6_10value_typeE.has_dyn_sized_stack, 0
	.set _ZN7rocprim6detail31init_lookback_scan_state_kernelINS0_19lookback_scan_stateINS_5tupleIJsbEEELb0ELb1EEEEEvT_jjPNS6_10value_typeE.has_recursion, 0
	.set _ZN7rocprim6detail31init_lookback_scan_state_kernelINS0_19lookback_scan_stateINS_5tupleIJsbEEELb0ELb1EEEEEvT_jjPNS6_10value_typeE.has_indirect_call, 0
	.section	.AMDGPU.csdata,"",@progbits
; Kernel info:
; codeLenInByte = 312
; TotalNumSgprs: 14
; NumVgprs: 6
; ScratchSize: 0
; MemoryBound: 0
; FloatMode: 240
; IeeeMode: 1
; LDSByteSize: 0 bytes/workgroup (compile time only)
; SGPRBlocks: 1
; VGPRBlocks: 1
; NumSGPRsForWavesPerEU: 14
; NumVGPRsForWavesPerEU: 6
; Occupancy: 10
; WaveLimiterHint : 0
; COMPUTE_PGM_RSRC2:SCRATCH_EN: 0
; COMPUTE_PGM_RSRC2:USER_SGPR: 6
; COMPUTE_PGM_RSRC2:TRAP_HANDLER: 0
; COMPUTE_PGM_RSRC2:TGID_X_EN: 1
; COMPUTE_PGM_RSRC2:TGID_Y_EN: 0
; COMPUTE_PGM_RSRC2:TGID_Z_EN: 0
; COMPUTE_PGM_RSRC2:TIDIG_COMP_CNT: 0
	.section	.text._ZN7rocprim6detail25device_scan_by_key_kernelILNS0_25lookback_scan_determinismE0ELb0ENS0_26wrapped_scan_by_key_configINS_14default_configEisEEPiN6hipcub22TransformInputIteratorIsNS7_6CastOpIsEEPslEEPfsNS7_8EqualityENS7_3MaxENS0_19lookback_scan_stateINS_5tupleIJsbEEELb1ELb1EEEsEEvT2_T3_T4_T5_T6_T7_T8_mmmPKNSH_IJT9_bEEE,"axG",@progbits,_ZN7rocprim6detail25device_scan_by_key_kernelILNS0_25lookback_scan_determinismE0ELb0ENS0_26wrapped_scan_by_key_configINS_14default_configEisEEPiN6hipcub22TransformInputIteratorIsNS7_6CastOpIsEEPslEEPfsNS7_8EqualityENS7_3MaxENS0_19lookback_scan_stateINS_5tupleIJsbEEELb1ELb1EEEsEEvT2_T3_T4_T5_T6_T7_T8_mmmPKNSH_IJT9_bEEE,comdat
	.protected	_ZN7rocprim6detail25device_scan_by_key_kernelILNS0_25lookback_scan_determinismE0ELb0ENS0_26wrapped_scan_by_key_configINS_14default_configEisEEPiN6hipcub22TransformInputIteratorIsNS7_6CastOpIsEEPslEEPfsNS7_8EqualityENS7_3MaxENS0_19lookback_scan_stateINS_5tupleIJsbEEELb1ELb1EEEsEEvT2_T3_T4_T5_T6_T7_T8_mmmPKNSH_IJT9_bEEE ; -- Begin function _ZN7rocprim6detail25device_scan_by_key_kernelILNS0_25lookback_scan_determinismE0ELb0ENS0_26wrapped_scan_by_key_configINS_14default_configEisEEPiN6hipcub22TransformInputIteratorIsNS7_6CastOpIsEEPslEEPfsNS7_8EqualityENS7_3MaxENS0_19lookback_scan_stateINS_5tupleIJsbEEELb1ELb1EEEsEEvT2_T3_T4_T5_T6_T7_T8_mmmPKNSH_IJT9_bEEE
	.globl	_ZN7rocprim6detail25device_scan_by_key_kernelILNS0_25lookback_scan_determinismE0ELb0ENS0_26wrapped_scan_by_key_configINS_14default_configEisEEPiN6hipcub22TransformInputIteratorIsNS7_6CastOpIsEEPslEEPfsNS7_8EqualityENS7_3MaxENS0_19lookback_scan_stateINS_5tupleIJsbEEELb1ELb1EEEsEEvT2_T3_T4_T5_T6_T7_T8_mmmPKNSH_IJT9_bEEE
	.p2align	8
	.type	_ZN7rocprim6detail25device_scan_by_key_kernelILNS0_25lookback_scan_determinismE0ELb0ENS0_26wrapped_scan_by_key_configINS_14default_configEisEEPiN6hipcub22TransformInputIteratorIsNS7_6CastOpIsEEPslEEPfsNS7_8EqualityENS7_3MaxENS0_19lookback_scan_stateINS_5tupleIJsbEEELb1ELb1EEEsEEvT2_T3_T4_T5_T6_T7_T8_mmmPKNSH_IJT9_bEEE,@function
_ZN7rocprim6detail25device_scan_by_key_kernelILNS0_25lookback_scan_determinismE0ELb0ENS0_26wrapped_scan_by_key_configINS_14default_configEisEEPiN6hipcub22TransformInputIteratorIsNS7_6CastOpIsEEPslEEPfsNS7_8EqualityENS7_3MaxENS0_19lookback_scan_stateINS_5tupleIJsbEEELb1ELb1EEEsEEvT2_T3_T4_T5_T6_T7_T8_mmmPKNSH_IJT9_bEEE: ; @_ZN7rocprim6detail25device_scan_by_key_kernelILNS0_25lookback_scan_determinismE0ELb0ENS0_26wrapped_scan_by_key_configINS_14default_configEisEEPiN6hipcub22TransformInputIteratorIsNS7_6CastOpIsEEPslEEPfsNS7_8EqualityENS7_3MaxENS0_19lookback_scan_stateINS_5tupleIJsbEEELb1ELb1EEEsEEvT2_T3_T4_T5_T6_T7_T8_mmmPKNSH_IJT9_bEEE
; %bb.0:
	s_endpgm
	.section	.rodata,"a",@progbits
	.p2align	6, 0x0
	.amdhsa_kernel _ZN7rocprim6detail25device_scan_by_key_kernelILNS0_25lookback_scan_determinismE0ELb0ENS0_26wrapped_scan_by_key_configINS_14default_configEisEEPiN6hipcub22TransformInputIteratorIsNS7_6CastOpIsEEPslEEPfsNS7_8EqualityENS7_3MaxENS0_19lookback_scan_stateINS_5tupleIJsbEEELb1ELb1EEEsEEvT2_T3_T4_T5_T6_T7_T8_mmmPKNSH_IJT9_bEEE
		.amdhsa_group_segment_fixed_size 0
		.amdhsa_private_segment_fixed_size 0
		.amdhsa_kernarg_size 80
		.amdhsa_user_sgpr_count 6
		.amdhsa_user_sgpr_private_segment_buffer 1
		.amdhsa_user_sgpr_dispatch_ptr 0
		.amdhsa_user_sgpr_queue_ptr 0
		.amdhsa_user_sgpr_kernarg_segment_ptr 1
		.amdhsa_user_sgpr_dispatch_id 0
		.amdhsa_user_sgpr_flat_scratch_init 0
		.amdhsa_user_sgpr_private_segment_size 0
		.amdhsa_uses_dynamic_stack 0
		.amdhsa_system_sgpr_private_segment_wavefront_offset 0
		.amdhsa_system_sgpr_workgroup_id_x 1
		.amdhsa_system_sgpr_workgroup_id_y 0
		.amdhsa_system_sgpr_workgroup_id_z 0
		.amdhsa_system_sgpr_workgroup_info 0
		.amdhsa_system_vgpr_workitem_id 0
		.amdhsa_next_free_vgpr 1
		.amdhsa_next_free_sgpr 0
		.amdhsa_reserve_vcc 0
		.amdhsa_reserve_flat_scratch 0
		.amdhsa_float_round_mode_32 0
		.amdhsa_float_round_mode_16_64 0
		.amdhsa_float_denorm_mode_32 3
		.amdhsa_float_denorm_mode_16_64 3
		.amdhsa_dx10_clamp 1
		.amdhsa_ieee_mode 1
		.amdhsa_fp16_overflow 0
		.amdhsa_exception_fp_ieee_invalid_op 0
		.amdhsa_exception_fp_denorm_src 0
		.amdhsa_exception_fp_ieee_div_zero 0
		.amdhsa_exception_fp_ieee_overflow 0
		.amdhsa_exception_fp_ieee_underflow 0
		.amdhsa_exception_fp_ieee_inexact 0
		.amdhsa_exception_int_div_zero 0
	.end_amdhsa_kernel
	.section	.text._ZN7rocprim6detail25device_scan_by_key_kernelILNS0_25lookback_scan_determinismE0ELb0ENS0_26wrapped_scan_by_key_configINS_14default_configEisEEPiN6hipcub22TransformInputIteratorIsNS7_6CastOpIsEEPslEEPfsNS7_8EqualityENS7_3MaxENS0_19lookback_scan_stateINS_5tupleIJsbEEELb1ELb1EEEsEEvT2_T3_T4_T5_T6_T7_T8_mmmPKNSH_IJT9_bEEE,"axG",@progbits,_ZN7rocprim6detail25device_scan_by_key_kernelILNS0_25lookback_scan_determinismE0ELb0ENS0_26wrapped_scan_by_key_configINS_14default_configEisEEPiN6hipcub22TransformInputIteratorIsNS7_6CastOpIsEEPslEEPfsNS7_8EqualityENS7_3MaxENS0_19lookback_scan_stateINS_5tupleIJsbEEELb1ELb1EEEsEEvT2_T3_T4_T5_T6_T7_T8_mmmPKNSH_IJT9_bEEE,comdat
.Lfunc_end61:
	.size	_ZN7rocprim6detail25device_scan_by_key_kernelILNS0_25lookback_scan_determinismE0ELb0ENS0_26wrapped_scan_by_key_configINS_14default_configEisEEPiN6hipcub22TransformInputIteratorIsNS7_6CastOpIsEEPslEEPfsNS7_8EqualityENS7_3MaxENS0_19lookback_scan_stateINS_5tupleIJsbEEELb1ELb1EEEsEEvT2_T3_T4_T5_T6_T7_T8_mmmPKNSH_IJT9_bEEE, .Lfunc_end61-_ZN7rocprim6detail25device_scan_by_key_kernelILNS0_25lookback_scan_determinismE0ELb0ENS0_26wrapped_scan_by_key_configINS_14default_configEisEEPiN6hipcub22TransformInputIteratorIsNS7_6CastOpIsEEPslEEPfsNS7_8EqualityENS7_3MaxENS0_19lookback_scan_stateINS_5tupleIJsbEEELb1ELb1EEEsEEvT2_T3_T4_T5_T6_T7_T8_mmmPKNSH_IJT9_bEEE
                                        ; -- End function
	.set _ZN7rocprim6detail25device_scan_by_key_kernelILNS0_25lookback_scan_determinismE0ELb0ENS0_26wrapped_scan_by_key_configINS_14default_configEisEEPiN6hipcub22TransformInputIteratorIsNS7_6CastOpIsEEPslEEPfsNS7_8EqualityENS7_3MaxENS0_19lookback_scan_stateINS_5tupleIJsbEEELb1ELb1EEEsEEvT2_T3_T4_T5_T6_T7_T8_mmmPKNSH_IJT9_bEEE.num_vgpr, 0
	.set _ZN7rocprim6detail25device_scan_by_key_kernelILNS0_25lookback_scan_determinismE0ELb0ENS0_26wrapped_scan_by_key_configINS_14default_configEisEEPiN6hipcub22TransformInputIteratorIsNS7_6CastOpIsEEPslEEPfsNS7_8EqualityENS7_3MaxENS0_19lookback_scan_stateINS_5tupleIJsbEEELb1ELb1EEEsEEvT2_T3_T4_T5_T6_T7_T8_mmmPKNSH_IJT9_bEEE.num_agpr, 0
	.set _ZN7rocprim6detail25device_scan_by_key_kernelILNS0_25lookback_scan_determinismE0ELb0ENS0_26wrapped_scan_by_key_configINS_14default_configEisEEPiN6hipcub22TransformInputIteratorIsNS7_6CastOpIsEEPslEEPfsNS7_8EqualityENS7_3MaxENS0_19lookback_scan_stateINS_5tupleIJsbEEELb1ELb1EEEsEEvT2_T3_T4_T5_T6_T7_T8_mmmPKNSH_IJT9_bEEE.numbered_sgpr, 0
	.set _ZN7rocprim6detail25device_scan_by_key_kernelILNS0_25lookback_scan_determinismE0ELb0ENS0_26wrapped_scan_by_key_configINS_14default_configEisEEPiN6hipcub22TransformInputIteratorIsNS7_6CastOpIsEEPslEEPfsNS7_8EqualityENS7_3MaxENS0_19lookback_scan_stateINS_5tupleIJsbEEELb1ELb1EEEsEEvT2_T3_T4_T5_T6_T7_T8_mmmPKNSH_IJT9_bEEE.num_named_barrier, 0
	.set _ZN7rocprim6detail25device_scan_by_key_kernelILNS0_25lookback_scan_determinismE0ELb0ENS0_26wrapped_scan_by_key_configINS_14default_configEisEEPiN6hipcub22TransformInputIteratorIsNS7_6CastOpIsEEPslEEPfsNS7_8EqualityENS7_3MaxENS0_19lookback_scan_stateINS_5tupleIJsbEEELb1ELb1EEEsEEvT2_T3_T4_T5_T6_T7_T8_mmmPKNSH_IJT9_bEEE.private_seg_size, 0
	.set _ZN7rocprim6detail25device_scan_by_key_kernelILNS0_25lookback_scan_determinismE0ELb0ENS0_26wrapped_scan_by_key_configINS_14default_configEisEEPiN6hipcub22TransformInputIteratorIsNS7_6CastOpIsEEPslEEPfsNS7_8EqualityENS7_3MaxENS0_19lookback_scan_stateINS_5tupleIJsbEEELb1ELb1EEEsEEvT2_T3_T4_T5_T6_T7_T8_mmmPKNSH_IJT9_bEEE.uses_vcc, 0
	.set _ZN7rocprim6detail25device_scan_by_key_kernelILNS0_25lookback_scan_determinismE0ELb0ENS0_26wrapped_scan_by_key_configINS_14default_configEisEEPiN6hipcub22TransformInputIteratorIsNS7_6CastOpIsEEPslEEPfsNS7_8EqualityENS7_3MaxENS0_19lookback_scan_stateINS_5tupleIJsbEEELb1ELb1EEEsEEvT2_T3_T4_T5_T6_T7_T8_mmmPKNSH_IJT9_bEEE.uses_flat_scratch, 0
	.set _ZN7rocprim6detail25device_scan_by_key_kernelILNS0_25lookback_scan_determinismE0ELb0ENS0_26wrapped_scan_by_key_configINS_14default_configEisEEPiN6hipcub22TransformInputIteratorIsNS7_6CastOpIsEEPslEEPfsNS7_8EqualityENS7_3MaxENS0_19lookback_scan_stateINS_5tupleIJsbEEELb1ELb1EEEsEEvT2_T3_T4_T5_T6_T7_T8_mmmPKNSH_IJT9_bEEE.has_dyn_sized_stack, 0
	.set _ZN7rocprim6detail25device_scan_by_key_kernelILNS0_25lookback_scan_determinismE0ELb0ENS0_26wrapped_scan_by_key_configINS_14default_configEisEEPiN6hipcub22TransformInputIteratorIsNS7_6CastOpIsEEPslEEPfsNS7_8EqualityENS7_3MaxENS0_19lookback_scan_stateINS_5tupleIJsbEEELb1ELb1EEEsEEvT2_T3_T4_T5_T6_T7_T8_mmmPKNSH_IJT9_bEEE.has_recursion, 0
	.set _ZN7rocprim6detail25device_scan_by_key_kernelILNS0_25lookback_scan_determinismE0ELb0ENS0_26wrapped_scan_by_key_configINS_14default_configEisEEPiN6hipcub22TransformInputIteratorIsNS7_6CastOpIsEEPslEEPfsNS7_8EqualityENS7_3MaxENS0_19lookback_scan_stateINS_5tupleIJsbEEELb1ELb1EEEsEEvT2_T3_T4_T5_T6_T7_T8_mmmPKNSH_IJT9_bEEE.has_indirect_call, 0
	.section	.AMDGPU.csdata,"",@progbits
; Kernel info:
; codeLenInByte = 4
; TotalNumSgprs: 4
; NumVgprs: 0
; ScratchSize: 0
; MemoryBound: 0
; FloatMode: 240
; IeeeMode: 1
; LDSByteSize: 0 bytes/workgroup (compile time only)
; SGPRBlocks: 0
; VGPRBlocks: 0
; NumSGPRsForWavesPerEU: 4
; NumVGPRsForWavesPerEU: 1
; Occupancy: 10
; WaveLimiterHint : 0
; COMPUTE_PGM_RSRC2:SCRATCH_EN: 0
; COMPUTE_PGM_RSRC2:USER_SGPR: 6
; COMPUTE_PGM_RSRC2:TRAP_HANDLER: 0
; COMPUTE_PGM_RSRC2:TGID_X_EN: 1
; COMPUTE_PGM_RSRC2:TGID_Y_EN: 0
; COMPUTE_PGM_RSRC2:TGID_Z_EN: 0
; COMPUTE_PGM_RSRC2:TIDIG_COMP_CNT: 0
	.section	.text._ZN7rocprim6detail25device_scan_by_key_kernelILNS0_25lookback_scan_determinismE0ELb0ENS0_26wrapped_scan_by_key_configINS_14default_configEisEEPiN6hipcub22TransformInputIteratorIsNS7_6CastOpIsEEPslEEPfsNS7_8EqualityENS7_3MaxENS0_19lookback_scan_stateINS_5tupleIJsbEEELb0ELb1EEEsEEvT2_T3_T4_T5_T6_T7_T8_mmmPKNSH_IJT9_bEEE,"axG",@progbits,_ZN7rocprim6detail25device_scan_by_key_kernelILNS0_25lookback_scan_determinismE0ELb0ENS0_26wrapped_scan_by_key_configINS_14default_configEisEEPiN6hipcub22TransformInputIteratorIsNS7_6CastOpIsEEPslEEPfsNS7_8EqualityENS7_3MaxENS0_19lookback_scan_stateINS_5tupleIJsbEEELb0ELb1EEEsEEvT2_T3_T4_T5_T6_T7_T8_mmmPKNSH_IJT9_bEEE,comdat
	.protected	_ZN7rocprim6detail25device_scan_by_key_kernelILNS0_25lookback_scan_determinismE0ELb0ENS0_26wrapped_scan_by_key_configINS_14default_configEisEEPiN6hipcub22TransformInputIteratorIsNS7_6CastOpIsEEPslEEPfsNS7_8EqualityENS7_3MaxENS0_19lookback_scan_stateINS_5tupleIJsbEEELb0ELb1EEEsEEvT2_T3_T4_T5_T6_T7_T8_mmmPKNSH_IJT9_bEEE ; -- Begin function _ZN7rocprim6detail25device_scan_by_key_kernelILNS0_25lookback_scan_determinismE0ELb0ENS0_26wrapped_scan_by_key_configINS_14default_configEisEEPiN6hipcub22TransformInputIteratorIsNS7_6CastOpIsEEPslEEPfsNS7_8EqualityENS7_3MaxENS0_19lookback_scan_stateINS_5tupleIJsbEEELb0ELb1EEEsEEvT2_T3_T4_T5_T6_T7_T8_mmmPKNSH_IJT9_bEEE
	.globl	_ZN7rocprim6detail25device_scan_by_key_kernelILNS0_25lookback_scan_determinismE0ELb0ENS0_26wrapped_scan_by_key_configINS_14default_configEisEEPiN6hipcub22TransformInputIteratorIsNS7_6CastOpIsEEPslEEPfsNS7_8EqualityENS7_3MaxENS0_19lookback_scan_stateINS_5tupleIJsbEEELb0ELb1EEEsEEvT2_T3_T4_T5_T6_T7_T8_mmmPKNSH_IJT9_bEEE
	.p2align	8
	.type	_ZN7rocprim6detail25device_scan_by_key_kernelILNS0_25lookback_scan_determinismE0ELb0ENS0_26wrapped_scan_by_key_configINS_14default_configEisEEPiN6hipcub22TransformInputIteratorIsNS7_6CastOpIsEEPslEEPfsNS7_8EqualityENS7_3MaxENS0_19lookback_scan_stateINS_5tupleIJsbEEELb0ELb1EEEsEEvT2_T3_T4_T5_T6_T7_T8_mmmPKNSH_IJT9_bEEE,@function
_ZN7rocprim6detail25device_scan_by_key_kernelILNS0_25lookback_scan_determinismE0ELb0ENS0_26wrapped_scan_by_key_configINS_14default_configEisEEPiN6hipcub22TransformInputIteratorIsNS7_6CastOpIsEEPslEEPfsNS7_8EqualityENS7_3MaxENS0_19lookback_scan_stateINS_5tupleIJsbEEELb0ELb1EEEsEEvT2_T3_T4_T5_T6_T7_T8_mmmPKNSH_IJT9_bEEE: ; @_ZN7rocprim6detail25device_scan_by_key_kernelILNS0_25lookback_scan_determinismE0ELb0ENS0_26wrapped_scan_by_key_configINS_14default_configEisEEPiN6hipcub22TransformInputIteratorIsNS7_6CastOpIsEEPslEEPfsNS7_8EqualityENS7_3MaxENS0_19lookback_scan_stateINS_5tupleIJsbEEELb0ELb1EEEsEEvT2_T3_T4_T5_T6_T7_T8_mmmPKNSH_IJT9_bEEE
; %bb.0:
	s_load_dwordx4 s[0:3], s[4:5], 0x0
	s_load_dwordx8 s[40:47], s[4:5], 0x28
	s_load_dwordx2 s[48:49], s[4:5], 0x48
	s_mul_i32 s8, s6, 0xe00
	s_mov_b32 s9, 0
	s_lshl_b64 s[38:39], s[8:9], 2
	s_waitcnt lgkmcnt(0)
	s_add_u32 s50, s0, s38
	s_addc_u32 s51, s1, s39
	s_lshl_b64 s[0:1], s[8:9], 1
	s_add_u32 s36, s2, s0
	s_addc_u32 s37, s3, s1
	s_add_u32 s0, s44, s6
	s_addc_u32 s1, s45, 0
	s_add_u32 s8, s46, -1
	s_addc_u32 s9, s47, -1
	v_mov_b32_e32 v1, s8
	v_mov_b32_e32 v2, s9
	v_cmp_ge_u64_e64 s[0:1], s[0:1], v[1:2]
	s_mov_b64 s[2:3], -1
	s_and_b64 vcc, exec, s[0:1]
	s_mul_i32 s33, s8, 0xfffff200
	v_lshlrev_b32_e32 v31, 2, v0
	s_cbranch_vccz .LBB62_74
; %bb.1:
	s_load_dword s43, s[50:51], 0x0
	s_add_i32 s7, s33, s42
	v_mov_b32_e32 v2, s51
	v_add_co_u32_e32 v1, vcc, s50, v31
	v_addc_co_u32_e32 v2, vcc, 0, v2, vcc
	v_cmp_gt_u32_e64 s[2:3], s7, v0
	s_waitcnt lgkmcnt(0)
	v_mov_b32_e32 v3, s43
	s_and_saveexec_b64 s[8:9], s[2:3]
	s_cbranch_execz .LBB62_3
; %bb.2:
	global_load_dword v3, v[1:2], off
.LBB62_3:
	s_or_b64 exec, exec, s[8:9]
	v_or_b32_e32 v4, 0x100, v0
	v_cmp_gt_u32_e64 s[34:35], s7, v4
	v_mov_b32_e32 v4, s43
	s_and_saveexec_b64 s[8:9], s[34:35]
	s_cbranch_execz .LBB62_5
; %bb.4:
	global_load_dword v4, v[1:2], off offset:1024
.LBB62_5:
	s_or_b64 exec, exec, s[8:9]
	v_or_b32_e32 v5, 0x200, v0
	v_cmp_gt_u32_e64 s[8:9], s7, v5
	v_mov_b32_e32 v5, s43
	s_and_saveexec_b64 s[10:11], s[8:9]
	s_cbranch_execz .LBB62_7
; %bb.6:
	global_load_dword v5, v[1:2], off offset:2048
.LBB62_7:
	;; [unrolled: 9-line block ×3, first 2 shown]
	s_or_b64 exec, exec, s[12:13]
	v_or_b32_e32 v7, 0x400, v0
	v_cmp_gt_u32_e64 s[12:13], s7, v7
	v_mov_b32_e32 v7, s43
	s_and_saveexec_b64 s[14:15], s[12:13]
	s_cbranch_execz .LBB62_11
; %bb.10:
	v_add_co_u32_e32 v7, vcc, 0x1000, v1
	v_addc_co_u32_e32 v8, vcc, 0, v2, vcc
	global_load_dword v7, v[7:8], off
.LBB62_11:
	s_or_b64 exec, exec, s[14:15]
	v_or_b32_e32 v8, 0x500, v0
	v_cmp_gt_u32_e64 s[14:15], s7, v8
	v_mov_b32_e32 v8, s43
	s_and_saveexec_b64 s[16:17], s[14:15]
	s_cbranch_execz .LBB62_13
; %bb.12:
	v_add_co_u32_e32 v8, vcc, 0x1000, v1
	v_addc_co_u32_e32 v9, vcc, 0, v2, vcc
	global_load_dword v8, v[8:9], off offset:1024
.LBB62_13:
	s_or_b64 exec, exec, s[16:17]
	v_or_b32_e32 v9, 0x600, v0
	v_cmp_gt_u32_e64 s[16:17], s7, v9
	v_mov_b32_e32 v9, s43
	s_and_saveexec_b64 s[18:19], s[16:17]
	s_cbranch_execz .LBB62_15
; %bb.14:
	v_add_co_u32_e32 v9, vcc, 0x1000, v1
	v_addc_co_u32_e32 v10, vcc, 0, v2, vcc
	global_load_dword v9, v[9:10], off offset:2048
.LBB62_15:
	;; [unrolled: 11-line block ×3, first 2 shown]
	s_or_b64 exec, exec, s[20:21]
	v_or_b32_e32 v11, 0x800, v0
	v_cmp_gt_u32_e64 s[20:21], s7, v11
	v_mov_b32_e32 v11, s43
	s_and_saveexec_b64 s[22:23], s[20:21]
	s_cbranch_execz .LBB62_19
; %bb.18:
	v_add_co_u32_e32 v11, vcc, 0x2000, v1
	v_addc_co_u32_e32 v12, vcc, 0, v2, vcc
	global_load_dword v11, v[11:12], off
.LBB62_19:
	s_or_b64 exec, exec, s[22:23]
	v_or_b32_e32 v12, 0x900, v0
	v_cmp_gt_u32_e64 s[22:23], s7, v12
	v_mov_b32_e32 v12, s43
	s_and_saveexec_b64 s[24:25], s[22:23]
	s_cbranch_execz .LBB62_21
; %bb.20:
	v_add_co_u32_e32 v12, vcc, 0x2000, v1
	v_addc_co_u32_e32 v13, vcc, 0, v2, vcc
	global_load_dword v12, v[12:13], off offset:1024
.LBB62_21:
	s_or_b64 exec, exec, s[24:25]
	v_or_b32_e32 v13, 0xa00, v0
	v_cmp_gt_u32_e64 s[24:25], s7, v13
	v_mov_b32_e32 v13, s43
	s_and_saveexec_b64 s[26:27], s[24:25]
	s_cbranch_execz .LBB62_23
; %bb.22:
	v_add_co_u32_e32 v13, vcc, 0x2000, v1
	v_addc_co_u32_e32 v14, vcc, 0, v2, vcc
	global_load_dword v13, v[13:14], off offset:2048
.LBB62_23:
	;; [unrolled: 11-line block ×3, first 2 shown]
	s_or_b64 exec, exec, s[28:29]
	v_or_b32_e32 v15, 0xc00, v0
	v_cmp_gt_u32_e64 s[28:29], s7, v15
	v_mov_b32_e32 v15, s43
	s_and_saveexec_b64 s[30:31], s[28:29]
	s_cbranch_execz .LBB62_27
; %bb.26:
	v_add_co_u32_e32 v15, vcc, 0x3000, v1
	v_addc_co_u32_e32 v16, vcc, 0, v2, vcc
	global_load_dword v15, v[15:16], off
.LBB62_27:
	s_or_b64 exec, exec, s[30:31]
	v_or_b32_e32 v16, 0xd00, v0
	v_cmp_gt_u32_e64 s[30:31], s7, v16
	v_mov_b32_e32 v16, s43
	s_and_saveexec_b64 s[46:47], s[30:31]
	s_cbranch_execz .LBB62_29
; %bb.28:
	v_add_co_u32_e32 v1, vcc, 0x3000, v1
	v_addc_co_u32_e32 v2, vcc, 0, v2, vcc
	global_load_dword v16, v[1:2], off offset:1024
.LBB62_29:
	s_or_b64 exec, exec, s[46:47]
	s_sub_u32 s46, 0, s6
	s_subb_u32 s47, 0, 0
	s_cmp_eq_u64 s[44:45], s[46:47]
	s_cselect_b32 s46, 0, -4
	s_cselect_b32 s43, 0, -1
	s_add_u32 s46, s50, s46
	v_mad_u32_u24 v1, v0, 52, v31
	s_addc_u32 s47, s51, s43
	s_waitcnt vmcnt(0)
	ds_write2st64_b32 v31, v3, v4 offset1:4
	ds_write2st64_b32 v31, v5, v6 offset0:8 offset1:12
	ds_write2st64_b32 v31, v7, v8 offset0:16 offset1:20
	;; [unrolled: 1-line block ×6, first 2 shown]
	s_waitcnt lgkmcnt(0)
	s_barrier
	ds_read2_b64 v[21:24], v1 offset1:1
	ds_read2_b64 v[17:20], v1 offset0:2 offset1:3
	ds_read2_b64 v[13:16], v1 offset0:4 offset1:5
	ds_read_b64 v[29:30], v1 offset:48
	s_load_dword s43, s[46:47], 0x0
	s_movk_i32 s46, 0xffcc
	v_mad_i32_i24 v3, v0, s46, v1
	v_cmp_ne_u32_e32 vcc, 0, v0
	s_waitcnt lgkmcnt(0)
	ds_write_b32 v3, v30 offset:14336
	v_mov_b32_e32 v26, s43
	s_waitcnt lgkmcnt(0)
	s_barrier
	s_and_saveexec_b64 s[46:47], vcc
; %bb.30:
	ds_read_b32 v26, v3 offset:14332
; %bb.31:
	s_or_b64 exec, exec, s[46:47]
	v_lshlrev_b32_e32 v4, 1, v0
	v_mov_b32_e32 v2, s37
	v_add_co_u32_e32 v1, vcc, s36, v4
	v_addc_co_u32_e32 v2, vcc, 0, v2, vcc
	s_waitcnt lgkmcnt(0)
	s_barrier
                                        ; implicit-def: $vgpr5
	s_and_saveexec_b64 s[46:47], s[2:3]
	s_cbranch_execz .LBB62_142
; %bb.32:
	global_load_ushort v5, v[1:2], off
	s_or_b64 exec, exec, s[46:47]
                                        ; implicit-def: $vgpr6
	s_and_saveexec_b64 s[2:3], s[34:35]
	s_cbranch_execnz .LBB62_143
.LBB62_33:
	s_or_b64 exec, exec, s[2:3]
                                        ; implicit-def: $vgpr7
	s_and_saveexec_b64 s[2:3], s[8:9]
	s_cbranch_execz .LBB62_144
.LBB62_34:
	global_load_ushort v7, v[1:2], off offset:1024
	s_or_b64 exec, exec, s[2:3]
                                        ; implicit-def: $vgpr8
	s_and_saveexec_b64 s[2:3], s[10:11]
	s_cbranch_execnz .LBB62_145
.LBB62_35:
	s_or_b64 exec, exec, s[2:3]
                                        ; implicit-def: $vgpr9
	s_and_saveexec_b64 s[2:3], s[12:13]
	s_cbranch_execz .LBB62_146
.LBB62_36:
	global_load_ushort v9, v[1:2], off offset:2048
	s_or_b64 exec, exec, s[2:3]
                                        ; implicit-def: $vgpr10
	s_and_saveexec_b64 s[2:3], s[14:15]
	s_cbranch_execnz .LBB62_147
.LBB62_37:
	s_or_b64 exec, exec, s[2:3]
                                        ; implicit-def: $vgpr11
	s_and_saveexec_b64 s[2:3], s[16:17]
	s_cbranch_execz .LBB62_148
.LBB62_38:
	global_load_ushort v11, v[1:2], off offset:3072
	s_or_b64 exec, exec, s[2:3]
                                        ; implicit-def: $vgpr12
	s_and_saveexec_b64 s[2:3], s[18:19]
	s_cbranch_execnz .LBB62_149
.LBB62_39:
	s_or_b64 exec, exec, s[2:3]
                                        ; implicit-def: $vgpr25
	s_and_saveexec_b64 s[2:3], s[20:21]
	s_cbranch_execz .LBB62_150
.LBB62_40:
	v_add_co_u32_e32 v27, vcc, 0x1000, v1
	v_addc_co_u32_e32 v28, vcc, 0, v2, vcc
	global_load_ushort v25, v[27:28], off
	s_or_b64 exec, exec, s[2:3]
                                        ; implicit-def: $vgpr27
	s_and_saveexec_b64 s[2:3], s[22:23]
	s_cbranch_execnz .LBB62_151
.LBB62_41:
	s_or_b64 exec, exec, s[2:3]
                                        ; implicit-def: $vgpr28
	s_and_saveexec_b64 s[2:3], s[24:25]
	s_cbranch_execz .LBB62_152
.LBB62_42:
	v_add_co_u32_e32 v32, vcc, 0x1000, v1
	v_addc_co_u32_e32 v33, vcc, 0, v2, vcc
	global_load_ushort v28, v[32:33], off offset:1024
	s_or_b64 exec, exec, s[2:3]
                                        ; implicit-def: $vgpr32
	s_and_saveexec_b64 s[2:3], s[26:27]
	s_cbranch_execnz .LBB62_153
.LBB62_43:
	s_or_b64 exec, exec, s[2:3]
                                        ; implicit-def: $vgpr33
	s_and_saveexec_b64 s[2:3], s[28:29]
	s_cbranch_execz .LBB62_45
.LBB62_44:
	v_add_co_u32_e32 v33, vcc, 0x1000, v1
	v_addc_co_u32_e32 v34, vcc, 0, v2, vcc
	global_load_ushort v33, v[33:34], off offset:2048
.LBB62_45:
	s_or_b64 exec, exec, s[2:3]
	v_mul_u32_u24_e32 v35, 14, v0
                                        ; implicit-def: $vgpr34
	s_and_saveexec_b64 s[2:3], s[30:31]
	s_cbranch_execz .LBB62_47
; %bb.46:
	v_add_co_u32_e32 v1, vcc, 0x1000, v1
	v_addc_co_u32_e32 v2, vcc, 0, v2, vcc
	global_load_ushort v34, v[1:2], off offset:2560
.LBB62_47:
	s_or_b64 exec, exec, s[2:3]
	v_mov_b32_e32 v1, 0
	v_sub_u32_e32 v36, v3, v4
	v_mov_b32_e32 v4, v1
	s_waitcnt vmcnt(0)
	ds_write_b16 v36, v5
	ds_write_b16 v36, v6 offset:512
	ds_write_b16 v36, v7 offset:1024
	;; [unrolled: 1-line block ×13, first 2 shown]
	v_mov_b32_e32 v2, v1
	v_mov_b32_e32 v3, v1
	;; [unrolled: 1-line block ×4, first 2 shown]
	v_cmp_gt_u32_e32 vcc, s7, v35
	s_mov_b64 s[2:3], 0
	s_mov_b64 s[12:13], 0
	v_mov_b32_e32 v7, v3
	v_mov_b32_e32 v6, v2
	;; [unrolled: 1-line block ×8, first 2 shown]
	s_waitcnt lgkmcnt(0)
	s_barrier
                                        ; implicit-def: $sgpr8_sgpr9
                                        ; implicit-def: $vgpr34
	s_and_saveexec_b64 s[10:11], vcc
	s_cbranch_execz .LBB62_73
; %bb.48:
	v_mad_u32_u24 v1, v0, 26, v36
	ds_read_u16 v32, v1
	v_mov_b32_e32 v3, 0
	v_mov_b32_e32 v37, 0x10000
	v_cmp_eq_u32_e32 vcc, v26, v21
	v_or_b32_e32 v1, 1, v35
	v_mov_b32_e32 v4, v3
	v_cndmask_b32_e64 v33, v37, 0, vcc
	v_cmp_gt_u32_e32 vcc, s7, v1
	v_mov_b32_e32 v1, v3
	v_mov_b32_e32 v2, v3
	;; [unrolled: 1-line block ×4, first 2 shown]
	s_mov_b64 s[14:15], 0
	v_mov_b32_e32 v7, v3
	v_mov_b32_e32 v6, v2
	;; [unrolled: 1-line block ×6, first 2 shown]
                                        ; implicit-def: $sgpr8_sgpr9
                                        ; implicit-def: $vgpr34
	s_and_saveexec_b64 s[12:13], vcc
	s_cbranch_execz .LBB62_72
; %bb.49:
	v_mul_u32_u24_e32 v1, 26, v0
	v_add_u32_e32 v36, v36, v1
	ds_read_b128 v[25:28], v36 offset:2
	v_cmp_eq_u32_e32 vcc, v21, v22
	v_mov_b32_e32 v8, v3
	v_cndmask_b32_e64 v1, v37, 0, vcc
	s_mov_b32 s8, 0xffff
	v_add_u32_e32 v2, 2, v35
	v_mov_b32_e32 v5, v3
	v_mov_b32_e32 v6, v3
	;; [unrolled: 1-line block ×4, first 2 shown]
	s_waitcnt lgkmcnt(0)
	v_and_or_b32 v1, v25, s8, v1
	v_cmp_gt_u32_e32 vcc, s7, v2
	v_mov_b32_e32 v2, v3
	v_mov_b32_e32 v4, v3
	s_mov_b64 s[16:17], 0
	v_mov_b32_e32 v11, v7
	v_mov_b32_e32 v10, v6
	;; [unrolled: 1-line block ×3, first 2 shown]
                                        ; implicit-def: $sgpr8_sgpr9
                                        ; implicit-def: $vgpr34
	s_and_saveexec_b64 s[14:15], vcc
	s_cbranch_execz .LBB62_71
; %bb.50:
	v_mov_b32_e32 v5, 0
	v_mov_b32_e32 v21, 0x10000
	v_cmp_eq_u32_e32 vcc, v22, v23
	v_mov_b32_e32 v8, v5
	v_cndmask_b32_e64 v2, v21, 0, vcc
	v_add_u32_e32 v4, 3, v35
	v_mov_b32_e32 v6, v5
	v_mov_b32_e32 v7, v5
	v_mov_b32_e32 v12, v8
	s_mov_b32 s20, 0
	v_or_b32_sdwa v2, v2, v25 dst_sel:DWORD dst_unused:UNUSED_PAD src0_sel:DWORD src1_sel:WORD_1
	v_cmp_gt_u32_e32 vcc, s7, v4
	v_mov_b32_e32 v4, v3
	s_mov_b64 s[18:19], 0
	v_mov_b32_e32 v11, v7
	v_mov_b32_e32 v10, v6
	v_mov_b32_e32 v9, v5
                                        ; implicit-def: $sgpr8_sgpr9
                                        ; implicit-def: $vgpr34
	s_and_saveexec_b64 s[16:17], vcc
	s_cbranch_execz .LBB62_70
; %bb.51:
	v_cmp_eq_u32_e32 vcc, v23, v24
	v_mov_b32_e32 v8, v5
	v_cndmask_b32_e64 v3, v21, 0, vcc
	s_mov_b32 s8, 0xffff
	v_add_u32_e32 v4, 4, v35
	v_mov_b32_e32 v6, v5
	v_mov_b32_e32 v7, v5
	v_mov_b32_e32 v12, v8
	v_and_or_b32 v3, v26, s8, v3
	v_cmp_gt_u32_e32 vcc, s7, v4
	v_mov_b32_e32 v4, s20
	s_mov_b64 s[20:21], 0
	v_mov_b32_e32 v11, v7
	v_mov_b32_e32 v10, v6
	;; [unrolled: 1-line block ×3, first 2 shown]
                                        ; implicit-def: $sgpr8_sgpr9
                                        ; implicit-def: $vgpr34
	s_and_saveexec_b64 s[18:19], vcc
	s_cbranch_execz .LBB62_69
; %bb.52:
	v_mov_b32_e32 v7, 0
	v_mov_b32_e32 v21, 0x10000
	v_cmp_eq_u32_e32 vcc, v24, v17
	v_add_u32_e32 v5, 5, v35
	v_mov_b32_e32 v8, v7
	v_cndmask_b32_e64 v4, v21, 0, vcc
	v_cmp_gt_u32_e32 vcc, s7, v5
	v_mov_b32_e32 v5, v7
	v_mov_b32_e32 v6, v7
	;; [unrolled: 1-line block ×3, first 2 shown]
	v_or_b32_sdwa v4, v4, v26 dst_sel:DWORD dst_unused:UNUSED_PAD src0_sel:DWORD src1_sel:WORD_1
	s_mov_b64 s[22:23], 0
	v_mov_b32_e32 v11, v7
	v_mov_b32_e32 v10, v6
	;; [unrolled: 1-line block ×3, first 2 shown]
                                        ; implicit-def: $sgpr8_sgpr9
                                        ; implicit-def: $vgpr34
	s_and_saveexec_b64 s[20:21], vcc
	s_cbranch_execz .LBB62_68
; %bb.53:
	v_cmp_eq_u32_e32 vcc, v17, v18
	v_cndmask_b32_e64 v5, v21, 0, vcc
	s_mov_b32 s8, 0xffff
	v_add_u32_e32 v6, 6, v35
	v_and_or_b32 v5, v27, s8, v5
	v_cmp_gt_u32_e32 vcc, s7, v6
	v_mov_b32_e32 v6, v7
	v_mov_b32_e32 v8, v7
	;; [unrolled: 1-line block ×6, first 2 shown]
	s_mov_b64 s[24:25], 0
                                        ; implicit-def: $sgpr8_sgpr9
                                        ; implicit-def: $vgpr34
	s_and_saveexec_b64 s[22:23], vcc
	s_cbranch_execz .LBB62_67
; %bb.54:
	v_mov_b32_e32 v17, 0x10000
	v_cmp_eq_u32_e32 vcc, v18, v19
	v_cndmask_b32_e64 v6, v17, 0, vcc
	v_add_u32_e32 v8, 7, v35
	v_mov_b32_e32 v9, 0
	s_mov_b32 s28, 0
	v_or_b32_sdwa v6, v6, v27 dst_sel:DWORD dst_unused:UNUSED_PAD src0_sel:DWORD src1_sel:WORD_1
	v_cmp_gt_u32_e32 vcc, s7, v8
	v_mov_b32_e32 v8, v7
	v_mov_b32_e32 v10, v9
	;; [unrolled: 1-line block ×4, first 2 shown]
	s_mov_b64 s[26:27], 0
                                        ; implicit-def: $sgpr8_sgpr9
                                        ; implicit-def: $vgpr34
	s_and_saveexec_b64 s[24:25], vcc
	s_cbranch_execz .LBB62_66
; %bb.55:
	v_cmp_eq_u32_e32 vcc, v19, v20
	v_cndmask_b32_e64 v7, v17, 0, vcc
	s_mov_b32 s8, 0xffff
	v_add_u32_e32 v8, 8, v35
	v_and_or_b32 v7, v28, s8, v7
	v_cmp_gt_u32_e32 vcc, s7, v8
	v_mov_b32_e32 v8, s28
	v_mov_b32_e32 v10, v9
	;; [unrolled: 1-line block ×4, first 2 shown]
	s_mov_b64 s[28:29], 0
                                        ; implicit-def: $sgpr8_sgpr9
                                        ; implicit-def: $vgpr34
	s_and_saveexec_b64 s[26:27], vcc
	s_cbranch_execz .LBB62_65
; %bb.56:
	v_mov_b32_e32 v19, 0x10000
	v_cmp_eq_u32_e32 vcc, v20, v13
	v_cndmask_b32_e64 v8, v19, 0, vcc
	v_add_u32_e32 v9, 9, v35
	v_mov_b32_e32 v11, 0
	v_or_b32_sdwa v8, v8, v28 dst_sel:DWORD dst_unused:UNUSED_PAD src0_sel:DWORD src1_sel:WORD_1
	v_cmp_gt_u32_e32 vcc, s7, v9
	v_mov_b32_e32 v9, v11
	v_mov_b32_e32 v10, v11
	;; [unrolled: 1-line block ×3, first 2 shown]
	s_mov_b64 s[30:31], 0
                                        ; implicit-def: $sgpr8_sgpr9
                                        ; implicit-def: $vgpr34
	s_and_saveexec_b64 s[28:29], vcc
	s_cbranch_execz .LBB62_64
; %bb.57:
	ds_read_b64 v[17:18], v36 offset:18
	v_cmp_eq_u32_e32 vcc, v13, v14
	v_cndmask_b32_e64 v9, v19, 0, vcc
	s_mov_b32 s8, 0xffff
	v_add_u32_e32 v10, 10, v35
	s_waitcnt lgkmcnt(0)
	v_and_or_b32 v9, v17, s8, v9
	v_cmp_gt_u32_e32 vcc, s7, v10
	v_mov_b32_e32 v10, v11
	v_mov_b32_e32 v12, v11
	s_mov_b64 s[34:35], 0
                                        ; implicit-def: $sgpr8_sgpr9
                                        ; implicit-def: $vgpr34
	s_and_saveexec_b64 s[30:31], vcc
	s_cbranch_execz .LBB62_63
; %bb.58:
	v_mov_b32_e32 v13, 0x10000
	v_cmp_eq_u32_e32 vcc, v14, v15
	v_cndmask_b32_e64 v10, v13, 0, vcc
	v_add_u32_e32 v12, 11, v35
	s_mov_b32 s43, 0
	v_or_b32_sdwa v10, v10, v17 dst_sel:DWORD dst_unused:UNUSED_PAD src0_sel:DWORD src1_sel:WORD_1
	v_cmp_gt_u32_e32 vcc, s7, v12
	v_mov_b32_e32 v12, v11
	s_mov_b64 s[46:47], 0
                                        ; implicit-def: $sgpr8_sgpr9
                                        ; implicit-def: $vgpr34
	s_and_saveexec_b64 s[34:35], vcc
	s_cbranch_execz .LBB62_62
; %bb.59:
	v_cmp_eq_u32_e32 vcc, v15, v16
	v_cndmask_b32_e64 v11, v13, 0, vcc
	s_mov_b32 s8, 0xffff
	v_add_u32_e32 v12, 12, v35
	v_and_or_b32 v11, v18, s8, v11
	v_cmp_gt_u32_e32 vcc, s7, v12
	v_mov_b32_e32 v12, s43
	s_mov_b64 s[52:53], 0
                                        ; implicit-def: $sgpr8_sgpr9
                                        ; implicit-def: $vgpr34
	s_and_saveexec_b64 s[46:47], vcc
	s_xor_b64 s[46:47], exec, s[46:47]
	s_cbranch_execz .LBB62_61
; %bb.60:
	ds_read_u16 v34, v36 offset:26
	v_mov_b32_e32 v12, 0x10000
	v_cmp_eq_u32_e32 vcc, v16, v29
	v_add_u32_e32 v13, 13, v35
	v_cndmask_b32_e64 v12, v12, 0, vcc
	v_cmp_gt_u32_e32 vcc, s7, v13
	v_cmp_ne_u32_e64 s[8:9], v29, v30
	v_or_b32_sdwa v12, v12, v18 dst_sel:DWORD dst_unused:UNUSED_PAD src0_sel:DWORD src1_sel:WORD_1
	s_and_b64 s[52:53], vcc, exec
.LBB62_61:
	s_or_b64 exec, exec, s[46:47]
	s_and_b64 s[46:47], s[52:53], exec
.LBB62_62:
	s_or_b64 exec, exec, s[34:35]
	s_and_b64 s[34:35], s[46:47], exec
.LBB62_63:
	s_or_b64 exec, exec, s[30:31]
	s_and_b64 s[30:31], s[34:35], exec
.LBB62_64:
	s_or_b64 exec, exec, s[28:29]
	s_and_b64 s[28:29], s[30:31], exec
.LBB62_65:
	s_or_b64 exec, exec, s[26:27]
	s_and_b64 s[26:27], s[28:29], exec
.LBB62_66:
	s_or_b64 exec, exec, s[24:25]
	s_and_b64 s[24:25], s[26:27], exec
.LBB62_67:
	s_or_b64 exec, exec, s[22:23]
	s_and_b64 s[22:23], s[24:25], exec
.LBB62_68:
	s_or_b64 exec, exec, s[20:21]
	s_and_b64 s[20:21], s[22:23], exec
.LBB62_69:
	s_or_b64 exec, exec, s[18:19]
	s_and_b64 s[18:19], s[20:21], exec
.LBB62_70:
	s_or_b64 exec, exec, s[16:17]
	s_and_b64 s[16:17], s[18:19], exec
.LBB62_71:
	s_or_b64 exec, exec, s[14:15]
	s_and_b64 s[14:15], s[16:17], exec
.LBB62_72:
	s_or_b64 exec, exec, s[12:13]
	s_waitcnt lgkmcnt(0)
	v_or_b32_e32 v27, v33, v32
	s_and_b64 s[12:13], s[14:15], exec
	v_mov_b32_e32 v25, v27
.LBB62_73:
	s_or_b64 exec, exec, s[10:11]
	s_and_b64 vcc, exec, s[2:3]
	v_cmp_ne_u32_e64 s[2:3], 0, v0
	s_cbranch_vccnz .LBB62_75
	s_branch .LBB62_78
.LBB62_74:
	s_mov_b64 s[12:13], 0
                                        ; implicit-def: $sgpr8_sgpr9
                                        ; implicit-def: $vgpr1_vgpr2_vgpr3_vgpr4
                                        ; implicit-def: $vgpr5_vgpr6_vgpr7_vgpr8
                                        ; implicit-def: $vgpr34
                                        ; implicit-def: $vgpr27
                                        ; implicit-def: $vgpr9_vgpr10_vgpr11_vgpr12
                                        ; implicit-def: $vgpr25
	s_and_b64 vcc, exec, s[2:3]
	v_cmp_ne_u32_e64 s[2:3], 0, v0
	s_cbranch_vccz .LBB62_78
.LBB62_75:
	v_mov_b32_e32 v1, s51
	v_add_co_u32_e32 v5, vcc, s50, v31
	v_addc_co_u32_e32 v6, vcc, 0, v1, vcc
	v_add_co_u32_e32 v1, vcc, 0x1000, v5
	v_addc_co_u32_e32 v2, vcc, 0, v6, vcc
	v_add_co_u32_e32 v3, vcc, 0x2000, v5
	v_addc_co_u32_e32 v4, vcc, 0, v6, vcc
	global_load_dword v7, v31, s[50:51]
	global_load_dword v8, v31, s[50:51] offset:1024
	global_load_dword v9, v31, s[50:51] offset:2048
	;; [unrolled: 1-line block ×3, first 2 shown]
	global_load_dword v11, v[1:2], off
	global_load_dword v12, v[1:2], off offset:1024
	global_load_dword v13, v[1:2], off offset:2048
	;; [unrolled: 1-line block ×3, first 2 shown]
	global_load_dword v15, v[3:4], off
	global_load_dword v16, v[3:4], off offset:1024
	global_load_dword v18, v[3:4], off offset:2048
	;; [unrolled: 1-line block ×3, first 2 shown]
	v_add_co_u32_e32 v1, vcc, 0x3000, v5
	v_addc_co_u32_e32 v2, vcc, 0, v6, vcc
	global_load_dword v3, v[1:2], off
	global_load_dword v4, v[1:2], off offset:1024
	s_sub_u32 s8, 0, s6
	s_subb_u32 s9, 0, 0
	s_cmp_eq_u64 s[44:45], s[8:9]
	s_cselect_b32 s8, 0, -4
	s_cselect_b32 s9, 0, -1
	s_add_u32 s8, s50, s8
	v_mad_u32_u24 v20, v0, 52, v31
	s_addc_u32 s9, s51, s9
	s_movk_i32 s10, 0xffcc
	s_movk_i32 s7, 0x1000
	v_mad_i32_i24 v17, v0, s10, v20
	s_waitcnt vmcnt(12)
	ds_write2st64_b32 v31, v7, v8 offset1:4
	s_waitcnt vmcnt(10)
	ds_write2st64_b32 v31, v9, v10 offset0:8 offset1:12
	s_waitcnt vmcnt(8)
	ds_write2st64_b32 v31, v11, v12 offset0:16 offset1:20
	;; [unrolled: 2-line block ×6, first 2 shown]
	s_waitcnt lgkmcnt(0)
	s_barrier
	ds_read2_b32 v[13:14], v20 offset0:11 offset1:12
	ds_read_b32 v19, v20 offset:52
	ds_read2_b64 v[9:12], v20 offset1:1
	ds_read2_b64 v[5:8], v20 offset0:2 offset1:3
	ds_read2_b64 v[1:4], v20 offset0:4 offset1:5
	ds_read2_b32 v[15:16], v20 offset0:9 offset1:10
	s_load_dword s8, s[8:9], 0x0
	s_waitcnt lgkmcnt(0)
	ds_write_b32 v17, v19 offset:14336
	s_waitcnt lgkmcnt(0)
	s_barrier
	v_mov_b32_e32 v18, s8
	s_and_saveexec_b64 s[8:9], s[2:3]
; %bb.76:
	ds_read_b32 v18, v17 offset:14332
; %bb.77:
	s_or_b64 exec, exec, s[8:9]
	v_lshlrev_b32_e32 v22, 1, v0
	v_mov_b32_e32 v20, s37
	v_add_co_u32_e32 v21, vcc, s36, v22
	v_addc_co_u32_e32 v23, vcc, 0, v20, vcc
	v_add_co_u32_e32 v20, vcc, s7, v21
	v_addc_co_u32_e32 v21, vcc, 0, v23, vcc
	s_waitcnt lgkmcnt(0)
	s_barrier
	global_load_ushort v24, v22, s[36:37]
	global_load_ushort v25, v22, s[36:37] offset:512
	global_load_ushort v26, v22, s[36:37] offset:1024
	;; [unrolled: 1-line block ×7, first 2 shown]
	global_load_ushort v23, v[20:21], off
	global_load_ushort v33, v[20:21], off offset:512
	global_load_ushort v34, v[20:21], off offset:1024
	;; [unrolled: 1-line block ×5, first 2 shown]
	v_cmp_ne_u32_e64 s[8:9], v14, v19
	v_mov_b32_e32 v19, 0x10000
	v_cmp_eq_u32_e32 vcc, v18, v9
	v_cndmask_b32_e64 v18, v19, 0, vcc
	v_cmp_ne_u32_e32 vcc, v10, v11
	v_cndmask_b32_e32 v20, 0, v19, vcc
	v_cmp_ne_u32_e32 vcc, v12, v5
	v_cndmask_b32_e32 v21, 0, v19, vcc
	v_cmp_ne_u32_e32 vcc, v9, v10
	v_sub_u32_e32 v17, v17, v22
	v_cndmask_b32_e32 v22, 0, v19, vcc
	v_cmp_ne_u32_e32 vcc, v11, v12
	v_cndmask_b32_e32 v11, 0, v19, vcc
	v_cmp_ne_u32_e32 vcc, v6, v7
	;; [unrolled: 2-line block ×8, first 2 shown]
	v_mad_u32_u24 v1, v0, 26, v17
	v_cndmask_b32_e32 v15, 0, v19, vcc
	v_cmp_ne_u32_e32 vcc, v3, v13
	s_mov_b32 s2, 0xffff
	s_mov_b64 s[12:13], -1
	s_waitcnt vmcnt(13)
	ds_write_b16 v17, v24
	s_waitcnt vmcnt(12)
	ds_write_b16 v17, v25 offset:512
	s_waitcnt vmcnt(11)
	ds_write_b16 v17, v26 offset:1024
	;; [unrolled: 2-line block ×13, first 2 shown]
	s_waitcnt lgkmcnt(0)
	s_barrier
	ds_read_u16 v2, v1
	ds_read_b128 v[7:10], v1 offset:2
	ds_read_b64 v[13:14], v1 offset:18
	ds_read_u16 v34, v1 offset:26
	v_cndmask_b32_e32 v17, 0, v19, vcc
	s_waitcnt lgkmcnt(3)
	v_or_b32_e32 v27, v18, v2
	s_waitcnt lgkmcnt(2)
	v_and_or_b32 v3, v8, s2, v11
	v_and_or_b32 v1, v7, s2, v22
	v_or_b32_sdwa v4, v21, v8 dst_sel:DWORD dst_unused:UNUSED_PAD src0_sel:DWORD src1_sel:WORD_1
	v_or_b32_sdwa v2, v20, v7 dst_sel:DWORD dst_unused:UNUSED_PAD src0_sel:DWORD src1_sel:WORD_1
	v_and_or_b32 v7, v10, s2, v6
	v_and_or_b32 v5, v9, s2, v5
	v_or_b32_sdwa v8, v38, v10 dst_sel:DWORD dst_unused:UNUSED_PAD src0_sel:DWORD src1_sel:WORD_1
	v_or_b32_sdwa v6, v12, v9 dst_sel:DWORD dst_unused:UNUSED_PAD src0_sel:DWORD src1_sel:WORD_1
	s_waitcnt lgkmcnt(1)
	v_and_or_b32 v11, v14, s2, v17
	v_and_or_b32 v9, v13, s2, v15
	v_or_b32_sdwa v12, v39, v14 dst_sel:DWORD dst_unused:UNUSED_PAD src0_sel:DWORD src1_sel:WORD_1
	v_or_b32_sdwa v10, v16, v13 dst_sel:DWORD dst_unused:UNUSED_PAD src0_sel:DWORD src1_sel:WORD_1
	v_mov_b32_e32 v25, v27
.LBB62_78:
	v_mov_b32_e32 v22, 0
	s_and_saveexec_b64 s[2:3], s[12:13]
	s_cbranch_execz .LBB62_80
; %bb.79:
	v_mov_b32_e32 v13, 0x10000
	v_cndmask_b32_e64 v13, 0, v13, s[8:9]
	s_waitcnt lgkmcnt(0)
	v_or_b32_sdwa v22, v13, v34 dst_sel:DWORD dst_unused:UNUSED_PAD src0_sel:DWORD src1_sel:WORD_0
	v_mov_b32_e32 v25, v27
.LBB62_80:
	s_or_b64 exec, exec, s[2:3]
	s_cmp_lg_u32 s6, 0
	v_mbcnt_lo_u32_b32 v28, -1, 0
	s_waitcnt lgkmcnt(0)
	s_barrier
	s_cbranch_scc0 .LBB62_154
; %bb.81:
	s_mov_b32 s7, 0x10000
	v_max_i16_e32 v13, v25, v1
	v_cmp_gt_u32_e64 s[2:3], s7, v1
	v_cndmask_b32_e64 v13, v1, v13, s[2:3]
	v_max_i16_e32 v13, v13, v2
	v_cmp_gt_u32_e64 s[34:35], s7, v2
	v_cndmask_b32_e64 v13, v2, v13, s[34:35]
	;; [unrolled: 3-line block ×10, first 2 shown]
	v_or_b32_e32 v14, v7, v8
	v_max_i16_e32 v13, v13, v11
	v_cmp_gt_u32_e64 s[24:25], s7, v11
	v_or3_b32 v14, v14, v6, v5
	v_cndmask_b32_e64 v13, v11, v13, s[24:25]
	v_or3_b32 v14, v14, v4, v3
	v_max_i16_e32 v13, v13, v12
	v_cmp_gt_u32_e64 s[26:27], s7, v12
	v_or3_b32 v16, v14, v2, v1
	v_cndmask_b32_e64 v13, v12, v13, s[26:27]
	v_or_b32_e32 v14, v11, v12
	v_or3_b32 v17, v14, v10, v9
	v_max_i16_e32 v13, v13, v22
	v_cmp_gt_u32_e64 s[28:29], s7, v22
	v_cndmask_b32_e64 v14, v22, v13, s[28:29]
	v_or3_b32 v13, v22, v17, v16
	v_and_b32_e32 v13, 0xff0000, v13
	v_and_b32_e32 v15, 0x10000, v25
	v_mov_b32_e32 v16, 0x10000
	v_cmp_eq_u32_e32 vcc, 0, v13
	v_cndmask_b32_e32 v17, v16, v15, vcc
	v_mbcnt_hi_u32_b32 v15, -1, v28
	v_and_b32_e32 v19, 15, v15
	v_or_b32_sdwa v16, v17, v14 dst_sel:DWORD dst_unused:UNUSED_PAD src0_sel:DWORD src1_sel:WORD_0
	v_lshrrev_b32_e32 v13, 16, v17
	v_cmp_ne_u32_e32 vcc, 0, v19
	v_mov_b32_dpp v18, v16 row_shr:1 row_mask:0xf bank_mask:0xf
	s_and_saveexec_b64 s[30:31], vcc
	s_cbranch_execz .LBB62_83
; %bb.82:
	v_and_b32_e32 v13, 0x10000, v17
	v_mov_b32_e32 v16, 1
	v_and_b32_sdwa v16, v18, v16 dst_sel:DWORD dst_unused:UNUSED_PAD src0_sel:WORD_1 src1_sel:DWORD
	v_cmp_ne_u32_e32 vcc, 0, v13
	v_cndmask_b32_e64 v13, v16, 1, vcc
	v_max_i16_e32 v16, v18, v14
	v_cmp_eq_u32_e32 vcc, 0, v17
	v_cndmask_b32_e32 v14, v14, v16, vcc
	v_lshlrev_b32_e32 v16, 16, v13
	v_or_b32_sdwa v16, v16, v14 dst_sel:DWORD dst_unused:UNUSED_PAD src0_sel:DWORD src1_sel:WORD_0
.LBB62_83:
	s_or_b64 exec, exec, s[30:31]
	v_lshrrev_b32_e32 v18, 16, v16
	v_mov_b32_dpp v20, v16 row_shr:2 row_mask:0xf bank_mask:0xf
	v_cmp_lt_u32_e32 vcc, 1, v19
	v_mov_b32_e32 v17, v16
	s_and_saveexec_b64 s[30:31], vcc
	s_cbranch_execz .LBB62_85
; %bb.84:
	v_and_b32_e32 v13, 0x10000, v16
	v_mov_b32_e32 v14, 1
	v_and_b32_sdwa v14, v20, v14 dst_sel:DWORD dst_unused:UNUSED_PAD src0_sel:WORD_1 src1_sel:DWORD
	v_cmp_ne_u32_e32 vcc, 0, v13
	v_cndmask_b32_e64 v13, v14, 1, vcc
	v_max_i16_e32 v14, v20, v16
	v_cmp_gt_u32_e32 vcc, s7, v16
	v_cndmask_b32_e32 v14, v16, v14, vcc
	v_lshlrev_b32_e32 v16, 16, v13
	v_or_b32_sdwa v16, v16, v14 dst_sel:DWORD dst_unused:UNUSED_PAD src0_sel:DWORD src1_sel:WORD_0
	v_mov_b32_e32 v17, v14
	v_mov_b32_e32 v18, v13
.LBB62_85:
	s_or_b64 exec, exec, s[30:31]
	v_mov_b32_dpp v20, v16 row_shr:4 row_mask:0xf bank_mask:0xf
	v_cmp_lt_u32_e32 vcc, 3, v19
	s_and_saveexec_b64 s[30:31], vcc
	s_cbranch_execz .LBB62_87
; %bb.86:
	v_and_b32_e32 v13, 1, v18
	v_mov_b32_e32 v14, 1
	v_and_b32_sdwa v14, v20, v14 dst_sel:DWORD dst_unused:UNUSED_PAD src0_sel:WORD_1 src1_sel:DWORD
	v_cmp_eq_u32_e32 vcc, 1, v13
	v_cndmask_b32_e64 v13, v14, 1, vcc
	v_max_i16_e32 v14, v20, v17
	v_cmp_eq_u16_e32 vcc, 0, v18
	v_cndmask_b32_e32 v14, v17, v14, vcc
	v_lshlrev_b32_e32 v16, 16, v13
	v_or_b32_sdwa v16, v16, v14 dst_sel:DWORD dst_unused:UNUSED_PAD src0_sel:DWORD src1_sel:WORD_0
	v_mov_b32_e32 v17, v14
	v_mov_b32_e32 v18, v13
.LBB62_87:
	s_or_b64 exec, exec, s[30:31]
	v_mov_b32_dpp v20, v16 row_shr:8 row_mask:0xf bank_mask:0xf
	v_cmp_lt_u32_e32 vcc, 7, v19
	s_and_saveexec_b64 s[30:31], vcc
	s_cbranch_execz .LBB62_89
; %bb.88:
	v_and_b32_e32 v13, 1, v18
	v_mov_b32_e32 v14, 1
	v_and_b32_sdwa v14, v20, v14 dst_sel:DWORD dst_unused:UNUSED_PAD src0_sel:WORD_1 src1_sel:DWORD
	v_cmp_eq_u32_e32 vcc, 1, v13
	v_cndmask_b32_e64 v13, v14, 1, vcc
	v_max_i16_e32 v14, v20, v17
	v_cmp_eq_u16_e32 vcc, 0, v18
	v_cndmask_b32_e32 v14, v17, v14, vcc
	v_lshlrev_b32_e32 v16, 16, v13
	v_or_b32_sdwa v16, v16, v14 dst_sel:DWORD dst_unused:UNUSED_PAD src0_sel:DWORD src1_sel:WORD_0
	v_mov_b32_e32 v17, v14
	v_mov_b32_e32 v18, v13
.LBB62_89:
	s_or_b64 exec, exec, s[30:31]
	v_and_b32_e32 v20, 16, v15
	v_mov_b32_dpp v19, v16 row_bcast:15 row_mask:0xf bank_mask:0xf
	v_cmp_ne_u32_e32 vcc, 0, v20
	s_and_saveexec_b64 s[30:31], vcc
	s_cbranch_execz .LBB62_91
; %bb.90:
	v_and_b32_e32 v13, 1, v18
	v_mov_b32_e32 v14, 1
	v_and_b32_sdwa v14, v19, v14 dst_sel:DWORD dst_unused:UNUSED_PAD src0_sel:WORD_1 src1_sel:DWORD
	v_cmp_eq_u32_e32 vcc, 1, v13
	v_cndmask_b32_e64 v13, v14, 1, vcc
	v_max_i16_e32 v14, v19, v17
	v_cmp_eq_u16_e32 vcc, 0, v18
	v_cndmask_b32_e32 v14, v17, v14, vcc
	v_lshlrev_b32_e32 v16, 16, v13
	v_or_b32_sdwa v16, v16, v14 dst_sel:DWORD dst_unused:UNUSED_PAD src0_sel:DWORD src1_sel:WORD_0
	v_mov_b32_e32 v17, v14
	v_mov_b32_e32 v18, v13
.LBB62_91:
	s_or_b64 exec, exec, s[30:31]
	v_mov_b32_dpp v16, v16 row_bcast:31 row_mask:0xf bank_mask:0xf
	v_cmp_lt_u32_e32 vcc, 31, v15
	s_and_saveexec_b64 s[30:31], vcc
; %bb.92:
	v_and_b32_e32 v13, 1, v18
	v_mov_b32_e32 v14, 1
	v_and_b32_sdwa v14, v16, v14 dst_sel:DWORD dst_unused:UNUSED_PAD src0_sel:WORD_1 src1_sel:DWORD
	v_cmp_eq_u32_e32 vcc, 1, v13
	v_cndmask_b32_e64 v13, v14, 1, vcc
	v_max_i16_e32 v14, v16, v17
	v_cmp_eq_u16_e32 vcc, 0, v18
	v_cndmask_b32_e32 v14, v17, v14, vcc
; %bb.93:
	s_or_b64 exec, exec, s[30:31]
	v_lshrrev_b32_e32 v16, 6, v0
	v_or_b32_e32 v17, 63, v0
	v_cmp_eq_u32_e32 vcc, v0, v17
	v_lshlrev_b32_e32 v16, 2, v16
	s_and_saveexec_b64 s[30:31], vcc
	s_cbranch_execz .LBB62_95
; %bb.94:
	ds_write_b16 v16, v14
	ds_write_b8 v16, v13 offset:2
.LBB62_95:
	s_or_b64 exec, exec, s[30:31]
	v_cmp_gt_u32_e32 vcc, 4, v0
	s_waitcnt lgkmcnt(0)
	s_barrier
	s_and_saveexec_b64 s[30:31], vcc
	s_cbranch_execz .LBB62_101
; %bb.96:
	ds_read_b32 v17, v31
	v_and_b32_e32 v19, 3, v15
	v_cmp_ne_u32_e32 vcc, 0, v19
	s_waitcnt lgkmcnt(0)
	v_lshrrev_b32_e32 v18, 16, v17
	v_mov_b32_dpp v21, v17 row_shr:1 row_mask:0xf bank_mask:0xf
	v_mov_b32_e32 v20, v17
	s_and_saveexec_b64 s[36:37], vcc
	s_cbranch_execz .LBB62_98
; %bb.97:
	v_and_b32_e32 v20, 0x10000, v17
	v_mov_b32_e32 v24, 1
	v_and_b32_sdwa v24, v21, v24 dst_sel:DWORD dst_unused:UNUSED_PAD src0_sel:WORD_1 src1_sel:DWORD
	v_cmp_ne_u32_e32 vcc, 0, v20
	v_mov_b32_e32 v20, 0
	v_cndmask_b32_e64 v24, v24, 1, vcc
	v_max_i16_e32 v21, v21, v17
	v_cmp_eq_u16_sdwa vcc, v18, v20 src0_sel:BYTE_0 src1_sel:DWORD
	v_cndmask_b32_e32 v20, v17, v21, vcc
	v_and_b32_e32 v23, 0xff000000, v17
	v_lshlrev_b32_e32 v17, 16, v24
	v_and_b32_e32 v18, 0xffff, v20
	v_or3_b32 v17, v17, v23, v18
	v_mov_b32_e32 v18, v24
.LBB62_98:
	s_or_b64 exec, exec, s[36:37]
	v_mov_b32_dpp v21, v17 row_shr:2 row_mask:0xf bank_mask:0xf
	v_cmp_lt_u32_e32 vcc, 1, v19
	s_and_saveexec_b64 s[36:37], vcc
; %bb.99:
	v_and_b32_e32 v18, 0x10000, v17
	v_mov_b32_e32 v19, 1
	v_and_b32_sdwa v19, v21, v19 dst_sel:DWORD dst_unused:UNUSED_PAD src0_sel:WORD_1 src1_sel:DWORD
	v_cmp_eq_u32_e32 vcc, 0, v18
	v_cndmask_b32_e32 v18, 1, v19, vcc
	v_and_b32_e32 v19, 0xff0000, v17
	v_max_i16_e32 v20, v21, v17
	v_cmp_eq_u32_e32 vcc, 0, v19
	v_cndmask_b32_e32 v20, v17, v20, vcc
; %bb.100:
	s_or_b64 exec, exec, s[36:37]
	ds_write_b16 v31, v20
	ds_write_b8 v31, v18 offset:2
.LBB62_101:
	s_or_b64 exec, exec, s[30:31]
	v_cmp_gt_u32_e32 vcc, 64, v0
	v_cmp_lt_u32_e64 s[30:31], 63, v0
	v_mov_b32_e32 v23, 0
	v_mov_b32_e32 v24, 0
	s_waitcnt lgkmcnt(0)
	s_barrier
	s_and_saveexec_b64 s[36:37], s[30:31]
	s_cbranch_execz .LBB62_103
; %bb.102:
	v_add_u32_e32 v17, -4, v16
	ds_read_u16 v23, v17
	v_add_u32_e32 v16, -2, v16
	ds_read_u8 v24, v16
	v_and_b32_e32 v17, 1, v13
	v_cmp_eq_u16_e64 s[30:31], 0, v13
	s_waitcnt lgkmcnt(1)
	v_max_i16_e32 v16, v23, v14
	v_cndmask_b32_e64 v14, v14, v16, s[30:31]
	v_cmp_eq_u32_e64 s[30:31], 1, v17
	s_waitcnt lgkmcnt(0)
	v_cndmask_b32_e64 v13, v24, 1, s[30:31]
.LBB62_103:
	s_or_b64 exec, exec, s[36:37]
	v_and_b32_e32 v13, 0xff, v13
	v_and_b32_e32 v14, 0xffff, v14
	v_lshl_or_b32 v13, v13, 16, v14
	v_subrev_co_u32_e64 v14, s[30:31], 1, v15
	v_and_b32_e32 v16, 64, v15
	v_cmp_lt_i32_e64 s[36:37], v14, v16
	v_cndmask_b32_e64 v14, v14, v15, s[36:37]
	v_lshlrev_b32_e32 v14, 2, v14
	ds_bpermute_b32 v26, v14, v13
	s_and_saveexec_b64 s[36:37], vcc
	s_cbranch_execz .LBB62_159
; %bb.104:
	v_mov_b32_e32 v18, 0
	ds_read_b32 v13, v18 offset:12
	s_and_saveexec_b64 s[44:45], s[30:31]
	s_cbranch_execz .LBB62_106
; %bb.105:
	s_add_i32 s46, s6, 64
	s_mov_b32 s47, 0
	s_lshl_b64 s[46:47], s[46:47], 3
	s_add_u32 s46, s40, s46
	v_mov_b32_e32 v14, 1
	s_addc_u32 s47, s41, s47
	s_waitcnt lgkmcnt(0)
	global_store_dwordx2 v18, v[13:14], s[46:47]
.LBB62_106:
	s_or_b64 exec, exec, s[44:45]
	v_xad_u32 v14, v15, -1, s6
	v_add_u32_e32 v17, 64, v14
	v_lshlrev_b64 v[16:17], 3, v[17:18]
	v_mov_b32_e32 v20, s41
	v_add_co_u32_e32 v19, vcc, s40, v16
	v_addc_co_u32_e32 v20, vcc, v20, v17, vcc
	global_load_dwordx2 v[16:17], v[19:20], off glc
	s_waitcnt vmcnt(0)
	v_cmp_eq_u16_sdwa s[46:47], v17, v18 src0_sel:BYTE_0 src1_sel:DWORD
	s_and_saveexec_b64 s[44:45], s[46:47]
	s_cbranch_execz .LBB62_110
; %bb.107:
	s_mov_b64 s[46:47], 0
	v_mov_b32_e32 v18, 0
.LBB62_108:                             ; =>This Inner Loop Header: Depth=1
	global_load_dwordx2 v[16:17], v[19:20], off glc
	s_waitcnt vmcnt(0)
	v_cmp_ne_u16_sdwa s[50:51], v17, v18 src0_sel:BYTE_0 src1_sel:DWORD
	s_or_b64 s[46:47], s[50:51], s[46:47]
	s_andn2_b64 exec, exec, s[46:47]
	s_cbranch_execnz .LBB62_108
; %bb.109:
	s_or_b64 exec, exec, s[46:47]
.LBB62_110:
	s_or_b64 exec, exec, s[44:45]
	v_mov_b32_e32 v20, 2
	v_lshlrev_b64 v[18:19], v15, -1
	v_cmp_eq_u16_sdwa s[44:45], v17, v20 src0_sel:BYTE_0 src1_sel:DWORD
	v_and_b32_e32 v20, s45, v19
	v_or_b32_e32 v20, 0x80000000, v20
	v_and_b32_e32 v21, s44, v18
	v_ffbl_b32_e32 v20, v20
	v_and_b32_e32 v37, 63, v15
	v_add_u32_e32 v20, 32, v20
	v_ffbl_b32_e32 v21, v21
	v_cmp_ne_u32_e32 vcc, 63, v37
	v_min_u32_e32 v20, v21, v20
	v_addc_co_u32_e32 v21, vcc, 0, v15, vcc
	v_and_b32_e32 v40, 0xffffff, v16
	v_lshlrev_b32_e32 v27, 2, v21
	ds_bpermute_b32 v30, v27, v40
	v_add_u32_e32 v29, 1, v15
	v_lshrrev_b32_e32 v21, 16, v16
	v_cmp_le_u32_e32 vcc, v29, v20
	v_bfe_u32 v39, v16, 16, 8
	s_and_saveexec_b64 s[44:45], vcc
	s_cbranch_execz .LBB62_112
; %bb.111:
	v_and_b32_e32 v21, 0xff0000, v16
	s_waitcnt lgkmcnt(0)
	v_max_i16_e32 v32, v30, v16
	v_cmp_eq_u32_e32 vcc, 0, v21
	v_cndmask_b32_e32 v16, v16, v32, vcc
	v_and_b32_e32 v21, 0x10000, v21
	v_mov_b32_e32 v32, 1
	v_and_b32_sdwa v30, v30, v32 dst_sel:DWORD dst_unused:UNUSED_PAD src0_sel:WORD_1 src1_sel:DWORD
	v_cmp_ne_u32_e32 vcc, 0, v21
	v_cndmask_b32_e64 v21, v30, 1, vcc
	v_lshlrev_b32_e32 v30, 16, v21
	v_or_b32_sdwa v40, v30, v16 dst_sel:DWORD dst_unused:UNUSED_PAD src0_sel:DWORD src1_sel:WORD_0
	v_mov_b32_e32 v39, v21
.LBB62_112:
	s_or_b64 exec, exec, s[44:45]
	v_cmp_gt_u32_e32 vcc, 62, v37
	s_waitcnt lgkmcnt(0)
	v_cndmask_b32_e64 v30, 0, 2, vcc
	v_add_lshl_u32 v30, v30, v15, 2
	ds_bpermute_b32 v33, v30, v40
	v_add_u32_e32 v32, 2, v15
	v_cmp_le_u32_e32 vcc, v32, v20
	s_and_saveexec_b64 s[44:45], vcc
	s_cbranch_execz .LBB62_114
; %bb.113:
	s_waitcnt lgkmcnt(0)
	v_max_i16_e32 v21, v33, v16
	v_cmp_eq_u16_e32 vcc, 0, v39
	v_cndmask_b32_e32 v16, v16, v21, vcc
	v_and_b32_e32 v21, 1, v39
	v_mov_b32_e32 v34, 1
	v_and_b32_sdwa v33, v33, v34 dst_sel:DWORD dst_unused:UNUSED_PAD src0_sel:WORD_1 src1_sel:DWORD
	v_cmp_eq_u32_e32 vcc, 1, v21
	v_cndmask_b32_e64 v21, v33, 1, vcc
	v_lshlrev_b32_e32 v33, 16, v21
	v_or_b32_sdwa v40, v33, v16 dst_sel:DWORD dst_unused:UNUSED_PAD src0_sel:DWORD src1_sel:WORD_0
	v_mov_b32_e32 v39, v21
.LBB62_114:
	s_or_b64 exec, exec, s[44:45]
	v_cmp_gt_u32_e32 vcc, 60, v37
	s_waitcnt lgkmcnt(0)
	v_cndmask_b32_e64 v33, 0, 4, vcc
	v_add_lshl_u32 v33, v33, v15, 2
	ds_bpermute_b32 v35, v33, v40
	v_add_u32_e32 v34, 4, v15
	v_cmp_le_u32_e32 vcc, v34, v20
	s_and_saveexec_b64 s[44:45], vcc
	s_cbranch_execz .LBB62_116
; %bb.115:
	s_waitcnt lgkmcnt(0)
	v_max_i16_e32 v21, v35, v16
	v_cmp_eq_u16_e32 vcc, 0, v39
	v_cndmask_b32_e32 v16, v16, v21, vcc
	v_and_b32_e32 v21, 1, v39
	v_mov_b32_e32 v36, 1
	v_and_b32_sdwa v35, v35, v36 dst_sel:DWORD dst_unused:UNUSED_PAD src0_sel:WORD_1 src1_sel:DWORD
	v_cmp_eq_u32_e32 vcc, 1, v21
	v_cndmask_b32_e64 v21, v35, 1, vcc
	v_lshlrev_b32_e32 v35, 16, v21
	v_or_b32_sdwa v40, v35, v16 dst_sel:DWORD dst_unused:UNUSED_PAD src0_sel:DWORD src1_sel:WORD_0
	v_mov_b32_e32 v39, v21
.LBB62_116:
	;; [unrolled: 24-line block ×3, first 2 shown]
	s_or_b64 exec, exec, s[44:45]
	v_cmp_gt_u32_e32 vcc, 48, v37
	v_cndmask_b32_e64 v37, 0, 16, vcc
	v_add_lshl_u32 v37, v37, v15, 2
	ds_bpermute_b32 v41, v37, v40
	s_waitcnt lgkmcnt(1)
	v_add_u32_e32 v38, 16, v15
	v_cmp_le_u32_e32 vcc, v38, v20
	s_and_saveexec_b64 s[44:45], vcc
	s_cbranch_execz .LBB62_120
; %bb.119:
	s_waitcnt lgkmcnt(0)
	v_max_i16_e32 v21, v41, v16
	v_cmp_eq_u16_e32 vcc, 0, v39
	v_cndmask_b32_e32 v16, v16, v21, vcc
	v_and_b32_e32 v21, 1, v39
	v_mov_b32_e32 v39, 1
	v_and_b32_sdwa v39, v41, v39 dst_sel:DWORD dst_unused:UNUSED_PAD src0_sel:WORD_1 src1_sel:DWORD
	v_cmp_eq_u32_e32 vcc, 1, v21
	v_cndmask_b32_e64 v21, v39, 1, vcc
	v_lshlrev_b32_e32 v39, 16, v21
	v_or_b32_sdwa v40, v39, v16 dst_sel:DWORD dst_unused:UNUSED_PAD src0_sel:DWORD src1_sel:WORD_0
	v_mov_b32_e32 v39, v21
.LBB62_120:
	s_or_b64 exec, exec, s[44:45]
	s_waitcnt lgkmcnt(0)
	v_mov_b32_e32 v41, 0x80
	v_lshl_or_b32 v41, v15, 2, v41
	ds_bpermute_b32 v40, v41, v40
	v_add_u32_e32 v42, 32, v15
	v_cmp_le_u32_e32 vcc, v42, v20
	s_and_saveexec_b64 s[44:45], vcc
	s_cbranch_execz .LBB62_122
; %bb.121:
	s_waitcnt lgkmcnt(0)
	v_max_i16_e32 v15, v40, v16
	v_cmp_eq_u16_e32 vcc, 0, v39
	v_cndmask_b32_e32 v16, v16, v15, vcc
	v_and_b32_e32 v15, 1, v39
	v_mov_b32_e32 v20, 1
	v_and_b32_sdwa v20, v40, v20 dst_sel:DWORD dst_unused:UNUSED_PAD src0_sel:WORD_1 src1_sel:DWORD
	v_cmp_eq_u32_e32 vcc, 1, v15
	v_cndmask_b32_e64 v21, v20, 1, vcc
.LBB62_122:
	s_or_b64 exec, exec, s[44:45]
	v_mov_b32_e32 v15, 0
	v_mov_b32_e32 v43, 2
	v_mov_b32_e32 v44, 1
	s_branch .LBB62_125
.LBB62_123:                             ;   in Loop: Header=BB62_125 Depth=1
	s_or_b64 exec, exec, s[44:45]
	v_max_i16_e32 v16, v16, v40
	v_cmp_eq_u16_sdwa vcc, v39, v15 src0_sel:BYTE_0 src1_sel:DWORD
	v_and_b32_e32 v20, 1, v39
	v_cndmask_b32_e32 v16, v40, v16, vcc
	v_and_b32_e32 v21, 1, v21
	v_cmp_eq_u32_e32 vcc, 1, v20
	v_subrev_u32_e32 v14, 64, v14
	v_cndmask_b32_e64 v21, v21, 1, vcc
	s_mov_b64 s[44:45], 0
.LBB62_124:                             ;   in Loop: Header=BB62_125 Depth=1
	s_and_b64 vcc, exec, s[44:45]
	s_cbranch_vccnz .LBB62_155
.LBB62_125:                             ; =>This Loop Header: Depth=1
                                        ;     Child Loop BB62_128 Depth 2
	v_cmp_ne_u16_sdwa s[44:45], v17, v43 src0_sel:BYTE_0 src1_sel:DWORD
	v_mov_b32_e32 v39, v21
	s_waitcnt lgkmcnt(0)
	v_mov_b32_e32 v40, v16
	s_cmp_lg_u64 s[44:45], exec
	s_mov_b64 s[44:45], -1
                                        ; implicit-def: $vgpr21
                                        ; implicit-def: $vgpr16
	s_cbranch_scc1 .LBB62_124
; %bb.126:                              ;   in Loop: Header=BB62_125 Depth=1
	v_lshlrev_b64 v[16:17], 3, v[14:15]
	v_mov_b32_e32 v21, s41
	v_add_co_u32_e32 v20, vcc, s40, v16
	v_addc_co_u32_e32 v21, vcc, v21, v17, vcc
	global_load_dwordx2 v[16:17], v[20:21], off glc
	s_waitcnt vmcnt(0)
	v_cmp_eq_u16_sdwa s[46:47], v17, v15 src0_sel:BYTE_0 src1_sel:DWORD
	s_and_saveexec_b64 s[44:45], s[46:47]
	s_cbranch_execz .LBB62_130
; %bb.127:                              ;   in Loop: Header=BB62_125 Depth=1
	s_mov_b64 s[46:47], 0
.LBB62_128:                             ;   Parent Loop BB62_125 Depth=1
                                        ; =>  This Inner Loop Header: Depth=2
	global_load_dwordx2 v[16:17], v[20:21], off glc
	s_waitcnt vmcnt(0)
	v_cmp_ne_u16_sdwa s[50:51], v17, v15 src0_sel:BYTE_0 src1_sel:DWORD
	s_or_b64 s[46:47], s[50:51], s[46:47]
	s_andn2_b64 exec, exec, s[46:47]
	s_cbranch_execnz .LBB62_128
; %bb.129:                              ;   in Loop: Header=BB62_125 Depth=1
	s_or_b64 exec, exec, s[46:47]
.LBB62_130:                             ;   in Loop: Header=BB62_125 Depth=1
	s_or_b64 exec, exec, s[44:45]
	v_cmp_eq_u16_sdwa s[44:45], v17, v43 src0_sel:BYTE_0 src1_sel:DWORD
	v_and_b32_e32 v20, s45, v19
	v_and_b32_e32 v46, 0xffffff, v16
	v_or_b32_e32 v20, 0x80000000, v20
	ds_bpermute_b32 v47, v27, v46
	v_and_b32_e32 v21, s44, v18
	v_ffbl_b32_e32 v20, v20
	v_add_u32_e32 v20, 32, v20
	v_ffbl_b32_e32 v21, v21
	v_min_u32_e32 v20, v21, v20
	v_lshrrev_b32_e32 v21, 16, v16
	v_cmp_le_u32_e32 vcc, v29, v20
	v_bfe_u32 v45, v16, 16, 8
	s_and_saveexec_b64 s[44:45], vcc
	s_cbranch_execz .LBB62_132
; %bb.131:                              ;   in Loop: Header=BB62_125 Depth=1
	v_and_b32_e32 v21, 0xff0000, v16
	s_waitcnt lgkmcnt(0)
	v_max_i16_e32 v45, v47, v16
	v_cmp_eq_u32_e32 vcc, 0, v21
	v_and_b32_e32 v21, 0x10000, v21
	v_cndmask_b32_e32 v16, v16, v45, vcc
	v_and_b32_sdwa v45, v47, v44 dst_sel:DWORD dst_unused:UNUSED_PAD src0_sel:WORD_1 src1_sel:DWORD
	v_cmp_ne_u32_e32 vcc, 0, v21
	v_cndmask_b32_e64 v21, v45, 1, vcc
	v_lshlrev_b32_e32 v45, 16, v21
	v_or_b32_sdwa v46, v45, v16 dst_sel:DWORD dst_unused:UNUSED_PAD src0_sel:DWORD src1_sel:WORD_0
	v_mov_b32_e32 v45, v21
.LBB62_132:                             ;   in Loop: Header=BB62_125 Depth=1
	s_or_b64 exec, exec, s[44:45]
	s_waitcnt lgkmcnt(0)
	ds_bpermute_b32 v47, v30, v46
	v_cmp_le_u32_e32 vcc, v32, v20
	s_and_saveexec_b64 s[44:45], vcc
	s_cbranch_execz .LBB62_134
; %bb.133:                              ;   in Loop: Header=BB62_125 Depth=1
	s_waitcnt lgkmcnt(0)
	v_max_i16_e32 v21, v47, v16
	v_cmp_eq_u16_e32 vcc, 0, v45
	v_cndmask_b32_e32 v16, v16, v21, vcc
	v_and_b32_e32 v21, 1, v45
	v_and_b32_sdwa v45, v47, v44 dst_sel:DWORD dst_unused:UNUSED_PAD src0_sel:WORD_1 src1_sel:DWORD
	v_cmp_eq_u32_e32 vcc, 1, v21
	v_cndmask_b32_e64 v21, v45, 1, vcc
	v_lshlrev_b32_e32 v45, 16, v21
	v_or_b32_sdwa v46, v45, v16 dst_sel:DWORD dst_unused:UNUSED_PAD src0_sel:DWORD src1_sel:WORD_0
	v_mov_b32_e32 v45, v21
.LBB62_134:                             ;   in Loop: Header=BB62_125 Depth=1
	s_or_b64 exec, exec, s[44:45]
	s_waitcnt lgkmcnt(0)
	ds_bpermute_b32 v47, v33, v46
	v_cmp_le_u32_e32 vcc, v34, v20
	s_and_saveexec_b64 s[44:45], vcc
	s_cbranch_execz .LBB62_136
; %bb.135:                              ;   in Loop: Header=BB62_125 Depth=1
	s_waitcnt lgkmcnt(0)
	v_max_i16_e32 v21, v47, v16
	v_cmp_eq_u16_e32 vcc, 0, v45
	v_cndmask_b32_e32 v16, v16, v21, vcc
	v_and_b32_e32 v21, 1, v45
	v_and_b32_sdwa v45, v47, v44 dst_sel:DWORD dst_unused:UNUSED_PAD src0_sel:WORD_1 src1_sel:DWORD
	v_cmp_eq_u32_e32 vcc, 1, v21
	v_cndmask_b32_e64 v21, v45, 1, vcc
	v_lshlrev_b32_e32 v45, 16, v21
	v_or_b32_sdwa v46, v45, v16 dst_sel:DWORD dst_unused:UNUSED_PAD src0_sel:DWORD src1_sel:WORD_0
	v_mov_b32_e32 v45, v21
.LBB62_136:                             ;   in Loop: Header=BB62_125 Depth=1
	;; [unrolled: 19-line block ×4, first 2 shown]
	s_or_b64 exec, exec, s[44:45]
	ds_bpermute_b32 v46, v41, v46
	v_cmp_le_u32_e32 vcc, v42, v20
	s_and_saveexec_b64 s[44:45], vcc
	s_cbranch_execz .LBB62_123
; %bb.141:                              ;   in Loop: Header=BB62_125 Depth=1
	s_waitcnt lgkmcnt(0)
	v_max_i16_e32 v20, v46, v16
	v_cmp_eq_u16_e32 vcc, 0, v45
	v_cndmask_b32_e32 v16, v16, v20, vcc
	v_and_b32_e32 v20, 1, v45
	v_lshrrev_b32_e32 v21, 16, v46
	v_cmp_eq_u32_e32 vcc, 1, v20
	v_cndmask_b32_e64 v21, v21, 1, vcc
	s_branch .LBB62_123
.LBB62_142:
	s_or_b64 exec, exec, s[46:47]
                                        ; implicit-def: $vgpr6
	s_and_saveexec_b64 s[2:3], s[34:35]
	s_cbranch_execz .LBB62_33
.LBB62_143:
	global_load_ushort v6, v[1:2], off offset:512
	s_or_b64 exec, exec, s[2:3]
                                        ; implicit-def: $vgpr7
	s_and_saveexec_b64 s[2:3], s[8:9]
	s_cbranch_execnz .LBB62_34
.LBB62_144:
	s_or_b64 exec, exec, s[2:3]
                                        ; implicit-def: $vgpr8
	s_and_saveexec_b64 s[2:3], s[10:11]
	s_cbranch_execz .LBB62_35
.LBB62_145:
	global_load_ushort v8, v[1:2], off offset:1536
	s_or_b64 exec, exec, s[2:3]
                                        ; implicit-def: $vgpr9
	s_and_saveexec_b64 s[2:3], s[12:13]
	s_cbranch_execnz .LBB62_36
.LBB62_146:
	s_or_b64 exec, exec, s[2:3]
                                        ; implicit-def: $vgpr10
	s_and_saveexec_b64 s[2:3], s[14:15]
	s_cbranch_execz .LBB62_37
.LBB62_147:
	global_load_ushort v10, v[1:2], off offset:2560
	s_or_b64 exec, exec, s[2:3]
                                        ; implicit-def: $vgpr11
	s_and_saveexec_b64 s[2:3], s[16:17]
	s_cbranch_execnz .LBB62_38
.LBB62_148:
	s_or_b64 exec, exec, s[2:3]
                                        ; implicit-def: $vgpr12
	s_and_saveexec_b64 s[2:3], s[18:19]
	s_cbranch_execz .LBB62_39
.LBB62_149:
	global_load_ushort v12, v[1:2], off offset:3584
	s_or_b64 exec, exec, s[2:3]
                                        ; implicit-def: $vgpr25
	s_and_saveexec_b64 s[2:3], s[20:21]
	s_cbranch_execnz .LBB62_40
.LBB62_150:
	s_or_b64 exec, exec, s[2:3]
                                        ; implicit-def: $vgpr27
	s_and_saveexec_b64 s[2:3], s[22:23]
	s_cbranch_execz .LBB62_41
.LBB62_151:
	v_add_co_u32_e32 v27, vcc, 0x1000, v1
	v_addc_co_u32_e32 v28, vcc, 0, v2, vcc
	global_load_ushort v27, v[27:28], off offset:512
	s_or_b64 exec, exec, s[2:3]
                                        ; implicit-def: $vgpr28
	s_and_saveexec_b64 s[2:3], s[24:25]
	s_cbranch_execnz .LBB62_42
.LBB62_152:
	s_or_b64 exec, exec, s[2:3]
                                        ; implicit-def: $vgpr32
	s_and_saveexec_b64 s[2:3], s[26:27]
	s_cbranch_execz .LBB62_43
.LBB62_153:
	v_add_co_u32_e32 v32, vcc, 0x1000, v1
	v_addc_co_u32_e32 v33, vcc, 0, v2, vcc
	global_load_ushort v32, v[32:33], off offset:1536
	s_or_b64 exec, exec, s[2:3]
                                        ; implicit-def: $vgpr33
	s_and_saveexec_b64 s[2:3], s[28:29]
	s_cbranch_execz .LBB62_45
	s_branch .LBB62_44
.LBB62_154:
                                        ; implicit-def: $vgpr29
                                        ; implicit-def: $vgpr13
                                        ; implicit-def: $vgpr14
                                        ; implicit-def: $vgpr15
                                        ; implicit-def: $vgpr16
                                        ; implicit-def: $vgpr17
                                        ; implicit-def: $vgpr18
                                        ; implicit-def: $vgpr19
                                        ; implicit-def: $vgpr20
                                        ; implicit-def: $vgpr21
                                        ; implicit-def: $vgpr23
                                        ; implicit-def: $vgpr24
                                        ; implicit-def: $vgpr26
                                        ; implicit-def: $vgpr27
	s_cbranch_execnz .LBB62_160
	s_branch .LBB62_189
.LBB62_155:
	s_and_saveexec_b64 s[44:45], s[30:31]
	s_cbranch_execz .LBB62_157
; %bb.156:
	v_and_b32_e32 v14, 0xff0000, v13
	v_max_i16_e32 v15, v40, v13
	v_cmp_eq_u32_e32 vcc, 0, v14
	s_mov_b32 s7, 0
	v_cndmask_b32_e32 v14, v13, v15, vcc
	v_and_b32_e32 v13, 0x10000, v13
	v_mov_b32_e32 v15, 1
	s_add_i32 s6, s6, 64
	v_and_b32_sdwa v15, v39, v15 dst_sel:WORD_1 dst_unused:UNUSED_PAD src0_sel:DWORD src1_sel:DWORD
	v_mov_b32_e32 v16, 0x10000
	v_cmp_eq_u32_e32 vcc, 0, v13
	s_lshl_b64 s[6:7], s[6:7], 3
	v_cndmask_b32_e32 v13, v16, v15, vcc
	s_add_u32 s6, s40, s6
	s_addc_u32 s7, s41, s7
	v_mov_b32_e32 v15, 0
	v_or_b32_sdwa v13, v13, v14 dst_sel:DWORD dst_unused:UNUSED_PAD src0_sel:DWORD src1_sel:WORD_0
	v_mov_b32_e32 v14, 2
	global_store_dwordx2 v15, v[13:14], s[6:7]
.LBB62_157:
	s_or_b64 exec, exec, s[44:45]
	v_cmp_eq_u32_e32 vcc, 0, v0
	s_and_b64 exec, exec, vcc
	s_cbranch_execz .LBB62_159
; %bb.158:
	v_mov_b32_e32 v13, 0
	ds_write_b16 v13, v40 offset:12
	ds_write_b8 v13, v39 offset:14
.LBB62_159:
	s_or_b64 exec, exec, s[36:37]
	s_mov_b64 vcc, s[30:31]
	v_mov_b32_e32 v15, 0
	s_waitcnt lgkmcnt(0)
	v_cndmask_b32_sdwa v13, v26, v24, vcc dst_sel:DWORD dst_unused:UNUSED_PAD src0_sel:WORD_1 src1_sel:DWORD
	s_waitcnt vmcnt(0)
	s_barrier
	ds_read_b32 v16, v15 offset:12
	v_and_b32_e32 v18, 0x10000, v25
	v_cndmask_b32_e64 v14, v26, v23, s[30:31]
	s_mov_b32 s6, 0x10000
	v_and_b32_e32 v13, 1, v13
	v_cmp_ne_u32_e32 vcc, 0, v18
	v_cndmask_b32_e64 v13, v13, 1, vcc
	v_max_i16_e32 v14, v14, v25
	v_cmp_gt_u32_e32 vcc, s6, v25
	v_lshrrev_b32_e32 v17, 16, v25
	v_cndmask_b32_e32 v14, v25, v14, vcc
	v_cmp_eq_u32_e32 vcc, 0, v0
	v_cndmask_b32_e32 v13, v13, v17, vcc
	v_cndmask_b32_e32 v14, v14, v25, vcc
	s_waitcnt lgkmcnt(0)
	v_max_i16_e32 v16, v16, v14
	v_cmp_eq_u16_sdwa vcc, v13, v15 src0_sel:BYTE_0 src1_sel:DWORD
	v_cndmask_b32_e32 v13, v14, v16, vcc
	v_and_b32_e32 v29, 0xffff, v13
	v_max_i16_e32 v13, v13, v1
	v_cndmask_b32_e64 v13, v1, v13, s[2:3]
	v_max_i16_e32 v14, v13, v2
	v_cndmask_b32_e64 v14, v2, v14, s[34:35]
	;; [unrolled: 2-line block ×13, first 2 shown]
	v_and_b32_e32 v27, 0xffff, v27
	s_branch .LBB62_189
.LBB62_160:
	s_cmp_lg_u64 s[48:49], 0
	s_cselect_b64 s[6:7], -1, 0
	v_cmp_eq_u32_e32 vcc, 0, v0
	v_cmp_ne_u32_e64 s[2:3], 0, v0
	s_and_b64 s[6:7], vcc, s[6:7]
	s_and_saveexec_b64 s[8:9], s[6:7]
	s_cbranch_execz .LBB62_162
; %bb.161:
	v_mov_b32_e32 v13, 0
	global_load_ushort v14, v13, s[48:49]
	global_load_ubyte v15, v13, s[48:49] offset:2
	s_mov_b32 s6, 0x10000
	v_and_b32_e32 v13, 0x10000, v25
	v_mov_b32_e32 v16, 1
	v_cmp_gt_u32_e64 s[6:7], s6, v25
	v_mov_b32_e32 v17, 0x10000
	s_waitcnt vmcnt(1)
	v_max_i16_e32 v14, v14, v25
	s_waitcnt vmcnt(0)
	v_and_b32_sdwa v15, v15, v16 dst_sel:WORD_1 dst_unused:UNUSED_PAD src0_sel:DWORD src1_sel:DWORD
	v_cndmask_b32_e64 v14, v25, v14, s[6:7]
	v_cmp_eq_u32_e64 s[6:7], 0, v13
	v_cndmask_b32_e64 v13, v17, v15, s[6:7]
	v_or_b32_sdwa v25, v13, v14 dst_sel:DWORD dst_unused:UNUSED_PAD src0_sel:DWORD src1_sel:WORD_0
.LBB62_162:
	s_or_b64 exec, exec, s[8:9]
	s_mov_b32 s30, 0x10000
	v_max_i16_e32 v13, v25, v1
	v_cmp_gt_u32_e64 s[6:7], s30, v1
	v_cndmask_b32_e64 v13, v1, v13, s[6:7]
	v_max_i16_e32 v14, v13, v2
	v_cmp_gt_u32_e64 s[8:9], s30, v2
	v_cndmask_b32_e64 v14, v2, v14, s[8:9]
	;; [unrolled: 3-line block ×7, first 2 shown]
	v_max_i16_e32 v20, v19, v8
	v_cmp_gt_u32_e64 s[20:21], s30, v8
	v_or_b32_e32 v24, v8, v4
	v_cndmask_b32_e64 v20, v8, v20, s[20:21]
	v_or_b32_e32 v21, v7, v3
	v_or_b32_e32 v23, v5, v1
	v_or3_b32 v24, v6, v2, v24
	v_or3_b32 v29, v23, v21, v24
	v_max_i16_e32 v21, v20, v9
	v_cmp_gt_u32_e64 s[22:23], s30, v9
	v_cndmask_b32_e64 v21, v9, v21, s[22:23]
	v_max_i16_e32 v23, v21, v10
	v_cmp_gt_u32_e64 s[24:25], s30, v10
	v_cndmask_b32_e64 v23, v10, v23, s[24:25]
	;; [unrolled: 3-line block ×3, first 2 shown]
	v_or_b32_e32 v30, v10, v12
	v_max_i16_e32 v26, v24, v12
	v_cmp_gt_u32_e64 s[28:29], s30, v12
	v_or3_b32 v32, v9, v11, v30
	v_cndmask_b32_e64 v26, v12, v26, s[28:29]
	v_or3_b32 v29, v22, v32, v29
	v_max_i16_e32 v30, v26, v22
	v_cmp_gt_u32_e64 s[30:31], s30, v22
	v_and_b32_e32 v29, 0xff0000, v29
	v_and_b32_e32 v27, 0x10000, v25
	v_cndmask_b32_e64 v30, v22, v30, s[30:31]
	v_mov_b32_e32 v32, 0x10000
	v_cmp_eq_u32_e64 s[34:35], 0, v29
	v_cndmask_b32_e64 v32, v32, v27, s[34:35]
	v_and_b32_e32 v27, 0xffff, v30
	v_mbcnt_hi_u32_b32 v28, -1, v28
	v_and_b32_e32 v35, 15, v28
	v_or_b32_e32 v33, v32, v27
	v_lshrrev_b32_e32 v29, 16, v32
	v_cmp_ne_u32_e64 s[34:35], 0, v35
	v_mov_b32_dpp v34, v33 row_shr:1 row_mask:0xf bank_mask:0xf
	s_and_saveexec_b64 s[36:37], s[34:35]
	s_cbranch_execz .LBB62_164
; %bb.163:
	v_and_b32_e32 v29, 0x10000, v32
	v_mov_b32_e32 v33, 1
	v_and_b32_sdwa v33, v34, v33 dst_sel:DWORD dst_unused:UNUSED_PAD src0_sel:WORD_1 src1_sel:DWORD
	v_cmp_ne_u32_e64 s[34:35], 0, v29
	v_cndmask_b32_e64 v29, v33, 1, s[34:35]
	v_max_i16_e32 v33, v34, v30
	v_cmp_eq_u32_e64 s[34:35], 0, v32
	v_cndmask_b32_e64 v30, v30, v33, s[34:35]
	v_lshlrev_b32_e32 v32, 16, v29
	v_or_b32_sdwa v33, v32, v30 dst_sel:DWORD dst_unused:UNUSED_PAD src0_sel:DWORD src1_sel:WORD_0
.LBB62_164:
	s_or_b64 exec, exec, s[36:37]
	v_lshrrev_b32_e32 v34, 16, v33
	v_mov_b32_dpp v36, v33 row_shr:2 row_mask:0xf bank_mask:0xf
	v_cmp_lt_u32_e64 s[34:35], 1, v35
	v_mov_b32_e32 v32, v33
	s_and_saveexec_b64 s[36:37], s[34:35]
	s_cbranch_execz .LBB62_166
; %bb.165:
	v_and_b32_e32 v29, 0x10000, v33
	v_mov_b32_e32 v30, 1
	v_and_b32_sdwa v30, v36, v30 dst_sel:DWORD dst_unused:UNUSED_PAD src0_sel:WORD_1 src1_sel:DWORD
	v_cmp_ne_u32_e64 s[34:35], 0, v29
	v_cndmask_b32_e64 v29, v30, 1, s[34:35]
	s_mov_b32 s34, 0x10000
	v_max_i16_e32 v30, v36, v33
	v_cmp_gt_u32_e64 s[34:35], s34, v33
	v_cndmask_b32_e64 v30, v33, v30, s[34:35]
	v_lshlrev_b32_e32 v32, 16, v29
	v_or_b32_sdwa v33, v32, v30 dst_sel:DWORD dst_unused:UNUSED_PAD src0_sel:DWORD src1_sel:WORD_0
	v_mov_b32_e32 v32, v30
	v_mov_b32_e32 v34, v29
.LBB62_166:
	s_or_b64 exec, exec, s[36:37]
	v_mov_b32_dpp v36, v33 row_shr:4 row_mask:0xf bank_mask:0xf
	v_cmp_lt_u32_e64 s[34:35], 3, v35
	s_and_saveexec_b64 s[36:37], s[34:35]
	s_cbranch_execz .LBB62_168
; %bb.167:
	v_and_b32_e32 v29, 1, v34
	v_mov_b32_e32 v30, 1
	v_and_b32_sdwa v30, v36, v30 dst_sel:DWORD dst_unused:UNUSED_PAD src0_sel:WORD_1 src1_sel:DWORD
	v_cmp_eq_u32_e64 s[34:35], 1, v29
	v_cndmask_b32_e64 v29, v30, 1, s[34:35]
	v_max_i16_e32 v30, v36, v32
	v_cmp_eq_u16_e64 s[34:35], 0, v34
	v_cndmask_b32_e64 v30, v32, v30, s[34:35]
	v_lshlrev_b32_e32 v32, 16, v29
	v_or_b32_sdwa v33, v32, v30 dst_sel:DWORD dst_unused:UNUSED_PAD src0_sel:DWORD src1_sel:WORD_0
	v_mov_b32_e32 v32, v30
	v_mov_b32_e32 v34, v29
.LBB62_168:
	s_or_b64 exec, exec, s[36:37]
	v_mov_b32_dpp v36, v33 row_shr:8 row_mask:0xf bank_mask:0xf
	v_cmp_lt_u32_e64 s[34:35], 7, v35
	s_and_saveexec_b64 s[36:37], s[34:35]
	s_cbranch_execz .LBB62_170
; %bb.169:
	v_and_b32_e32 v29, 1, v34
	v_mov_b32_e32 v30, 1
	v_and_b32_sdwa v30, v36, v30 dst_sel:DWORD dst_unused:UNUSED_PAD src0_sel:WORD_1 src1_sel:DWORD
	v_cmp_eq_u32_e64 s[34:35], 1, v29
	v_cndmask_b32_e64 v29, v30, 1, s[34:35]
	v_max_i16_e32 v30, v36, v32
	v_cmp_eq_u16_e64 s[34:35], 0, v34
	v_cndmask_b32_e64 v30, v32, v30, s[34:35]
	v_lshlrev_b32_e32 v32, 16, v29
	v_or_b32_sdwa v33, v32, v30 dst_sel:DWORD dst_unused:UNUSED_PAD src0_sel:DWORD src1_sel:WORD_0
	v_mov_b32_e32 v32, v30
	v_mov_b32_e32 v34, v29
.LBB62_170:
	s_or_b64 exec, exec, s[36:37]
	v_and_b32_e32 v36, 16, v28
	v_mov_b32_dpp v35, v33 row_bcast:15 row_mask:0xf bank_mask:0xf
	v_cmp_ne_u32_e64 s[34:35], 0, v36
	s_and_saveexec_b64 s[36:37], s[34:35]
	s_cbranch_execz .LBB62_172
; %bb.171:
	v_and_b32_e32 v29, 1, v34
	v_mov_b32_e32 v30, 1
	v_and_b32_sdwa v30, v35, v30 dst_sel:DWORD dst_unused:UNUSED_PAD src0_sel:WORD_1 src1_sel:DWORD
	v_cmp_eq_u32_e64 s[34:35], 1, v29
	v_cndmask_b32_e64 v29, v30, 1, s[34:35]
	v_max_i16_e32 v30, v35, v32
	v_cmp_eq_u16_e64 s[34:35], 0, v34
	v_cndmask_b32_e64 v30, v32, v30, s[34:35]
	v_lshlrev_b32_e32 v32, 16, v29
	v_or_b32_sdwa v33, v32, v30 dst_sel:DWORD dst_unused:UNUSED_PAD src0_sel:DWORD src1_sel:WORD_0
	v_mov_b32_e32 v32, v30
	v_mov_b32_e32 v34, v29
.LBB62_172:
	s_or_b64 exec, exec, s[36:37]
	v_mov_b32_dpp v33, v33 row_bcast:31 row_mask:0xf bank_mask:0xf
	v_cmp_lt_u32_e64 s[34:35], 31, v28
	s_and_saveexec_b64 s[36:37], s[34:35]
; %bb.173:
	v_and_b32_e32 v29, 1, v34
	v_mov_b32_e32 v30, 1
	v_and_b32_sdwa v30, v33, v30 dst_sel:DWORD dst_unused:UNUSED_PAD src0_sel:WORD_1 src1_sel:DWORD
	v_cmp_eq_u32_e64 s[34:35], 1, v29
	v_cndmask_b32_e64 v29, v30, 1, s[34:35]
	v_max_i16_e32 v30, v33, v32
	v_cmp_eq_u16_e64 s[34:35], 0, v34
	v_cndmask_b32_e64 v30, v32, v30, s[34:35]
; %bb.174:
	s_or_b64 exec, exec, s[36:37]
	v_lshrrev_b32_e32 v32, 6, v0
	v_or_b32_e32 v33, 63, v0
	v_cmp_eq_u32_e64 s[34:35], v0, v33
	v_lshlrev_b32_e32 v32, 2, v32
	s_and_saveexec_b64 s[36:37], s[34:35]
	s_cbranch_execz .LBB62_176
; %bb.175:
	ds_write_b16 v32, v30
	ds_write_b8 v32, v29 offset:2
.LBB62_176:
	s_or_b64 exec, exec, s[36:37]
	v_cmp_gt_u32_e64 s[34:35], 4, v0
	s_waitcnt lgkmcnt(0)
	s_barrier
	s_and_saveexec_b64 s[36:37], s[34:35]
	s_cbranch_execz .LBB62_182
; %bb.177:
	ds_read_b32 v33, v31
	v_and_b32_e32 v35, 3, v28
	v_cmp_ne_u32_e64 s[34:35], 0, v35
	s_waitcnt lgkmcnt(0)
	v_lshrrev_b32_e32 v34, 16, v33
	v_mov_b32_dpp v37, v33 row_shr:1 row_mask:0xf bank_mask:0xf
	v_mov_b32_e32 v36, v33
	s_and_saveexec_b64 s[44:45], s[34:35]
	s_cbranch_execz .LBB62_179
; %bb.178:
	v_and_b32_e32 v36, 0x10000, v33
	v_mov_b32_e32 v39, 1
	v_and_b32_sdwa v39, v37, v39 dst_sel:DWORD dst_unused:UNUSED_PAD src0_sel:WORD_1 src1_sel:DWORD
	v_cmp_ne_u32_e64 s[34:35], 0, v36
	v_mov_b32_e32 v36, 0
	v_cndmask_b32_e64 v39, v39, 1, s[34:35]
	v_max_i16_e32 v37, v37, v33
	v_cmp_eq_u16_sdwa s[34:35], v34, v36 src0_sel:BYTE_0 src1_sel:DWORD
	v_cndmask_b32_e64 v36, v33, v37, s[34:35]
	v_and_b32_e32 v38, 0xff000000, v33
	v_lshlrev_b32_e32 v33, 16, v39
	v_and_b32_e32 v34, 0xffff, v36
	v_or3_b32 v33, v33, v38, v34
	v_mov_b32_e32 v34, v39
.LBB62_179:
	s_or_b64 exec, exec, s[44:45]
	v_mov_b32_dpp v37, v33 row_shr:2 row_mask:0xf bank_mask:0xf
	v_cmp_lt_u32_e64 s[34:35], 1, v35
	s_and_saveexec_b64 s[44:45], s[34:35]
; %bb.180:
	v_and_b32_e32 v34, 0x10000, v33
	v_mov_b32_e32 v35, 1
	v_and_b32_sdwa v35, v37, v35 dst_sel:DWORD dst_unused:UNUSED_PAD src0_sel:WORD_1 src1_sel:DWORD
	v_cmp_eq_u32_e64 s[34:35], 0, v34
	v_cndmask_b32_e64 v34, 1, v35, s[34:35]
	v_and_b32_e32 v35, 0xff0000, v33
	v_max_i16_e32 v36, v37, v33
	v_cmp_eq_u32_e64 s[34:35], 0, v35
	v_cndmask_b32_e64 v36, v33, v36, s[34:35]
; %bb.181:
	s_or_b64 exec, exec, s[44:45]
	ds_write_b16 v31, v36
	ds_write_b8 v31, v34 offset:2
.LBB62_182:
	s_or_b64 exec, exec, s[36:37]
	v_cmp_lt_u32_e64 s[34:35], 63, v0
	v_mov_b32_e32 v33, 0
	s_waitcnt lgkmcnt(0)
	s_barrier
	s_and_saveexec_b64 s[36:37], s[34:35]
	s_cbranch_execz .LBB62_184
; %bb.183:
	v_add_u32_e32 v33, -4, v32
	ds_read_u16 v33, v33
	v_add_u32_e32 v32, -2, v32
	ds_read_u8 v32, v32
	v_and_b32_e32 v34, 1, v29
	v_cmp_eq_u16_e64 s[34:35], 0, v29
	s_waitcnt lgkmcnt(1)
	v_max_i16_e32 v35, v33, v30
	v_cndmask_b32_e64 v30, v30, v35, s[34:35]
	v_cmp_eq_u32_e64 s[34:35], 1, v34
	s_waitcnt lgkmcnt(0)
	v_cndmask_b32_e64 v29, v32, 1, s[34:35]
.LBB62_184:
	s_or_b64 exec, exec, s[36:37]
	v_and_b32_e32 v29, 0xff, v29
	v_and_b32_e32 v30, 0xffff, v30
	v_lshl_or_b32 v29, v29, 16, v30
	v_add_u32_e32 v30, -1, v28
	v_and_b32_e32 v32, 64, v28
	v_cmp_lt_i32_e64 s[34:35], v30, v32
	v_cndmask_b32_e64 v30, v30, v28, s[34:35]
	v_lshlrev_b32_e32 v30, 2, v30
	ds_bpermute_b32 v29, v30, v29
	s_and_saveexec_b64 s[34:35], s[2:3]
	s_cbranch_execz .LBB62_186
; %bb.185:
	v_cmp_eq_u32_e64 s[2:3], 0, v28
	s_waitcnt lgkmcnt(0)
	v_cndmask_b32_e64 v13, v29, v33, s[2:3]
	v_and_b32_e32 v14, 0xff0000, v25
	v_max_i16_e32 v13, v13, v25
	v_cmp_eq_u32_e64 s[2:3], 0, v14
	v_cndmask_b32_e64 v13, v25, v13, s[2:3]
	v_and_b32_e32 v25, 0xffff, v13
	v_max_i16_e32 v13, v13, v1
	v_cndmask_b32_e64 v13, v1, v13, s[6:7]
	v_max_i16_e32 v1, v13, v2
	v_cndmask_b32_e64 v14, v2, v1, s[8:9]
	;; [unrolled: 2-line block ×13, first 2 shown]
	v_and_b32_e32 v27, 0xffff, v1
.LBB62_186:
	s_or_b64 exec, exec, s[34:35]
	s_and_saveexec_b64 s[2:3], vcc
	s_cbranch_execz .LBB62_188
; %bb.187:
	v_mov_b32_e32 v3, 0
	ds_read_u8 v1, v3 offset:14
	ds_read_u16 v2, v3 offset:12
	s_waitcnt lgkmcnt(1)
	v_lshlrev_b32_e32 v1, 16, v1
	s_waitcnt lgkmcnt(0)
	v_or_b32_e32 v1, v1, v2
	v_mov_b32_e32 v2, 2
	global_store_dwordx2 v3, v[1:2], s[40:41] offset:512
.LBB62_188:
	s_or_b64 exec, exec, s[2:3]
	s_waitcnt lgkmcnt(0)
	v_mov_b32_e32 v29, v25
.LBB62_189:
	s_load_dwordx2 s[2:3], s[4:5], 0x18
	v_mov_b32_e32 v1, 0
	s_waitcnt lgkmcnt(0)
	s_add_u32 s2, s2, s38
	s_addc_u32 s3, s3, s39
	s_and_b64 vcc, exec, s[0:1]
	s_cbranch_vccz .LBB62_245
; %bb.190:
	s_add_i32 s33, s33, s42
	v_mul_u32_u24_e32 v2, 14, v0
	v_cmp_gt_u32_e32 vcc, s33, v2
	v_mov_b32_e32 v3, 0
	v_mov_b32_e32 v4, 0
	v_mov_b32_e32 v5, 0
	v_mov_b32_e32 v6, 0
	v_mov_b32_e32 v8, 0
	v_mov_b32_e32 v7, 0
	s_and_saveexec_b64 s[0:1], vcc
	s_cbranch_execz .LBB62_218
; %bb.191:
	v_or_b32_e32 v3, 1, v2
	v_and_b32_e32 v1, 0xffff, v29
	v_cmp_gt_u32_e32 vcc, s33, v3
	v_mov_b32_e32 v3, 0
	v_mov_b32_e32 v4, 0
	;; [unrolled: 1-line block ×6, first 2 shown]
	s_and_saveexec_b64 s[4:5], vcc
	s_cbranch_execz .LBB62_217
; %bb.192:
	s_mov_b32 s6, 0x5040100
	v_add_u32_e32 v9, 2, v2
	v_perm_b32 v1, v13, v1, s6
	v_mov_b32_e32 v7, 0
	v_mov_b32_e32 v8, 0
	;; [unrolled: 1-line block ×6, first 2 shown]
	v_cmp_gt_u32_e32 vcc, s33, v9
	s_and_saveexec_b64 s[6:7], vcc
	s_cbranch_execz .LBB62_216
; %bb.193:
	s_mov_b32 s8, 0xffff
	v_add_u32_e32 v9, 3, v2
	v_bfi_b32 v3, s8, v14, 0
	v_mov_b32_e32 v7, 0
	v_mov_b32_e32 v8, 0
	;; [unrolled: 1-line block ×5, first 2 shown]
	v_cmp_gt_u32_e32 vcc, s33, v9
	s_and_saveexec_b64 s[8:9], vcc
	s_cbranch_execz .LBB62_215
; %bb.194:
	s_mov_b32 s10, 0x5040100
	v_add_u32_e32 v9, 4, v2
	v_perm_b32 v3, v15, v3, s10
	v_mov_b32_e32 v7, 0
	v_mov_b32_e32 v8, 0
	v_mov_b32_e32 v6, 0
	v_mov_b32_e32 v5, 0
	v_mov_b32_e32 v4, 0
	v_cmp_gt_u32_e32 vcc, s33, v9
	s_and_saveexec_b64 s[10:11], vcc
	s_cbranch_execz .LBB62_214
; %bb.195:
	s_mov_b32 s12, 0xffff
	v_add_u32_e32 v9, 5, v2
	v_bfi_b32 v4, s12, v16, 0
	v_mov_b32_e32 v7, 0
	v_mov_b32_e32 v8, 0
	v_mov_b32_e32 v6, 0
	v_mov_b32_e32 v5, 0
	v_cmp_gt_u32_e32 vcc, s33, v9
	s_and_saveexec_b64 s[12:13], vcc
	s_cbranch_execz .LBB62_213
; %bb.196:
	s_mov_b32 s14, 0x5040100
	v_add_u32_e32 v9, 6, v2
	v_perm_b32 v4, v17, v4, s14
	v_mov_b32_e32 v7, 0
	v_mov_b32_e32 v8, 0
	;; [unrolled: 1-line block ×4, first 2 shown]
	v_cmp_gt_u32_e32 vcc, s33, v9
	s_and_saveexec_b64 s[14:15], vcc
	s_cbranch_execz .LBB62_212
; %bb.197:
	s_mov_b32 s16, 0xffff
	v_add_u32_e32 v9, 7, v2
	v_bfi_b32 v5, s16, v18, 0
	v_mov_b32_e32 v7, 0
	v_mov_b32_e32 v8, 0
	v_mov_b32_e32 v6, 0
	v_cmp_gt_u32_e32 vcc, s33, v9
	s_and_saveexec_b64 s[16:17], vcc
	s_cbranch_execz .LBB62_211
; %bb.198:
	s_mov_b32 s18, 0x5040100
	v_add_u32_e32 v9, 8, v2
	v_perm_b32 v5, v19, v5, s18
	v_mov_b32_e32 v7, 0
	v_mov_b32_e32 v8, 0
	;; [unrolled: 1-line block ×3, first 2 shown]
	v_cmp_gt_u32_e32 vcc, s33, v9
	s_and_saveexec_b64 s[18:19], vcc
	s_cbranch_execz .LBB62_210
; %bb.199:
	s_mov_b32 s20, 0xffff
	v_add_u32_e32 v9, 9, v2
	v_bfi_b32 v6, s20, v20, 0
	v_mov_b32_e32 v7, 0
	v_mov_b32_e32 v8, 0
	v_cmp_gt_u32_e32 vcc, s33, v9
	s_and_saveexec_b64 s[20:21], vcc
	s_cbranch_execz .LBB62_209
; %bb.200:
	s_mov_b32 s22, 0x5040100
	v_add_u32_e32 v9, 10, v2
	v_perm_b32 v6, v21, v6, s22
	v_mov_b32_e32 v7, 0
	v_mov_b32_e32 v8, 0
	v_cmp_gt_u32_e32 vcc, s33, v9
	s_and_saveexec_b64 s[22:23], vcc
	s_cbranch_execz .LBB62_208
; %bb.201:
	s_mov_b32 s24, 0xffff
	v_add_u32_e32 v9, 11, v2
	v_bfi_b32 v8, s24, v23, 0
	v_mov_b32_e32 v7, 0
	v_cmp_gt_u32_e32 vcc, s33, v9
	s_and_saveexec_b64 s[24:25], vcc
	s_cbranch_execz .LBB62_207
; %bb.202:
	s_mov_b32 s26, 0x5040100
	v_add_u32_e32 v9, 12, v2
	v_perm_b32 v8, v24, v8, s26
	v_mov_b32_e32 v7, 0
	v_cmp_gt_u32_e32 vcc, s33, v9
	s_and_saveexec_b64 s[26:27], vcc
	s_cbranch_execz .LBB62_206
; %bb.203:
	s_mov_b32 s28, 0xffff
	v_add_u32_e32 v9, 13, v2
	v_bfi_b32 v7, s28, v26, 0
	v_cmp_gt_u32_e32 vcc, s33, v9
	s_and_saveexec_b64 s[28:29], vcc
; %bb.204:
	s_mov_b32 s30, 0x5040100
	v_perm_b32 v7, v27, v7, s30
; %bb.205:
	s_or_b64 exec, exec, s[28:29]
.LBB62_206:
	s_or_b64 exec, exec, s[26:27]
.LBB62_207:
	s_or_b64 exec, exec, s[24:25]
.LBB62_208:
	s_or_b64 exec, exec, s[22:23]
.LBB62_209:
	s_or_b64 exec, exec, s[20:21]
.LBB62_210:
	s_or_b64 exec, exec, s[18:19]
.LBB62_211:
	s_or_b64 exec, exec, s[16:17]
.LBB62_212:
	s_or_b64 exec, exec, s[14:15]
.LBB62_213:
	s_or_b64 exec, exec, s[12:13]
.LBB62_214:
	s_or_b64 exec, exec, s[10:11]
.LBB62_215:
	s_or_b64 exec, exec, s[8:9]
.LBB62_216:
	s_or_b64 exec, exec, s[6:7]
.LBB62_217:
	s_or_b64 exec, exec, s[4:5]
.LBB62_218:
	s_or_b64 exec, exec, s[0:1]
	v_lshlrev_b32_e32 v30, 1, v2
	s_movk_i32 s0, 0xffe6
	s_waitcnt vmcnt(0)
	s_barrier
	ds_write2_b32 v30, v1, v3 offset1:1
	ds_write2_b32 v30, v4, v5 offset0:2 offset1:3
	ds_write2_b32 v30, v6, v8 offset0:4 offset1:5
	ds_write_b32 v30, v7 offset:24
	v_mad_i32_i24 v1, v0, s0, v30
	s_waitcnt lgkmcnt(0)
	s_barrier
	ds_read_u16 v28, v1 offset:512
	ds_read_u16 v25, v1 offset:1024
	;; [unrolled: 1-line block ×13, first 2 shown]
	v_mov_b32_e32 v2, s3
	v_add_co_u32_e32 v1, vcc, s2, v31
	v_addc_co_u32_e32 v2, vcc, 0, v2, vcc
	v_cmp_gt_u32_e32 vcc, s33, v0
	s_and_saveexec_b64 s[0:1], vcc
	s_cbranch_execz .LBB62_220
; %bb.219:
	v_mul_i32_i24_e32 v32, 0xffffffe6, v0
	v_add_u32_e32 v30, v30, v32
	ds_read_i16 v30, v30
	s_waitcnt lgkmcnt(0)
	v_cvt_f32_i32_e32 v30, v30
	global_store_dword v[1:2], v30, off
.LBB62_220:
	s_or_b64 exec, exec, s[0:1]
	v_or_b32_e32 v30, 0x100, v0
	v_cmp_gt_u32_e32 vcc, s33, v30
	s_and_saveexec_b64 s[0:1], vcc
	s_cbranch_execz .LBB62_222
; %bb.221:
	s_waitcnt lgkmcnt(12)
	v_cvt_f32_i32_sdwa v28, sext(v28) dst_sel:DWORD dst_unused:UNUSED_PAD src0_sel:WORD_0
	global_store_dword v[1:2], v28, off offset:1024
.LBB62_222:
	s_or_b64 exec, exec, s[0:1]
	s_waitcnt lgkmcnt(12)
	v_or_b32_e32 v28, 0x200, v0
	v_cmp_gt_u32_e32 vcc, s33, v28
	s_and_saveexec_b64 s[0:1], vcc
	s_cbranch_execz .LBB62_224
; %bb.223:
	s_waitcnt lgkmcnt(11)
	v_cvt_f32_i32_sdwa v25, sext(v25) dst_sel:DWORD dst_unused:UNUSED_PAD src0_sel:WORD_0
	global_store_dword v[1:2], v25, off offset:2048
.LBB62_224:
	s_or_b64 exec, exec, s[0:1]
	s_waitcnt lgkmcnt(11)
	;; [unrolled: 11-line block ×3, first 2 shown]
	v_or_b32_e32 v22, 0x400, v0
	v_cmp_gt_u32_e32 vcc, s33, v22
	s_and_saveexec_b64 s[0:1], vcc
	s_cbranch_execz .LBB62_228
; %bb.227:
	s_waitcnt lgkmcnt(9)
	v_cvt_f32_i32_sdwa v12, sext(v12) dst_sel:DWORD dst_unused:UNUSED_PAD src0_sel:WORD_0
	v_add_co_u32_e32 v32, vcc, 0x1000, v1
	v_addc_co_u32_e32 v33, vcc, 0, v2, vcc
	global_store_dword v[32:33], v12, off
.LBB62_228:
	s_or_b64 exec, exec, s[0:1]
	s_waitcnt lgkmcnt(9)
	v_or_b32_e32 v12, 0x500, v0
	v_cmp_gt_u32_e32 vcc, s33, v12
	s_and_saveexec_b64 s[0:1], vcc
	s_cbranch_execz .LBB62_230
; %bb.229:
	s_waitcnt lgkmcnt(8)
	v_cvt_f32_i32_sdwa v22, sext(v11) dst_sel:DWORD dst_unused:UNUSED_PAD src0_sel:WORD_0
	v_add_co_u32_e32 v11, vcc, 0x1000, v1
	v_addc_co_u32_e32 v12, vcc, 0, v2, vcc
	global_store_dword v[11:12], v22, off offset:1024
.LBB62_230:
	s_or_b64 exec, exec, s[0:1]
	s_waitcnt lgkmcnt(8)
	v_or_b32_e32 v11, 0x600, v0
	v_cmp_gt_u32_e32 vcc, s33, v11
	s_and_saveexec_b64 s[0:1], vcc
	s_cbranch_execz .LBB62_232
; %bb.231:
	s_waitcnt lgkmcnt(7)
	v_cvt_f32_i32_sdwa v12, sext(v10) dst_sel:DWORD dst_unused:UNUSED_PAD src0_sel:WORD_0
	v_add_co_u32_e32 v10, vcc, 0x1000, v1
	v_addc_co_u32_e32 v11, vcc, 0, v2, vcc
	global_store_dword v[10:11], v12, off offset:2048
.LBB62_232:
	;; [unrolled: 13-line block ×3, first 2 shown]
	s_or_b64 exec, exec, s[0:1]
	s_waitcnt lgkmcnt(6)
	v_or_b32_e32 v9, 0x800, v0
	v_cmp_gt_u32_e32 vcc, s33, v9
	s_and_saveexec_b64 s[0:1], vcc
	s_cbranch_execz .LBB62_236
; %bb.235:
	s_waitcnt lgkmcnt(5)
	v_cvt_f32_i32_sdwa v10, sext(v8) dst_sel:DWORD dst_unused:UNUSED_PAD src0_sel:WORD_0
	v_add_co_u32_e32 v8, vcc, 0x2000, v1
	v_addc_co_u32_e32 v9, vcc, 0, v2, vcc
	global_store_dword v[8:9], v10, off
.LBB62_236:
	s_or_b64 exec, exec, s[0:1]
	s_waitcnt lgkmcnt(5)
	v_or_b32_e32 v8, 0x900, v0
	v_cmp_gt_u32_e32 vcc, s33, v8
	s_and_saveexec_b64 s[0:1], vcc
	s_cbranch_execz .LBB62_238
; %bb.237:
	s_waitcnt lgkmcnt(4)
	v_cvt_f32_i32_sdwa v9, sext(v7) dst_sel:DWORD dst_unused:UNUSED_PAD src0_sel:WORD_0
	v_add_co_u32_e32 v7, vcc, 0x2000, v1
	v_addc_co_u32_e32 v8, vcc, 0, v2, vcc
	global_store_dword v[7:8], v9, off offset:1024
.LBB62_238:
	s_or_b64 exec, exec, s[0:1]
	s_waitcnt lgkmcnt(4)
	v_or_b32_e32 v7, 0xa00, v0
	v_cmp_gt_u32_e32 vcc, s33, v7
	s_and_saveexec_b64 s[0:1], vcc
	s_cbranch_execz .LBB62_240
; %bb.239:
	s_waitcnt lgkmcnt(3)
	v_cvt_f32_i32_sdwa v8, sext(v6) dst_sel:DWORD dst_unused:UNUSED_PAD src0_sel:WORD_0
	v_add_co_u32_e32 v6, vcc, 0x2000, v1
	v_addc_co_u32_e32 v7, vcc, 0, v2, vcc
	global_store_dword v[6:7], v8, off offset:2048
.LBB62_240:
	;; [unrolled: 13-line block ×3, first 2 shown]
	s_or_b64 exec, exec, s[0:1]
	s_waitcnt lgkmcnt(2)
	v_or_b32_e32 v5, 0xc00, v0
	v_cmp_gt_u32_e32 vcc, s33, v5
	s_and_saveexec_b64 s[0:1], vcc
	s_cbranch_execz .LBB62_244
; %bb.243:
	s_waitcnt lgkmcnt(1)
	v_cvt_f32_i32_sdwa v4, sext(v4) dst_sel:DWORD dst_unused:UNUSED_PAD src0_sel:WORD_0
	v_add_co_u32_e32 v1, vcc, 0x3000, v1
	v_addc_co_u32_e32 v2, vcc, 0, v2, vcc
	global_store_dword v[1:2], v4, off
.LBB62_244:
	s_or_b64 exec, exec, s[0:1]
	v_or_b32_e32 v1, 0xd00, v0
	v_cmp_gt_u32_e64 s[0:1], s33, v1
	s_branch .LBB62_247
.LBB62_245:
	s_mov_b64 s[0:1], 0
                                        ; implicit-def: $vgpr3
	s_cbranch_execz .LBB62_247
; %bb.246:
	s_mov_b32 s4, 0x5040100
	v_mul_u32_u24_e32 v1, 28, v0
	v_perm_b32 v2, v15, v14, s4
	s_waitcnt lgkmcnt(0)
	v_perm_b32 v3, v13, v29, s4
	s_waitcnt vmcnt(0)
	s_barrier
	ds_write2_b32 v1, v3, v2 offset1:1
	v_perm_b32 v2, v19, v18, s4
	v_perm_b32 v3, v17, v16, s4
	ds_write2_b32 v1, v3, v2 offset0:2 offset1:3
	v_perm_b32 v2, v24, v23, s4
	v_perm_b32 v3, v21, v20, s4
	ds_write2_b32 v1, v3, v2 offset0:4 offset1:5
	v_perm_b32 v2, v27, v26, s4
	ds_write_b32 v1, v2 offset:24
	v_mul_i32_i24_e32 v1, 0xffffffe6, v0
	v_mad_u32_u24 v1, v0, 28, v1
	s_waitcnt lgkmcnt(0)
	s_barrier
	ds_read_i16 v2, v1
	ds_read_i16 v4, v1 offset:512
	ds_read_i16 v5, v1 offset:1024
	;; [unrolled: 1-line block ×12, first 2 shown]
	ds_read_u16 v3, v1 offset:6656
	v_mov_b32_e32 v1, s3
	v_add_co_u32_e32 v16, vcc, s2, v31
	v_addc_co_u32_e32 v17, vcc, 0, v1, vcc
	s_waitcnt lgkmcnt(13)
	v_cvt_f32_i32_e32 v1, v2
	s_waitcnt lgkmcnt(12)
	v_cvt_f32_i32_e32 v2, v4
	;; [unrolled: 2-line block ×4, first 2 shown]
	s_movk_i32 s4, 0x1000
	global_store_dword v31, v1, s[2:3]
	global_store_dword v31, v2, s[2:3] offset:1024
	global_store_dword v31, v4, s[2:3] offset:2048
	;; [unrolled: 1-line block ×3, first 2 shown]
	s_waitcnt lgkmcnt(9)
	v_cvt_f32_i32_e32 v6, v7
	v_add_co_u32_e32 v1, vcc, s4, v16
	v_addc_co_u32_e32 v2, vcc, 0, v17, vcc
	s_movk_i32 s4, 0x2000
	s_waitcnt lgkmcnt(8)
	v_cvt_f32_i32_e32 v7, v8
	v_add_co_u32_e32 v4, vcc, s4, v16
	s_waitcnt lgkmcnt(7)
	v_cvt_f32_i32_e32 v8, v9
	v_addc_co_u32_e32 v5, vcc, 0, v17, vcc
	s_waitcnt lgkmcnt(6)
	v_cvt_f32_i32_e32 v9, v10
	global_store_dword v[4:5], v6, off offset:-4096
	global_store_dword v[1:2], v7, off offset:1024
	global_store_dword v[1:2], v8, off offset:2048
	;; [unrolled: 1-line block ×3, first 2 shown]
	s_waitcnt lgkmcnt(5)
	v_cvt_f32_i32_e32 v1, v11
	s_waitcnt lgkmcnt(4)
	v_cvt_f32_i32_e32 v2, v12
	;; [unrolled: 2-line block ×4, first 2 shown]
	global_store_dword v[4:5], v1, off
	global_store_dword v[4:5], v2, off offset:1024
	global_store_dword v[4:5], v6, off offset:2048
	global_store_dword v[4:5], v7, off offset:3072
	s_waitcnt lgkmcnt(1)
	v_cvt_f32_i32_e32 v4, v15
	v_add_co_u32_e32 v1, vcc, 0x3000, v16
	v_addc_co_u32_e32 v2, vcc, 0, v17, vcc
	s_or_b64 s[0:1], s[0:1], exec
	global_store_dword v[1:2], v4, off
.LBB62_247:
	s_and_saveexec_b64 s[4:5], s[0:1]
	s_cbranch_execz .LBB62_249
; %bb.248:
	v_lshlrev_b32_e32 v0, 2, v0
	v_mov_b32_e32 v1, s3
	v_add_co_u32_e32 v0, vcc, s2, v0
	s_waitcnt lgkmcnt(0)
	v_cvt_f32_i32_sdwa v2, sext(v3) dst_sel:DWORD dst_unused:UNUSED_PAD src0_sel:WORD_0
	v_addc_co_u32_e32 v1, vcc, 0, v1, vcc
	v_add_co_u32_e32 v0, vcc, 0x3000, v0
	v_addc_co_u32_e32 v1, vcc, 0, v1, vcc
	global_store_dword v[0:1], v2, off offset:1024
	s_endpgm
.LBB62_249:
	s_endpgm
	.section	.rodata,"a",@progbits
	.p2align	6, 0x0
	.amdhsa_kernel _ZN7rocprim6detail25device_scan_by_key_kernelILNS0_25lookback_scan_determinismE0ELb0ENS0_26wrapped_scan_by_key_configINS_14default_configEisEEPiN6hipcub22TransformInputIteratorIsNS7_6CastOpIsEEPslEEPfsNS7_8EqualityENS7_3MaxENS0_19lookback_scan_stateINS_5tupleIJsbEEELb0ELb1EEEsEEvT2_T3_T4_T5_T6_T7_T8_mmmPKNSH_IJT9_bEEE
		.amdhsa_group_segment_fixed_size 16384
		.amdhsa_private_segment_fixed_size 0
		.amdhsa_kernarg_size 80
		.amdhsa_user_sgpr_count 6
		.amdhsa_user_sgpr_private_segment_buffer 1
		.amdhsa_user_sgpr_dispatch_ptr 0
		.amdhsa_user_sgpr_queue_ptr 0
		.amdhsa_user_sgpr_kernarg_segment_ptr 1
		.amdhsa_user_sgpr_dispatch_id 0
		.amdhsa_user_sgpr_flat_scratch_init 0
		.amdhsa_user_sgpr_private_segment_size 0
		.amdhsa_uses_dynamic_stack 0
		.amdhsa_system_sgpr_private_segment_wavefront_offset 0
		.amdhsa_system_sgpr_workgroup_id_x 1
		.amdhsa_system_sgpr_workgroup_id_y 0
		.amdhsa_system_sgpr_workgroup_id_z 0
		.amdhsa_system_sgpr_workgroup_info 0
		.amdhsa_system_vgpr_workitem_id 0
		.amdhsa_next_free_vgpr 49
		.amdhsa_next_free_sgpr 98
		.amdhsa_reserve_vcc 1
		.amdhsa_reserve_flat_scratch 0
		.amdhsa_float_round_mode_32 0
		.amdhsa_float_round_mode_16_64 0
		.amdhsa_float_denorm_mode_32 3
		.amdhsa_float_denorm_mode_16_64 3
		.amdhsa_dx10_clamp 1
		.amdhsa_ieee_mode 1
		.amdhsa_fp16_overflow 0
		.amdhsa_exception_fp_ieee_invalid_op 0
		.amdhsa_exception_fp_denorm_src 0
		.amdhsa_exception_fp_ieee_div_zero 0
		.amdhsa_exception_fp_ieee_overflow 0
		.amdhsa_exception_fp_ieee_underflow 0
		.amdhsa_exception_fp_ieee_inexact 0
		.amdhsa_exception_int_div_zero 0
	.end_amdhsa_kernel
	.section	.text._ZN7rocprim6detail25device_scan_by_key_kernelILNS0_25lookback_scan_determinismE0ELb0ENS0_26wrapped_scan_by_key_configINS_14default_configEisEEPiN6hipcub22TransformInputIteratorIsNS7_6CastOpIsEEPslEEPfsNS7_8EqualityENS7_3MaxENS0_19lookback_scan_stateINS_5tupleIJsbEEELb0ELb1EEEsEEvT2_T3_T4_T5_T6_T7_T8_mmmPKNSH_IJT9_bEEE,"axG",@progbits,_ZN7rocprim6detail25device_scan_by_key_kernelILNS0_25lookback_scan_determinismE0ELb0ENS0_26wrapped_scan_by_key_configINS_14default_configEisEEPiN6hipcub22TransformInputIteratorIsNS7_6CastOpIsEEPslEEPfsNS7_8EqualityENS7_3MaxENS0_19lookback_scan_stateINS_5tupleIJsbEEELb0ELb1EEEsEEvT2_T3_T4_T5_T6_T7_T8_mmmPKNSH_IJT9_bEEE,comdat
.Lfunc_end62:
	.size	_ZN7rocprim6detail25device_scan_by_key_kernelILNS0_25lookback_scan_determinismE0ELb0ENS0_26wrapped_scan_by_key_configINS_14default_configEisEEPiN6hipcub22TransformInputIteratorIsNS7_6CastOpIsEEPslEEPfsNS7_8EqualityENS7_3MaxENS0_19lookback_scan_stateINS_5tupleIJsbEEELb0ELb1EEEsEEvT2_T3_T4_T5_T6_T7_T8_mmmPKNSH_IJT9_bEEE, .Lfunc_end62-_ZN7rocprim6detail25device_scan_by_key_kernelILNS0_25lookback_scan_determinismE0ELb0ENS0_26wrapped_scan_by_key_configINS_14default_configEisEEPiN6hipcub22TransformInputIteratorIsNS7_6CastOpIsEEPslEEPfsNS7_8EqualityENS7_3MaxENS0_19lookback_scan_stateINS_5tupleIJsbEEELb0ELb1EEEsEEvT2_T3_T4_T5_T6_T7_T8_mmmPKNSH_IJT9_bEEE
                                        ; -- End function
	.set _ZN7rocprim6detail25device_scan_by_key_kernelILNS0_25lookback_scan_determinismE0ELb0ENS0_26wrapped_scan_by_key_configINS_14default_configEisEEPiN6hipcub22TransformInputIteratorIsNS7_6CastOpIsEEPslEEPfsNS7_8EqualityENS7_3MaxENS0_19lookback_scan_stateINS_5tupleIJsbEEELb0ELb1EEEsEEvT2_T3_T4_T5_T6_T7_T8_mmmPKNSH_IJT9_bEEE.num_vgpr, 48
	.set _ZN7rocprim6detail25device_scan_by_key_kernelILNS0_25lookback_scan_determinismE0ELb0ENS0_26wrapped_scan_by_key_configINS_14default_configEisEEPiN6hipcub22TransformInputIteratorIsNS7_6CastOpIsEEPslEEPfsNS7_8EqualityENS7_3MaxENS0_19lookback_scan_stateINS_5tupleIJsbEEELb0ELb1EEEsEEvT2_T3_T4_T5_T6_T7_T8_mmmPKNSH_IJT9_bEEE.num_agpr, 0
	.set _ZN7rocprim6detail25device_scan_by_key_kernelILNS0_25lookback_scan_determinismE0ELb0ENS0_26wrapped_scan_by_key_configINS_14default_configEisEEPiN6hipcub22TransformInputIteratorIsNS7_6CastOpIsEEPslEEPfsNS7_8EqualityENS7_3MaxENS0_19lookback_scan_stateINS_5tupleIJsbEEELb0ELb1EEEsEEvT2_T3_T4_T5_T6_T7_T8_mmmPKNSH_IJT9_bEEE.numbered_sgpr, 54
	.set _ZN7rocprim6detail25device_scan_by_key_kernelILNS0_25lookback_scan_determinismE0ELb0ENS0_26wrapped_scan_by_key_configINS_14default_configEisEEPiN6hipcub22TransformInputIteratorIsNS7_6CastOpIsEEPslEEPfsNS7_8EqualityENS7_3MaxENS0_19lookback_scan_stateINS_5tupleIJsbEEELb0ELb1EEEsEEvT2_T3_T4_T5_T6_T7_T8_mmmPKNSH_IJT9_bEEE.num_named_barrier, 0
	.set _ZN7rocprim6detail25device_scan_by_key_kernelILNS0_25lookback_scan_determinismE0ELb0ENS0_26wrapped_scan_by_key_configINS_14default_configEisEEPiN6hipcub22TransformInputIteratorIsNS7_6CastOpIsEEPslEEPfsNS7_8EqualityENS7_3MaxENS0_19lookback_scan_stateINS_5tupleIJsbEEELb0ELb1EEEsEEvT2_T3_T4_T5_T6_T7_T8_mmmPKNSH_IJT9_bEEE.private_seg_size, 0
	.set _ZN7rocprim6detail25device_scan_by_key_kernelILNS0_25lookback_scan_determinismE0ELb0ENS0_26wrapped_scan_by_key_configINS_14default_configEisEEPiN6hipcub22TransformInputIteratorIsNS7_6CastOpIsEEPslEEPfsNS7_8EqualityENS7_3MaxENS0_19lookback_scan_stateINS_5tupleIJsbEEELb0ELb1EEEsEEvT2_T3_T4_T5_T6_T7_T8_mmmPKNSH_IJT9_bEEE.uses_vcc, 1
	.set _ZN7rocprim6detail25device_scan_by_key_kernelILNS0_25lookback_scan_determinismE0ELb0ENS0_26wrapped_scan_by_key_configINS_14default_configEisEEPiN6hipcub22TransformInputIteratorIsNS7_6CastOpIsEEPslEEPfsNS7_8EqualityENS7_3MaxENS0_19lookback_scan_stateINS_5tupleIJsbEEELb0ELb1EEEsEEvT2_T3_T4_T5_T6_T7_T8_mmmPKNSH_IJT9_bEEE.uses_flat_scratch, 0
	.set _ZN7rocprim6detail25device_scan_by_key_kernelILNS0_25lookback_scan_determinismE0ELb0ENS0_26wrapped_scan_by_key_configINS_14default_configEisEEPiN6hipcub22TransformInputIteratorIsNS7_6CastOpIsEEPslEEPfsNS7_8EqualityENS7_3MaxENS0_19lookback_scan_stateINS_5tupleIJsbEEELb0ELb1EEEsEEvT2_T3_T4_T5_T6_T7_T8_mmmPKNSH_IJT9_bEEE.has_dyn_sized_stack, 0
	.set _ZN7rocprim6detail25device_scan_by_key_kernelILNS0_25lookback_scan_determinismE0ELb0ENS0_26wrapped_scan_by_key_configINS_14default_configEisEEPiN6hipcub22TransformInputIteratorIsNS7_6CastOpIsEEPslEEPfsNS7_8EqualityENS7_3MaxENS0_19lookback_scan_stateINS_5tupleIJsbEEELb0ELb1EEEsEEvT2_T3_T4_T5_T6_T7_T8_mmmPKNSH_IJT9_bEEE.has_recursion, 0
	.set _ZN7rocprim6detail25device_scan_by_key_kernelILNS0_25lookback_scan_determinismE0ELb0ENS0_26wrapped_scan_by_key_configINS_14default_configEisEEPiN6hipcub22TransformInputIteratorIsNS7_6CastOpIsEEPslEEPfsNS7_8EqualityENS7_3MaxENS0_19lookback_scan_stateINS_5tupleIJsbEEELb0ELb1EEEsEEvT2_T3_T4_T5_T6_T7_T8_mmmPKNSH_IJT9_bEEE.has_indirect_call, 0
	.section	.AMDGPU.csdata,"",@progbits
; Kernel info:
; codeLenInByte = 11532
; TotalNumSgprs: 58
; NumVgprs: 48
; ScratchSize: 0
; MemoryBound: 0
; FloatMode: 240
; IeeeMode: 1
; LDSByteSize: 16384 bytes/workgroup (compile time only)
; SGPRBlocks: 12
; VGPRBlocks: 12
; NumSGPRsForWavesPerEU: 102
; NumVGPRsForWavesPerEU: 49
; Occupancy: 4
; WaveLimiterHint : 1
; COMPUTE_PGM_RSRC2:SCRATCH_EN: 0
; COMPUTE_PGM_RSRC2:USER_SGPR: 6
; COMPUTE_PGM_RSRC2:TRAP_HANDLER: 0
; COMPUTE_PGM_RSRC2:TGID_X_EN: 1
; COMPUTE_PGM_RSRC2:TGID_Y_EN: 0
; COMPUTE_PGM_RSRC2:TGID_Z_EN: 0
; COMPUTE_PGM_RSRC2:TIDIG_COMP_CNT: 0
	.section	.text._ZN7rocprim6detail31init_lookback_scan_state_kernelINS0_19lookback_scan_stateINS_5tupleIJmbEEELb1ELb0EEEEEvT_jjPNS6_10value_typeE,"axG",@progbits,_ZN7rocprim6detail31init_lookback_scan_state_kernelINS0_19lookback_scan_stateINS_5tupleIJmbEEELb1ELb0EEEEEvT_jjPNS6_10value_typeE,comdat
	.protected	_ZN7rocprim6detail31init_lookback_scan_state_kernelINS0_19lookback_scan_stateINS_5tupleIJmbEEELb1ELb0EEEEEvT_jjPNS6_10value_typeE ; -- Begin function _ZN7rocprim6detail31init_lookback_scan_state_kernelINS0_19lookback_scan_stateINS_5tupleIJmbEEELb1ELb0EEEEEvT_jjPNS6_10value_typeE
	.globl	_ZN7rocprim6detail31init_lookback_scan_state_kernelINS0_19lookback_scan_stateINS_5tupleIJmbEEELb1ELb0EEEEEvT_jjPNS6_10value_typeE
	.p2align	8
	.type	_ZN7rocprim6detail31init_lookback_scan_state_kernelINS0_19lookback_scan_stateINS_5tupleIJmbEEELb1ELb0EEEEEvT_jjPNS6_10value_typeE,@function
_ZN7rocprim6detail31init_lookback_scan_state_kernelINS0_19lookback_scan_stateINS_5tupleIJmbEEELb1ELb0EEEEEvT_jjPNS6_10value_typeE: ; @_ZN7rocprim6detail31init_lookback_scan_state_kernelINS0_19lookback_scan_stateINS_5tupleIJmbEEELb1ELb0EEEEEvT_jjPNS6_10value_typeE
; %bb.0:
	s_load_dword s7, s[4:5], 0x34
	s_load_dwordx2 s[12:13], s[4:5], 0x20
	s_load_dwordx4 s[0:3], s[4:5], 0x10
	s_waitcnt lgkmcnt(0)
	s_and_b32 s7, s7, 0xffff
	s_mul_i32 s6, s6, s7
	s_cmp_eq_u64 s[12:13], 0
	v_add_u32_e32 v0, s6, v0
	s_cbranch_scc1 .LBB63_9
; %bb.1:
	s_cmp_lt_u32 s3, s2
	s_cselect_b32 s6, s3, 0
	s_mov_b32 s15, 0
	v_cmp_eq_u32_e32 vcc, s6, v0
	s_and_saveexec_b64 s[6:7], vcc
	s_cbranch_execz .LBB63_8
; %bb.2:
	s_add_i32 s14, s3, 64
	v_mov_b32_e32 v1, s14
	global_load_ubyte v2, v1, s[0:1] glc
	s_load_dwordx4 s[8:11], s[4:5], 0x0
	v_mov_b32_e32 v1, 0
	s_add_u32 s4, s0, s14
	s_addc_u32 s5, s1, 0
	s_waitcnt vmcnt(0)
	v_cmp_ne_u32_sdwa s[16:17], v2, v1 src0_sel:WORD_0 src1_sel:DWORD
	s_and_b64 vcc, exec, s[16:17]
	v_readfirstlane_b32 s16, v2
	s_cbranch_vccnz .LBB63_7
; %bb.3:
	s_mov_b32 s3, 1
.LBB63_4:                               ; =>This Loop Header: Depth=1
                                        ;     Child Loop BB63_5 Depth 2
	s_mov_b32 s16, s3
.LBB63_5:                               ;   Parent Loop BB63_4 Depth=1
                                        ; =>  This Inner Loop Header: Depth=2
	s_add_i32 s16, s16, -1
	s_cmp_eq_u32 s16, 0
	s_sleep 1
	s_cbranch_scc0 .LBB63_5
; %bb.6:                                ;   in Loop: Header=BB63_4 Depth=1
	global_load_ubyte v2, v1, s[4:5] glc
	s_cmp_lt_u32 s3, 32
	s_cselect_b64 s[16:17], -1, 0
	s_cmp_lg_u64 s[16:17], 0
	s_addc_u32 s3, s3, 0
	s_waitcnt vmcnt(0)
	v_cmp_ne_u32_sdwa s[16:17], v2, v1 src0_sel:WORD_0 src1_sel:DWORD
	s_and_b64 vcc, exec, s[16:17]
	v_readfirstlane_b32 s16, v2
	s_cbranch_vccz .LBB63_4
.LBB63_7:
	s_and_b32 s3, 0xffff, s16
	s_cmp_eq_u32 s3, 1
	s_waitcnt lgkmcnt(0)
	s_cselect_b32 s3, s9, s11
	s_cselect_b32 s8, s8, s10
	s_lshl_b64 s[4:5], s[14:15], 4
	s_add_u32 s4, s8, s4
	s_addc_u32 s5, s3, s5
	v_mov_b32_e32 v3, 0
	buffer_wbinvl1_vol
	global_load_dwordx2 v[1:2], v3, s[4:5]
	global_load_ubyte v4, v3, s[4:5] offset:8
	s_waitcnt vmcnt(1)
	global_store_dwordx2 v3, v[1:2], s[12:13]
	s_waitcnt vmcnt(1)
	global_store_byte v3, v4, s[12:13] offset:8
.LBB63_8:
	s_or_b64 exec, exec, s[6:7]
.LBB63_9:
	v_cmp_gt_u32_e32 vcc, s2, v0
	s_and_saveexec_b64 s[2:3], vcc
	s_cbranch_execnz .LBB63_12
; %bb.10:
	s_or_b64 exec, exec, s[2:3]
	v_cmp_gt_u32_e32 vcc, 64, v0
	s_and_saveexec_b64 s[2:3], vcc
	s_cbranch_execnz .LBB63_13
.LBB63_11:
	s_endpgm
.LBB63_12:
	v_add_u32_e32 v1, 64, v0
	v_mov_b32_e32 v2, 0
	global_store_byte v1, v2, s[0:1]
	s_or_b64 exec, exec, s[2:3]
	v_cmp_gt_u32_e32 vcc, 64, v0
	s_and_saveexec_b64 s[2:3], vcc
	s_cbranch_execz .LBB63_11
.LBB63_13:
	v_mov_b32_e32 v1, 0xff
	global_store_byte v0, v1, s[0:1]
	s_endpgm
	.section	.rodata,"a",@progbits
	.p2align	6, 0x0
	.amdhsa_kernel _ZN7rocprim6detail31init_lookback_scan_state_kernelINS0_19lookback_scan_stateINS_5tupleIJmbEEELb1ELb0EEEEEvT_jjPNS6_10value_typeE
		.amdhsa_group_segment_fixed_size 0
		.amdhsa_private_segment_fixed_size 0
		.amdhsa_kernarg_size 296
		.amdhsa_user_sgpr_count 6
		.amdhsa_user_sgpr_private_segment_buffer 1
		.amdhsa_user_sgpr_dispatch_ptr 0
		.amdhsa_user_sgpr_queue_ptr 0
		.amdhsa_user_sgpr_kernarg_segment_ptr 1
		.amdhsa_user_sgpr_dispatch_id 0
		.amdhsa_user_sgpr_flat_scratch_init 0
		.amdhsa_user_sgpr_private_segment_size 0
		.amdhsa_uses_dynamic_stack 0
		.amdhsa_system_sgpr_private_segment_wavefront_offset 0
		.amdhsa_system_sgpr_workgroup_id_x 1
		.amdhsa_system_sgpr_workgroup_id_y 0
		.amdhsa_system_sgpr_workgroup_id_z 0
		.amdhsa_system_sgpr_workgroup_info 0
		.amdhsa_system_vgpr_workitem_id 0
		.amdhsa_next_free_vgpr 5
		.amdhsa_next_free_sgpr 18
		.amdhsa_reserve_vcc 1
		.amdhsa_reserve_flat_scratch 0
		.amdhsa_float_round_mode_32 0
		.amdhsa_float_round_mode_16_64 0
		.amdhsa_float_denorm_mode_32 3
		.amdhsa_float_denorm_mode_16_64 3
		.amdhsa_dx10_clamp 1
		.amdhsa_ieee_mode 1
		.amdhsa_fp16_overflow 0
		.amdhsa_exception_fp_ieee_invalid_op 0
		.amdhsa_exception_fp_denorm_src 0
		.amdhsa_exception_fp_ieee_div_zero 0
		.amdhsa_exception_fp_ieee_overflow 0
		.amdhsa_exception_fp_ieee_underflow 0
		.amdhsa_exception_fp_ieee_inexact 0
		.amdhsa_exception_int_div_zero 0
	.end_amdhsa_kernel
	.section	.text._ZN7rocprim6detail31init_lookback_scan_state_kernelINS0_19lookback_scan_stateINS_5tupleIJmbEEELb1ELb0EEEEEvT_jjPNS6_10value_typeE,"axG",@progbits,_ZN7rocprim6detail31init_lookback_scan_state_kernelINS0_19lookback_scan_stateINS_5tupleIJmbEEELb1ELb0EEEEEvT_jjPNS6_10value_typeE,comdat
.Lfunc_end63:
	.size	_ZN7rocprim6detail31init_lookback_scan_state_kernelINS0_19lookback_scan_stateINS_5tupleIJmbEEELb1ELb0EEEEEvT_jjPNS6_10value_typeE, .Lfunc_end63-_ZN7rocprim6detail31init_lookback_scan_state_kernelINS0_19lookback_scan_stateINS_5tupleIJmbEEELb1ELb0EEEEEvT_jjPNS6_10value_typeE
                                        ; -- End function
	.set _ZN7rocprim6detail31init_lookback_scan_state_kernelINS0_19lookback_scan_stateINS_5tupleIJmbEEELb1ELb0EEEEEvT_jjPNS6_10value_typeE.num_vgpr, 5
	.set _ZN7rocprim6detail31init_lookback_scan_state_kernelINS0_19lookback_scan_stateINS_5tupleIJmbEEELb1ELb0EEEEEvT_jjPNS6_10value_typeE.num_agpr, 0
	.set _ZN7rocprim6detail31init_lookback_scan_state_kernelINS0_19lookback_scan_stateINS_5tupleIJmbEEELb1ELb0EEEEEvT_jjPNS6_10value_typeE.numbered_sgpr, 18
	.set _ZN7rocprim6detail31init_lookback_scan_state_kernelINS0_19lookback_scan_stateINS_5tupleIJmbEEELb1ELb0EEEEEvT_jjPNS6_10value_typeE.num_named_barrier, 0
	.set _ZN7rocprim6detail31init_lookback_scan_state_kernelINS0_19lookback_scan_stateINS_5tupleIJmbEEELb1ELb0EEEEEvT_jjPNS6_10value_typeE.private_seg_size, 0
	.set _ZN7rocprim6detail31init_lookback_scan_state_kernelINS0_19lookback_scan_stateINS_5tupleIJmbEEELb1ELb0EEEEEvT_jjPNS6_10value_typeE.uses_vcc, 1
	.set _ZN7rocprim6detail31init_lookback_scan_state_kernelINS0_19lookback_scan_stateINS_5tupleIJmbEEELb1ELb0EEEEEvT_jjPNS6_10value_typeE.uses_flat_scratch, 0
	.set _ZN7rocprim6detail31init_lookback_scan_state_kernelINS0_19lookback_scan_stateINS_5tupleIJmbEEELb1ELb0EEEEEvT_jjPNS6_10value_typeE.has_dyn_sized_stack, 0
	.set _ZN7rocprim6detail31init_lookback_scan_state_kernelINS0_19lookback_scan_stateINS_5tupleIJmbEEELb1ELb0EEEEEvT_jjPNS6_10value_typeE.has_recursion, 0
	.set _ZN7rocprim6detail31init_lookback_scan_state_kernelINS0_19lookback_scan_stateINS_5tupleIJmbEEELb1ELb0EEEEEvT_jjPNS6_10value_typeE.has_indirect_call, 0
	.section	.AMDGPU.csdata,"",@progbits
; Kernel info:
; codeLenInByte = 384
; TotalNumSgprs: 22
; NumVgprs: 5
; ScratchSize: 0
; MemoryBound: 0
; FloatMode: 240
; IeeeMode: 1
; LDSByteSize: 0 bytes/workgroup (compile time only)
; SGPRBlocks: 2
; VGPRBlocks: 1
; NumSGPRsForWavesPerEU: 22
; NumVGPRsForWavesPerEU: 5
; Occupancy: 10
; WaveLimiterHint : 0
; COMPUTE_PGM_RSRC2:SCRATCH_EN: 0
; COMPUTE_PGM_RSRC2:USER_SGPR: 6
; COMPUTE_PGM_RSRC2:TRAP_HANDLER: 0
; COMPUTE_PGM_RSRC2:TGID_X_EN: 1
; COMPUTE_PGM_RSRC2:TGID_Y_EN: 0
; COMPUTE_PGM_RSRC2:TGID_Z_EN: 0
; COMPUTE_PGM_RSRC2:TIDIG_COMP_CNT: 0
	.section	.text._ZN7rocprim6detail31init_lookback_scan_state_kernelINS0_19lookback_scan_stateINS_5tupleIJmbEEELb0ELb0EEEEEvT_jjPNS6_10value_typeE,"axG",@progbits,_ZN7rocprim6detail31init_lookback_scan_state_kernelINS0_19lookback_scan_stateINS_5tupleIJmbEEELb0ELb0EEEEEvT_jjPNS6_10value_typeE,comdat
	.protected	_ZN7rocprim6detail31init_lookback_scan_state_kernelINS0_19lookback_scan_stateINS_5tupleIJmbEEELb0ELb0EEEEEvT_jjPNS6_10value_typeE ; -- Begin function _ZN7rocprim6detail31init_lookback_scan_state_kernelINS0_19lookback_scan_stateINS_5tupleIJmbEEELb0ELb0EEEEEvT_jjPNS6_10value_typeE
	.globl	_ZN7rocprim6detail31init_lookback_scan_state_kernelINS0_19lookback_scan_stateINS_5tupleIJmbEEELb0ELb0EEEEEvT_jjPNS6_10value_typeE
	.p2align	8
	.type	_ZN7rocprim6detail31init_lookback_scan_state_kernelINS0_19lookback_scan_stateINS_5tupleIJmbEEELb0ELb0EEEEEvT_jjPNS6_10value_typeE,@function
_ZN7rocprim6detail31init_lookback_scan_state_kernelINS0_19lookback_scan_stateINS_5tupleIJmbEEELb0ELb0EEEEEvT_jjPNS6_10value_typeE: ; @_ZN7rocprim6detail31init_lookback_scan_state_kernelINS0_19lookback_scan_stateINS_5tupleIJmbEEELb0ELb0EEEEEvT_jjPNS6_10value_typeE
; %bb.0:
	s_load_dword s7, s[4:5], 0x34
	s_load_dwordx2 s[12:13], s[4:5], 0x20
	s_load_dwordx4 s[0:3], s[4:5], 0x10
	s_waitcnt lgkmcnt(0)
	s_and_b32 s7, s7, 0xffff
	s_mul_i32 s6, s6, s7
	s_cmp_eq_u64 s[12:13], 0
	v_add_u32_e32 v0, s6, v0
	s_cbranch_scc1 .LBB64_6
; %bb.1:
	s_cmp_lt_u32 s3, s2
	s_cselect_b32 s6, s3, 0
	s_mov_b32 s15, 0
	v_cmp_eq_u32_e32 vcc, s6, v0
	s_and_saveexec_b64 s[6:7], vcc
	s_cbranch_execz .LBB64_5
; %bb.2:
	s_add_i32 s14, s3, 64
	v_mov_b32_e32 v1, s14
	global_load_ubyte v2, v1, s[0:1] glc
	s_load_dwordx4 s[8:11], s[4:5], 0x0
	v_mov_b32_e32 v1, 0
	s_add_u32 s4, s0, s14
	s_addc_u32 s5, s1, 0
	s_waitcnt vmcnt(0)
	v_cmp_ne_u32_sdwa s[16:17], v2, v1 src0_sel:WORD_0 src1_sel:DWORD
	s_and_b64 vcc, exec, s[16:17]
	v_readfirstlane_b32 s3, v2
	s_cbranch_vccnz .LBB64_4
.LBB64_3:                               ; =>This Inner Loop Header: Depth=1
	global_load_ubyte v2, v1, s[4:5] glc
	s_waitcnt vmcnt(0)
	v_cmp_eq_u32_sdwa s[16:17], v2, v1 src0_sel:WORD_0 src1_sel:DWORD
	s_and_b64 vcc, exec, s[16:17]
	v_readfirstlane_b32 s3, v2
	s_cbranch_vccnz .LBB64_3
.LBB64_4:
	s_and_b32 s3, 0xffff, s3
	s_cmp_eq_u32 s3, 1
	s_waitcnt lgkmcnt(0)
	s_cselect_b32 s3, s9, s11
	s_cselect_b32 s8, s8, s10
	s_lshl_b64 s[4:5], s[14:15], 4
	s_add_u32 s4, s8, s4
	s_addc_u32 s5, s3, s5
	v_mov_b32_e32 v3, 0
	buffer_wbinvl1_vol
	global_load_dwordx2 v[1:2], v3, s[4:5]
	global_load_ubyte v4, v3, s[4:5] offset:8
	s_waitcnt vmcnt(1)
	global_store_dwordx2 v3, v[1:2], s[12:13]
	s_waitcnt vmcnt(1)
	global_store_byte v3, v4, s[12:13] offset:8
.LBB64_5:
	s_or_b64 exec, exec, s[6:7]
.LBB64_6:
	v_cmp_gt_u32_e32 vcc, s2, v0
	s_and_saveexec_b64 s[2:3], vcc
	s_cbranch_execnz .LBB64_9
; %bb.7:
	s_or_b64 exec, exec, s[2:3]
	v_cmp_gt_u32_e32 vcc, 64, v0
	s_and_saveexec_b64 s[2:3], vcc
	s_cbranch_execnz .LBB64_10
.LBB64_8:
	s_endpgm
.LBB64_9:
	v_add_u32_e32 v1, 64, v0
	v_mov_b32_e32 v2, 0
	global_store_byte v1, v2, s[0:1]
	s_or_b64 exec, exec, s[2:3]
	v_cmp_gt_u32_e32 vcc, 64, v0
	s_and_saveexec_b64 s[2:3], vcc
	s_cbranch_execz .LBB64_8
.LBB64_10:
	v_mov_b32_e32 v1, 0xff
	global_store_byte v0, v1, s[0:1]
	s_endpgm
	.section	.rodata,"a",@progbits
	.p2align	6, 0x0
	.amdhsa_kernel _ZN7rocprim6detail31init_lookback_scan_state_kernelINS0_19lookback_scan_stateINS_5tupleIJmbEEELb0ELb0EEEEEvT_jjPNS6_10value_typeE
		.amdhsa_group_segment_fixed_size 0
		.amdhsa_private_segment_fixed_size 0
		.amdhsa_kernarg_size 296
		.amdhsa_user_sgpr_count 6
		.amdhsa_user_sgpr_private_segment_buffer 1
		.amdhsa_user_sgpr_dispatch_ptr 0
		.amdhsa_user_sgpr_queue_ptr 0
		.amdhsa_user_sgpr_kernarg_segment_ptr 1
		.amdhsa_user_sgpr_dispatch_id 0
		.amdhsa_user_sgpr_flat_scratch_init 0
		.amdhsa_user_sgpr_private_segment_size 0
		.amdhsa_uses_dynamic_stack 0
		.amdhsa_system_sgpr_private_segment_wavefront_offset 0
		.amdhsa_system_sgpr_workgroup_id_x 1
		.amdhsa_system_sgpr_workgroup_id_y 0
		.amdhsa_system_sgpr_workgroup_id_z 0
		.amdhsa_system_sgpr_workgroup_info 0
		.amdhsa_system_vgpr_workitem_id 0
		.amdhsa_next_free_vgpr 5
		.amdhsa_next_free_sgpr 18
		.amdhsa_reserve_vcc 1
		.amdhsa_reserve_flat_scratch 0
		.amdhsa_float_round_mode_32 0
		.amdhsa_float_round_mode_16_64 0
		.amdhsa_float_denorm_mode_32 3
		.amdhsa_float_denorm_mode_16_64 3
		.amdhsa_dx10_clamp 1
		.amdhsa_ieee_mode 1
		.amdhsa_fp16_overflow 0
		.amdhsa_exception_fp_ieee_invalid_op 0
		.amdhsa_exception_fp_denorm_src 0
		.amdhsa_exception_fp_ieee_div_zero 0
		.amdhsa_exception_fp_ieee_overflow 0
		.amdhsa_exception_fp_ieee_underflow 0
		.amdhsa_exception_fp_ieee_inexact 0
		.amdhsa_exception_int_div_zero 0
	.end_amdhsa_kernel
	.section	.text._ZN7rocprim6detail31init_lookback_scan_state_kernelINS0_19lookback_scan_stateINS_5tupleIJmbEEELb0ELb0EEEEEvT_jjPNS6_10value_typeE,"axG",@progbits,_ZN7rocprim6detail31init_lookback_scan_state_kernelINS0_19lookback_scan_stateINS_5tupleIJmbEEELb0ELb0EEEEEvT_jjPNS6_10value_typeE,comdat
.Lfunc_end64:
	.size	_ZN7rocprim6detail31init_lookback_scan_state_kernelINS0_19lookback_scan_stateINS_5tupleIJmbEEELb0ELb0EEEEEvT_jjPNS6_10value_typeE, .Lfunc_end64-_ZN7rocprim6detail31init_lookback_scan_state_kernelINS0_19lookback_scan_stateINS_5tupleIJmbEEELb0ELb0EEEEEvT_jjPNS6_10value_typeE
                                        ; -- End function
	.set _ZN7rocprim6detail31init_lookback_scan_state_kernelINS0_19lookback_scan_stateINS_5tupleIJmbEEELb0ELb0EEEEEvT_jjPNS6_10value_typeE.num_vgpr, 5
	.set _ZN7rocprim6detail31init_lookback_scan_state_kernelINS0_19lookback_scan_stateINS_5tupleIJmbEEELb0ELb0EEEEEvT_jjPNS6_10value_typeE.num_agpr, 0
	.set _ZN7rocprim6detail31init_lookback_scan_state_kernelINS0_19lookback_scan_stateINS_5tupleIJmbEEELb0ELb0EEEEEvT_jjPNS6_10value_typeE.numbered_sgpr, 18
	.set _ZN7rocprim6detail31init_lookback_scan_state_kernelINS0_19lookback_scan_stateINS_5tupleIJmbEEELb0ELb0EEEEEvT_jjPNS6_10value_typeE.num_named_barrier, 0
	.set _ZN7rocprim6detail31init_lookback_scan_state_kernelINS0_19lookback_scan_stateINS_5tupleIJmbEEELb0ELb0EEEEEvT_jjPNS6_10value_typeE.private_seg_size, 0
	.set _ZN7rocprim6detail31init_lookback_scan_state_kernelINS0_19lookback_scan_stateINS_5tupleIJmbEEELb0ELb0EEEEEvT_jjPNS6_10value_typeE.uses_vcc, 1
	.set _ZN7rocprim6detail31init_lookback_scan_state_kernelINS0_19lookback_scan_stateINS_5tupleIJmbEEELb0ELb0EEEEEvT_jjPNS6_10value_typeE.uses_flat_scratch, 0
	.set _ZN7rocprim6detail31init_lookback_scan_state_kernelINS0_19lookback_scan_stateINS_5tupleIJmbEEELb0ELb0EEEEEvT_jjPNS6_10value_typeE.has_dyn_sized_stack, 0
	.set _ZN7rocprim6detail31init_lookback_scan_state_kernelINS0_19lookback_scan_stateINS_5tupleIJmbEEELb0ELb0EEEEEvT_jjPNS6_10value_typeE.has_recursion, 0
	.set _ZN7rocprim6detail31init_lookback_scan_state_kernelINS0_19lookback_scan_stateINS_5tupleIJmbEEELb0ELb0EEEEEvT_jjPNS6_10value_typeE.has_indirect_call, 0
	.section	.AMDGPU.csdata,"",@progbits
; Kernel info:
; codeLenInByte = 344
; TotalNumSgprs: 22
; NumVgprs: 5
; ScratchSize: 0
; MemoryBound: 0
; FloatMode: 240
; IeeeMode: 1
; LDSByteSize: 0 bytes/workgroup (compile time only)
; SGPRBlocks: 2
; VGPRBlocks: 1
; NumSGPRsForWavesPerEU: 22
; NumVGPRsForWavesPerEU: 5
; Occupancy: 10
; WaveLimiterHint : 0
; COMPUTE_PGM_RSRC2:SCRATCH_EN: 0
; COMPUTE_PGM_RSRC2:USER_SGPR: 6
; COMPUTE_PGM_RSRC2:TRAP_HANDLER: 0
; COMPUTE_PGM_RSRC2:TGID_X_EN: 1
; COMPUTE_PGM_RSRC2:TGID_Y_EN: 0
; COMPUTE_PGM_RSRC2:TGID_Z_EN: 0
; COMPUTE_PGM_RSRC2:TIDIG_COMP_CNT: 0
	.section	.text._ZN7rocprim6detail25device_scan_by_key_kernelILNS0_25lookback_scan_determinismE0ELb0ENS0_26wrapped_scan_by_key_configINS_14default_configEimEEPiN6hipcub22TransformInputIteratorImNS7_6CastOpImEEPmlEESB_mNS7_8EqualityENS7_3SumENS0_19lookback_scan_stateINS_5tupleIJmbEEELb1ELb0EEEmEEvT2_T3_T4_T5_T6_T7_T8_mmmPKNSG_IJT9_bEEE,"axG",@progbits,_ZN7rocprim6detail25device_scan_by_key_kernelILNS0_25lookback_scan_determinismE0ELb0ENS0_26wrapped_scan_by_key_configINS_14default_configEimEEPiN6hipcub22TransformInputIteratorImNS7_6CastOpImEEPmlEESB_mNS7_8EqualityENS7_3SumENS0_19lookback_scan_stateINS_5tupleIJmbEEELb1ELb0EEEmEEvT2_T3_T4_T5_T6_T7_T8_mmmPKNSG_IJT9_bEEE,comdat
	.protected	_ZN7rocprim6detail25device_scan_by_key_kernelILNS0_25lookback_scan_determinismE0ELb0ENS0_26wrapped_scan_by_key_configINS_14default_configEimEEPiN6hipcub22TransformInputIteratorImNS7_6CastOpImEEPmlEESB_mNS7_8EqualityENS7_3SumENS0_19lookback_scan_stateINS_5tupleIJmbEEELb1ELb0EEEmEEvT2_T3_T4_T5_T6_T7_T8_mmmPKNSG_IJT9_bEEE ; -- Begin function _ZN7rocprim6detail25device_scan_by_key_kernelILNS0_25lookback_scan_determinismE0ELb0ENS0_26wrapped_scan_by_key_configINS_14default_configEimEEPiN6hipcub22TransformInputIteratorImNS7_6CastOpImEEPmlEESB_mNS7_8EqualityENS7_3SumENS0_19lookback_scan_stateINS_5tupleIJmbEEELb1ELb0EEEmEEvT2_T3_T4_T5_T6_T7_T8_mmmPKNSG_IJT9_bEEE
	.globl	_ZN7rocprim6detail25device_scan_by_key_kernelILNS0_25lookback_scan_determinismE0ELb0ENS0_26wrapped_scan_by_key_configINS_14default_configEimEEPiN6hipcub22TransformInputIteratorImNS7_6CastOpImEEPmlEESB_mNS7_8EqualityENS7_3SumENS0_19lookback_scan_stateINS_5tupleIJmbEEELb1ELb0EEEmEEvT2_T3_T4_T5_T6_T7_T8_mmmPKNSG_IJT9_bEEE
	.p2align	8
	.type	_ZN7rocprim6detail25device_scan_by_key_kernelILNS0_25lookback_scan_determinismE0ELb0ENS0_26wrapped_scan_by_key_configINS_14default_configEimEEPiN6hipcub22TransformInputIteratorImNS7_6CastOpImEEPmlEESB_mNS7_8EqualityENS7_3SumENS0_19lookback_scan_stateINS_5tupleIJmbEEELb1ELb0EEEmEEvT2_T3_T4_T5_T6_T7_T8_mmmPKNSG_IJT9_bEEE,@function
_ZN7rocprim6detail25device_scan_by_key_kernelILNS0_25lookback_scan_determinismE0ELb0ENS0_26wrapped_scan_by_key_configINS_14default_configEimEEPiN6hipcub22TransformInputIteratorImNS7_6CastOpImEEPmlEESB_mNS7_8EqualityENS7_3SumENS0_19lookback_scan_stateINS_5tupleIJmbEEELb1ELb0EEEmEEvT2_T3_T4_T5_T6_T7_T8_mmmPKNSG_IJT9_bEEE: ; @_ZN7rocprim6detail25device_scan_by_key_kernelILNS0_25lookback_scan_determinismE0ELb0ENS0_26wrapped_scan_by_key_configINS_14default_configEimEEPiN6hipcub22TransformInputIteratorImNS7_6CastOpImEEPmlEESB_mNS7_8EqualityENS7_3SumENS0_19lookback_scan_stateINS_5tupleIJmbEEELb1ELb0EEEmEEvT2_T3_T4_T5_T6_T7_T8_mmmPKNSG_IJT9_bEEE
; %bb.0:
	s_endpgm
	.section	.rodata,"a",@progbits
	.p2align	6, 0x0
	.amdhsa_kernel _ZN7rocprim6detail25device_scan_by_key_kernelILNS0_25lookback_scan_determinismE0ELb0ENS0_26wrapped_scan_by_key_configINS_14default_configEimEEPiN6hipcub22TransformInputIteratorImNS7_6CastOpImEEPmlEESB_mNS7_8EqualityENS7_3SumENS0_19lookback_scan_stateINS_5tupleIJmbEEELb1ELb0EEEmEEvT2_T3_T4_T5_T6_T7_T8_mmmPKNSG_IJT9_bEEE
		.amdhsa_group_segment_fixed_size 0
		.amdhsa_private_segment_fixed_size 0
		.amdhsa_kernarg_size 104
		.amdhsa_user_sgpr_count 6
		.amdhsa_user_sgpr_private_segment_buffer 1
		.amdhsa_user_sgpr_dispatch_ptr 0
		.amdhsa_user_sgpr_queue_ptr 0
		.amdhsa_user_sgpr_kernarg_segment_ptr 1
		.amdhsa_user_sgpr_dispatch_id 0
		.amdhsa_user_sgpr_flat_scratch_init 0
		.amdhsa_user_sgpr_private_segment_size 0
		.amdhsa_uses_dynamic_stack 0
		.amdhsa_system_sgpr_private_segment_wavefront_offset 0
		.amdhsa_system_sgpr_workgroup_id_x 1
		.amdhsa_system_sgpr_workgroup_id_y 0
		.amdhsa_system_sgpr_workgroup_id_z 0
		.amdhsa_system_sgpr_workgroup_info 0
		.amdhsa_system_vgpr_workitem_id 0
		.amdhsa_next_free_vgpr 1
		.amdhsa_next_free_sgpr 0
		.amdhsa_reserve_vcc 0
		.amdhsa_reserve_flat_scratch 0
		.amdhsa_float_round_mode_32 0
		.amdhsa_float_round_mode_16_64 0
		.amdhsa_float_denorm_mode_32 3
		.amdhsa_float_denorm_mode_16_64 3
		.amdhsa_dx10_clamp 1
		.amdhsa_ieee_mode 1
		.amdhsa_fp16_overflow 0
		.amdhsa_exception_fp_ieee_invalid_op 0
		.amdhsa_exception_fp_denorm_src 0
		.amdhsa_exception_fp_ieee_div_zero 0
		.amdhsa_exception_fp_ieee_overflow 0
		.amdhsa_exception_fp_ieee_underflow 0
		.amdhsa_exception_fp_ieee_inexact 0
		.amdhsa_exception_int_div_zero 0
	.end_amdhsa_kernel
	.section	.text._ZN7rocprim6detail25device_scan_by_key_kernelILNS0_25lookback_scan_determinismE0ELb0ENS0_26wrapped_scan_by_key_configINS_14default_configEimEEPiN6hipcub22TransformInputIteratorImNS7_6CastOpImEEPmlEESB_mNS7_8EqualityENS7_3SumENS0_19lookback_scan_stateINS_5tupleIJmbEEELb1ELb0EEEmEEvT2_T3_T4_T5_T6_T7_T8_mmmPKNSG_IJT9_bEEE,"axG",@progbits,_ZN7rocprim6detail25device_scan_by_key_kernelILNS0_25lookback_scan_determinismE0ELb0ENS0_26wrapped_scan_by_key_configINS_14default_configEimEEPiN6hipcub22TransformInputIteratorImNS7_6CastOpImEEPmlEESB_mNS7_8EqualityENS7_3SumENS0_19lookback_scan_stateINS_5tupleIJmbEEELb1ELb0EEEmEEvT2_T3_T4_T5_T6_T7_T8_mmmPKNSG_IJT9_bEEE,comdat
.Lfunc_end65:
	.size	_ZN7rocprim6detail25device_scan_by_key_kernelILNS0_25lookback_scan_determinismE0ELb0ENS0_26wrapped_scan_by_key_configINS_14default_configEimEEPiN6hipcub22TransformInputIteratorImNS7_6CastOpImEEPmlEESB_mNS7_8EqualityENS7_3SumENS0_19lookback_scan_stateINS_5tupleIJmbEEELb1ELb0EEEmEEvT2_T3_T4_T5_T6_T7_T8_mmmPKNSG_IJT9_bEEE, .Lfunc_end65-_ZN7rocprim6detail25device_scan_by_key_kernelILNS0_25lookback_scan_determinismE0ELb0ENS0_26wrapped_scan_by_key_configINS_14default_configEimEEPiN6hipcub22TransformInputIteratorImNS7_6CastOpImEEPmlEESB_mNS7_8EqualityENS7_3SumENS0_19lookback_scan_stateINS_5tupleIJmbEEELb1ELb0EEEmEEvT2_T3_T4_T5_T6_T7_T8_mmmPKNSG_IJT9_bEEE
                                        ; -- End function
	.set _ZN7rocprim6detail25device_scan_by_key_kernelILNS0_25lookback_scan_determinismE0ELb0ENS0_26wrapped_scan_by_key_configINS_14default_configEimEEPiN6hipcub22TransformInputIteratorImNS7_6CastOpImEEPmlEESB_mNS7_8EqualityENS7_3SumENS0_19lookback_scan_stateINS_5tupleIJmbEEELb1ELb0EEEmEEvT2_T3_T4_T5_T6_T7_T8_mmmPKNSG_IJT9_bEEE.num_vgpr, 0
	.set _ZN7rocprim6detail25device_scan_by_key_kernelILNS0_25lookback_scan_determinismE0ELb0ENS0_26wrapped_scan_by_key_configINS_14default_configEimEEPiN6hipcub22TransformInputIteratorImNS7_6CastOpImEEPmlEESB_mNS7_8EqualityENS7_3SumENS0_19lookback_scan_stateINS_5tupleIJmbEEELb1ELb0EEEmEEvT2_T3_T4_T5_T6_T7_T8_mmmPKNSG_IJT9_bEEE.num_agpr, 0
	.set _ZN7rocprim6detail25device_scan_by_key_kernelILNS0_25lookback_scan_determinismE0ELb0ENS0_26wrapped_scan_by_key_configINS_14default_configEimEEPiN6hipcub22TransformInputIteratorImNS7_6CastOpImEEPmlEESB_mNS7_8EqualityENS7_3SumENS0_19lookback_scan_stateINS_5tupleIJmbEEELb1ELb0EEEmEEvT2_T3_T4_T5_T6_T7_T8_mmmPKNSG_IJT9_bEEE.numbered_sgpr, 0
	.set _ZN7rocprim6detail25device_scan_by_key_kernelILNS0_25lookback_scan_determinismE0ELb0ENS0_26wrapped_scan_by_key_configINS_14default_configEimEEPiN6hipcub22TransformInputIteratorImNS7_6CastOpImEEPmlEESB_mNS7_8EqualityENS7_3SumENS0_19lookback_scan_stateINS_5tupleIJmbEEELb1ELb0EEEmEEvT2_T3_T4_T5_T6_T7_T8_mmmPKNSG_IJT9_bEEE.num_named_barrier, 0
	.set _ZN7rocprim6detail25device_scan_by_key_kernelILNS0_25lookback_scan_determinismE0ELb0ENS0_26wrapped_scan_by_key_configINS_14default_configEimEEPiN6hipcub22TransformInputIteratorImNS7_6CastOpImEEPmlEESB_mNS7_8EqualityENS7_3SumENS0_19lookback_scan_stateINS_5tupleIJmbEEELb1ELb0EEEmEEvT2_T3_T4_T5_T6_T7_T8_mmmPKNSG_IJT9_bEEE.private_seg_size, 0
	.set _ZN7rocprim6detail25device_scan_by_key_kernelILNS0_25lookback_scan_determinismE0ELb0ENS0_26wrapped_scan_by_key_configINS_14default_configEimEEPiN6hipcub22TransformInputIteratorImNS7_6CastOpImEEPmlEESB_mNS7_8EqualityENS7_3SumENS0_19lookback_scan_stateINS_5tupleIJmbEEELb1ELb0EEEmEEvT2_T3_T4_T5_T6_T7_T8_mmmPKNSG_IJT9_bEEE.uses_vcc, 0
	.set _ZN7rocprim6detail25device_scan_by_key_kernelILNS0_25lookback_scan_determinismE0ELb0ENS0_26wrapped_scan_by_key_configINS_14default_configEimEEPiN6hipcub22TransformInputIteratorImNS7_6CastOpImEEPmlEESB_mNS7_8EqualityENS7_3SumENS0_19lookback_scan_stateINS_5tupleIJmbEEELb1ELb0EEEmEEvT2_T3_T4_T5_T6_T7_T8_mmmPKNSG_IJT9_bEEE.uses_flat_scratch, 0
	.set _ZN7rocprim6detail25device_scan_by_key_kernelILNS0_25lookback_scan_determinismE0ELb0ENS0_26wrapped_scan_by_key_configINS_14default_configEimEEPiN6hipcub22TransformInputIteratorImNS7_6CastOpImEEPmlEESB_mNS7_8EqualityENS7_3SumENS0_19lookback_scan_stateINS_5tupleIJmbEEELb1ELb0EEEmEEvT2_T3_T4_T5_T6_T7_T8_mmmPKNSG_IJT9_bEEE.has_dyn_sized_stack, 0
	.set _ZN7rocprim6detail25device_scan_by_key_kernelILNS0_25lookback_scan_determinismE0ELb0ENS0_26wrapped_scan_by_key_configINS_14default_configEimEEPiN6hipcub22TransformInputIteratorImNS7_6CastOpImEEPmlEESB_mNS7_8EqualityENS7_3SumENS0_19lookback_scan_stateINS_5tupleIJmbEEELb1ELb0EEEmEEvT2_T3_T4_T5_T6_T7_T8_mmmPKNSG_IJT9_bEEE.has_recursion, 0
	.set _ZN7rocprim6detail25device_scan_by_key_kernelILNS0_25lookback_scan_determinismE0ELb0ENS0_26wrapped_scan_by_key_configINS_14default_configEimEEPiN6hipcub22TransformInputIteratorImNS7_6CastOpImEEPmlEESB_mNS7_8EqualityENS7_3SumENS0_19lookback_scan_stateINS_5tupleIJmbEEELb1ELb0EEEmEEvT2_T3_T4_T5_T6_T7_T8_mmmPKNSG_IJT9_bEEE.has_indirect_call, 0
	.section	.AMDGPU.csdata,"",@progbits
; Kernel info:
; codeLenInByte = 4
; TotalNumSgprs: 4
; NumVgprs: 0
; ScratchSize: 0
; MemoryBound: 0
; FloatMode: 240
; IeeeMode: 1
; LDSByteSize: 0 bytes/workgroup (compile time only)
; SGPRBlocks: 0
; VGPRBlocks: 0
; NumSGPRsForWavesPerEU: 4
; NumVGPRsForWavesPerEU: 1
; Occupancy: 10
; WaveLimiterHint : 0
; COMPUTE_PGM_RSRC2:SCRATCH_EN: 0
; COMPUTE_PGM_RSRC2:USER_SGPR: 6
; COMPUTE_PGM_RSRC2:TRAP_HANDLER: 0
; COMPUTE_PGM_RSRC2:TGID_X_EN: 1
; COMPUTE_PGM_RSRC2:TGID_Y_EN: 0
; COMPUTE_PGM_RSRC2:TGID_Z_EN: 0
; COMPUTE_PGM_RSRC2:TIDIG_COMP_CNT: 0
	.section	.text._ZN7rocprim6detail25device_scan_by_key_kernelILNS0_25lookback_scan_determinismE0ELb0ENS0_26wrapped_scan_by_key_configINS_14default_configEimEEPiN6hipcub22TransformInputIteratorImNS7_6CastOpImEEPmlEESB_mNS7_8EqualityENS7_3SumENS0_19lookback_scan_stateINS_5tupleIJmbEEELb0ELb0EEEmEEvT2_T3_T4_T5_T6_T7_T8_mmmPKNSG_IJT9_bEEE,"axG",@progbits,_ZN7rocprim6detail25device_scan_by_key_kernelILNS0_25lookback_scan_determinismE0ELb0ENS0_26wrapped_scan_by_key_configINS_14default_configEimEEPiN6hipcub22TransformInputIteratorImNS7_6CastOpImEEPmlEESB_mNS7_8EqualityENS7_3SumENS0_19lookback_scan_stateINS_5tupleIJmbEEELb0ELb0EEEmEEvT2_T3_T4_T5_T6_T7_T8_mmmPKNSG_IJT9_bEEE,comdat
	.protected	_ZN7rocprim6detail25device_scan_by_key_kernelILNS0_25lookback_scan_determinismE0ELb0ENS0_26wrapped_scan_by_key_configINS_14default_configEimEEPiN6hipcub22TransformInputIteratorImNS7_6CastOpImEEPmlEESB_mNS7_8EqualityENS7_3SumENS0_19lookback_scan_stateINS_5tupleIJmbEEELb0ELb0EEEmEEvT2_T3_T4_T5_T6_T7_T8_mmmPKNSG_IJT9_bEEE ; -- Begin function _ZN7rocprim6detail25device_scan_by_key_kernelILNS0_25lookback_scan_determinismE0ELb0ENS0_26wrapped_scan_by_key_configINS_14default_configEimEEPiN6hipcub22TransformInputIteratorImNS7_6CastOpImEEPmlEESB_mNS7_8EqualityENS7_3SumENS0_19lookback_scan_stateINS_5tupleIJmbEEELb0ELb0EEEmEEvT2_T3_T4_T5_T6_T7_T8_mmmPKNSG_IJT9_bEEE
	.globl	_ZN7rocprim6detail25device_scan_by_key_kernelILNS0_25lookback_scan_determinismE0ELb0ENS0_26wrapped_scan_by_key_configINS_14default_configEimEEPiN6hipcub22TransformInputIteratorImNS7_6CastOpImEEPmlEESB_mNS7_8EqualityENS7_3SumENS0_19lookback_scan_stateINS_5tupleIJmbEEELb0ELb0EEEmEEvT2_T3_T4_T5_T6_T7_T8_mmmPKNSG_IJT9_bEEE
	.p2align	8
	.type	_ZN7rocprim6detail25device_scan_by_key_kernelILNS0_25lookback_scan_determinismE0ELb0ENS0_26wrapped_scan_by_key_configINS_14default_configEimEEPiN6hipcub22TransformInputIteratorImNS7_6CastOpImEEPmlEESB_mNS7_8EqualityENS7_3SumENS0_19lookback_scan_stateINS_5tupleIJmbEEELb0ELb0EEEmEEvT2_T3_T4_T5_T6_T7_T8_mmmPKNSG_IJT9_bEEE,@function
_ZN7rocprim6detail25device_scan_by_key_kernelILNS0_25lookback_scan_determinismE0ELb0ENS0_26wrapped_scan_by_key_configINS_14default_configEimEEPiN6hipcub22TransformInputIteratorImNS7_6CastOpImEEPmlEESB_mNS7_8EqualityENS7_3SumENS0_19lookback_scan_stateINS_5tupleIJmbEEELb0ELb0EEEmEEvT2_T3_T4_T5_T6_T7_T8_mmmPKNSG_IJT9_bEEE: ; @_ZN7rocprim6detail25device_scan_by_key_kernelILNS0_25lookback_scan_determinismE0ELb0ENS0_26wrapped_scan_by_key_configINS_14default_configEimEEPiN6hipcub22TransformInputIteratorImNS7_6CastOpImEEPmlEESB_mNS7_8EqualityENS7_3SumENS0_19lookback_scan_stateINS_5tupleIJmbEEELb0ELb0EEEmEEvT2_T3_T4_T5_T6_T7_T8_mmmPKNSG_IJT9_bEEE
; %bb.0:
	s_load_dwordx4 s[0:3], s[4:5], 0x0
	s_load_dwordx8 s[44:51], s[4:5], 0x30
	s_load_dwordx2 s[54:55], s[4:5], 0x60
	s_load_dwordx4 s[40:43], s[4:5], 0x50
	s_mul_i32 s8, s6, 0x3c0
	s_mov_b32 s9, 0
	s_lshl_b64 s[10:11], s[8:9], 2
	s_waitcnt lgkmcnt(0)
	s_add_u32 s56, s0, s10
	s_addc_u32 s57, s1, s11
	s_lshl_b64 s[52:53], s[8:9], 3
	s_add_u32 s38, s2, s52
	s_addc_u32 s39, s3, s53
	s_add_u32 s0, s40, s6
	s_addc_u32 s1, s41, 0
	s_add_u32 s2, s42, -1
	s_addc_u32 s3, s43, -1
	v_mov_b32_e32 v1, s2
	v_mov_b32_e32 v2, s3
	v_cmp_ge_u64_e64 s[0:1], s[0:1], v[1:2]
	s_mov_b64 s[28:29], -1
	s_and_b64 vcc, exec, s[0:1]
	s_mul_i32 s33, s2, 0xfffffc40
	v_lshlrev_b32_e32 v81, 2, v0
	s_cbranch_vccz .LBB66_47
; %bb.1:
	s_load_dword s36, s[56:57], 0x0
	v_mov_b32_e32 v2, s57
	v_add_co_u32_e32 v1, vcc, s56, v81
	s_add_i32 s7, s33, s50
	v_addc_co_u32_e32 v2, vcc, 0, v2, vcc
	v_cmp_gt_u32_e32 vcc, s7, v0
	s_waitcnt lgkmcnt(0)
	v_mov_b32_e32 v3, s36
	s_and_saveexec_b64 s[2:3], vcc
	s_cbranch_execz .LBB66_3
; %bb.2:
	global_load_dword v3, v[1:2], off
.LBB66_3:
	s_or_b64 exec, exec, s[2:3]
	v_or_b32_e32 v4, 64, v0
	v_cmp_gt_u32_e64 s[2:3], s7, v4
	v_mov_b32_e32 v4, s36
	s_and_saveexec_b64 s[8:9], s[2:3]
	s_cbranch_execz .LBB66_5
; %bb.4:
	global_load_dword v4, v[1:2], off offset:256
.LBB66_5:
	s_or_b64 exec, exec, s[8:9]
	v_or_b32_e32 v5, 0x80, v0
	v_cmp_gt_u32_e64 s[8:9], s7, v5
	v_mov_b32_e32 v5, s36
	s_and_saveexec_b64 s[10:11], s[8:9]
	s_cbranch_execz .LBB66_7
; %bb.6:
	global_load_dword v5, v[1:2], off offset:512
.LBB66_7:
	;; [unrolled: 9-line block ×14, first 2 shown]
	s_or_b64 exec, exec, s[36:37]
	s_sub_u32 s36, 0, s6
	s_subb_u32 s37, 0, 0
	s_cmp_eq_u64 s[40:41], s[36:37]
	s_cselect_b32 s36, 0, -4
	s_cselect_b32 s37, 0, -1
	s_add_u32 s36, s56, s36
	v_mad_u32_u24 v1, v0, 56, v81
	s_addc_u32 s37, s57, s37
	s_waitcnt vmcnt(0)
	ds_write2st64_b32 v81, v3, v4 offset1:1
	ds_write2st64_b32 v81, v5, v6 offset0:2 offset1:3
	ds_write2st64_b32 v81, v7, v8 offset0:4 offset1:5
	;; [unrolled: 1-line block ×6, first 2 shown]
	ds_write_b32 v81, v17 offset:3584
	s_waitcnt lgkmcnt(0)
	; wave barrier
	ds_read2_b32 v[63:64], v1 offset0:4 offset1:7
	ds_read2_b32 v[57:58], v1 offset0:13 offset1:14
	s_load_dword s42, s[36:37], 0x0
	ds_read2_b32 v[69:70], v1 offset1:1
	ds_read2_b32 v[67:68], v1 offset0:2 offset1:3
	ds_read2_b32 v[65:66], v1 offset0:5 offset1:6
	;; [unrolled: 1-line block ×3, first 2 shown]
	ds_read_b32 v97, v1 offset:40
	ds_read2_b32 v[59:60], v1 offset0:11 offset1:12
	s_movk_i32 s36, 0xffc8
	v_mad_i32_i24 v33, v0, s36, v1
	v_cmp_ne_u32_e64 s[36:37], 0, v0
	s_waitcnt lgkmcnt(0)
	v_mov_b32_e32 v101, s42
	ds_write_b32 v33, v58 offset:3840
	s_waitcnt lgkmcnt(0)
	; wave barrier
	s_and_saveexec_b64 s[42:43], s[36:37]
; %bb.32:
	ds_read_b32 v101, v33 offset:3836
; %bb.33:
	s_or_b64 exec, exec, s[42:43]
	v_lshlrev_b32_e32 v1, 3, v0
	v_mov_b32_e32 v2, s39
	v_add_co_u32_e64 v3, s[36:37], s38, v1
	v_addc_co_u32_e64 v4, s[36:37], 0, v2, s[36:37]
	s_waitcnt lgkmcnt(0)
	; wave barrier
                                        ; implicit-def: $vgpr1_vgpr2
	s_and_saveexec_b64 s[36:37], vcc
	s_cbranch_execz .LBB66_48
; %bb.34:
	global_load_dwordx2 v[1:2], v[3:4], off
	s_or_b64 exec, exec, s[36:37]
                                        ; implicit-def: $vgpr5_vgpr6
	s_and_saveexec_b64 s[36:37], s[2:3]
	s_cbranch_execnz .LBB66_49
.LBB66_35:
	s_or_b64 exec, exec, s[36:37]
                                        ; implicit-def: $vgpr7_vgpr8
	s_and_saveexec_b64 s[2:3], s[8:9]
	s_cbranch_execz .LBB66_50
.LBB66_36:
	global_load_dwordx2 v[7:8], v[3:4], off offset:1024
	s_or_b64 exec, exec, s[2:3]
                                        ; implicit-def: $vgpr9_vgpr10
	s_and_saveexec_b64 s[2:3], s[10:11]
	s_cbranch_execnz .LBB66_51
.LBB66_37:
	s_or_b64 exec, exec, s[2:3]
                                        ; implicit-def: $vgpr11_vgpr12
	s_and_saveexec_b64 s[2:3], s[14:15]
	s_cbranch_execz .LBB66_52
.LBB66_38:
	global_load_dwordx2 v[11:12], v[3:4], off offset:2048
	s_or_b64 exec, exec, s[2:3]
                                        ; implicit-def: $vgpr13_vgpr14
	s_and_saveexec_b64 s[2:3], s[18:19]
	s_cbranch_execnz .LBB66_53
.LBB66_39:
	s_or_b64 exec, exec, s[2:3]
                                        ; implicit-def: $vgpr15_vgpr16
	s_and_saveexec_b64 s[2:3], s[22:23]
	s_cbranch_execz .LBB66_54
.LBB66_40:
	global_load_dwordx2 v[15:16], v[3:4], off offset:3072
	s_or_b64 exec, exec, s[2:3]
                                        ; implicit-def: $vgpr17_vgpr18
	s_and_saveexec_b64 s[2:3], s[26:27]
	s_cbranch_execnz .LBB66_55
.LBB66_41:
	s_or_b64 exec, exec, s[2:3]
                                        ; implicit-def: $vgpr19_vgpr20
	s_and_saveexec_b64 s[2:3], s[30:31]
	s_cbranch_execz .LBB66_56
.LBB66_42:
	v_add_co_u32_e32 v19, vcc, 0x1000, v3
	v_addc_co_u32_e32 v20, vcc, 0, v4, vcc
	global_load_dwordx2 v[19:20], v[19:20], off
	s_or_b64 exec, exec, s[2:3]
                                        ; implicit-def: $vgpr21_vgpr22
	s_and_saveexec_b64 s[2:3], s[28:29]
	s_cbranch_execnz .LBB66_57
.LBB66_43:
	s_or_b64 exec, exec, s[2:3]
                                        ; implicit-def: $vgpr23_vgpr24
	s_and_saveexec_b64 s[2:3], s[24:25]
	s_cbranch_execz .LBB66_58
.LBB66_44:
	v_add_co_u32_e32 v23, vcc, 0x1000, v3
	v_addc_co_u32_e32 v24, vcc, 0, v4, vcc
	global_load_dwordx2 v[23:24], v[23:24], off offset:1024
	s_or_b64 exec, exec, s[2:3]
                                        ; implicit-def: $vgpr25_vgpr26
	s_and_saveexec_b64 s[2:3], s[20:21]
	s_cbranch_execnz .LBB66_59
.LBB66_45:
	s_or_b64 exec, exec, s[2:3]
                                        ; implicit-def: $vgpr27_vgpr28
	s_and_saveexec_b64 s[2:3], s[16:17]
	s_cbranch_execz .LBB66_60
.LBB66_46:
	v_add_co_u32_e32 v27, vcc, 0x1000, v3
	v_addc_co_u32_e32 v28, vcc, 0, v4, vcc
	global_load_dwordx2 v[27:28], v[27:28], off offset:2048
	s_or_b64 exec, exec, s[2:3]
                                        ; implicit-def: $vgpr29_vgpr30
	s_and_saveexec_b64 s[2:3], s[12:13]
	s_cbranch_execz .LBB66_62
	s_branch .LBB66_61
.LBB66_47:
	s_mov_b64 s[8:9], 0
                                        ; implicit-def: $sgpr26_sgpr27
                                        ; implicit-def: $vgpr87
                                        ; implicit-def: $vgpr88
                                        ; implicit-def: $vgpr93
                                        ; implicit-def: $vgpr86
                                        ; implicit-def: $vgpr35_vgpr36
                                        ; implicit-def: $vgpr1_vgpr2
                                        ; implicit-def: $vgpr5_vgpr6
                                        ; implicit-def: $vgpr89
                                        ; implicit-def: $vgpr33_vgpr34
                                        ; implicit-def: $vgpr90
                                        ; implicit-def: $vgpr39_vgpr40
                                        ; implicit-def: $vgpr91
                                        ; implicit-def: $vgpr92
                                        ; implicit-def: $vgpr43_vgpr44
                                        ; implicit-def: $vgpr94
                                        ; implicit-def: $vgpr47_vgpr48
                                        ; implicit-def: $vgpr95
                                        ; implicit-def: $vgpr51_vgpr52
                                        ; implicit-def: $vgpr96
                                        ; implicit-def: $vgpr98
                                        ; implicit-def: $vgpr100
                                        ; implicit-def: $vgpr72
                                        ; implicit-def: $vgpr73
                                        ; implicit-def: $vgpr79
                                        ; implicit-def: $vgpr75
                                        ; implicit-def: $vgpr71
                                        ; implicit-def: $vgpr53_vgpr54
                                        ; implicit-def: $vgpr74
                                        ; implicit-def: $vgpr29_vgpr30
                                        ; implicit-def: $vgpr76
                                        ; implicit-def: $vgpr55_vgpr56
                                        ; implicit-def: $vgpr25_vgpr26
                                        ; implicit-def: $vgpr77
                                        ; implicit-def: $vgpr27_vgpr28
                                        ; implicit-def: $vgpr78
                                        ; implicit-def: $vgpr21_vgpr22
                                        ; implicit-def: $vgpr23_vgpr24
                                        ; implicit-def: $vgpr80
                                        ; implicit-def: $vgpr17_vgpr18
                                        ; implicit-def: $vgpr82
                                        ; implicit-def: $vgpr19_vgpr20
                                        ; implicit-def: $vgpr13_vgpr14
                                        ; implicit-def: $vgpr84
                                        ; implicit-def: $vgpr15_vgpr16
                                        ; implicit-def: $vgpr85
                                        ; implicit-def: $vgpr9_vgpr10
                                        ; implicit-def: $vgpr83
	s_and_b64 vcc, exec, s[28:29]
	v_cmp_ne_u32_e64 s[2:3], 0, v0
	s_cbranch_vccz .LBB66_96
	s_branch .LBB66_93
.LBB66_48:
	s_or_b64 exec, exec, s[36:37]
                                        ; implicit-def: $vgpr5_vgpr6
	s_and_saveexec_b64 s[36:37], s[2:3]
	s_cbranch_execz .LBB66_35
.LBB66_49:
	global_load_dwordx2 v[5:6], v[3:4], off offset:512
	s_or_b64 exec, exec, s[36:37]
                                        ; implicit-def: $vgpr7_vgpr8
	s_and_saveexec_b64 s[2:3], s[8:9]
	s_cbranch_execnz .LBB66_36
.LBB66_50:
	s_or_b64 exec, exec, s[2:3]
                                        ; implicit-def: $vgpr9_vgpr10
	s_and_saveexec_b64 s[2:3], s[10:11]
	s_cbranch_execz .LBB66_37
.LBB66_51:
	global_load_dwordx2 v[9:10], v[3:4], off offset:1536
	s_or_b64 exec, exec, s[2:3]
                                        ; implicit-def: $vgpr11_vgpr12
	s_and_saveexec_b64 s[2:3], s[14:15]
	s_cbranch_execnz .LBB66_38
.LBB66_52:
	s_or_b64 exec, exec, s[2:3]
                                        ; implicit-def: $vgpr13_vgpr14
	s_and_saveexec_b64 s[2:3], s[18:19]
	s_cbranch_execz .LBB66_39
.LBB66_53:
	global_load_dwordx2 v[13:14], v[3:4], off offset:2560
	s_or_b64 exec, exec, s[2:3]
                                        ; implicit-def: $vgpr15_vgpr16
	s_and_saveexec_b64 s[2:3], s[22:23]
	s_cbranch_execnz .LBB66_40
.LBB66_54:
	s_or_b64 exec, exec, s[2:3]
                                        ; implicit-def: $vgpr17_vgpr18
	s_and_saveexec_b64 s[2:3], s[26:27]
	s_cbranch_execz .LBB66_41
.LBB66_55:
	global_load_dwordx2 v[17:18], v[3:4], off offset:3584
	s_or_b64 exec, exec, s[2:3]
                                        ; implicit-def: $vgpr19_vgpr20
	s_and_saveexec_b64 s[2:3], s[30:31]
	s_cbranch_execnz .LBB66_42
.LBB66_56:
	s_or_b64 exec, exec, s[2:3]
                                        ; implicit-def: $vgpr21_vgpr22
	s_and_saveexec_b64 s[2:3], s[28:29]
	s_cbranch_execz .LBB66_43
.LBB66_57:
	v_add_co_u32_e32 v21, vcc, 0x1000, v3
	v_addc_co_u32_e32 v22, vcc, 0, v4, vcc
	global_load_dwordx2 v[21:22], v[21:22], off offset:512
	s_or_b64 exec, exec, s[2:3]
                                        ; implicit-def: $vgpr23_vgpr24
	s_and_saveexec_b64 s[2:3], s[24:25]
	s_cbranch_execnz .LBB66_44
.LBB66_58:
	s_or_b64 exec, exec, s[2:3]
                                        ; implicit-def: $vgpr25_vgpr26
	s_and_saveexec_b64 s[2:3], s[20:21]
	s_cbranch_execz .LBB66_45
.LBB66_59:
	v_add_co_u32_e32 v25, vcc, 0x1000, v3
	v_addc_co_u32_e32 v26, vcc, 0, v4, vcc
	global_load_dwordx2 v[25:26], v[25:26], off offset:1536
	s_or_b64 exec, exec, s[2:3]
                                        ; implicit-def: $vgpr27_vgpr28
	s_and_saveexec_b64 s[2:3], s[16:17]
	s_cbranch_execnz .LBB66_46
.LBB66_60:
	s_or_b64 exec, exec, s[2:3]
                                        ; implicit-def: $vgpr29_vgpr30
	s_and_saveexec_b64 s[2:3], s[12:13]
	s_cbranch_execz .LBB66_62
.LBB66_61:
	v_add_co_u32_e32 v29, vcc, 0x1000, v3
	v_addc_co_u32_e32 v30, vcc, 0, v4, vcc
	global_load_dwordx2 v[29:30], v[29:30], off offset:2560
.LBB66_62:
	s_or_b64 exec, exec, s[2:3]
	v_mul_u32_u24_e32 v99, 15, v0
                                        ; implicit-def: $vgpr31_vgpr32
	s_and_saveexec_b64 s[2:3], s[34:35]
	s_cbranch_execz .LBB66_64
; %bb.63:
	v_add_co_u32_e32 v3, vcc, 0x1000, v3
	v_addc_co_u32_e32 v4, vcc, 0, v4, vcc
	global_load_dwordx2 v[31:32], v[3:4], off offset:3072
.LBB66_64:
	s_or_b64 exec, exec, s[2:3]
	v_lshl_add_u32 v102, v0, 2, v33
	s_waitcnt vmcnt(0)
	ds_write2st64_b64 v102, v[1:2], v[5:6] offset1:1
	ds_write2st64_b64 v102, v[7:8], v[9:10] offset0:2 offset1:3
	ds_write2st64_b64 v102, v[11:12], v[13:14] offset0:4 offset1:5
	;; [unrolled: 1-line block ×6, first 2 shown]
	ds_write_b64 v102, v[31:32] offset:7168
	v_mov_b32_e32 v1, 0
	v_mov_b32_e32 v5, 0
	;; [unrolled: 1-line block ×26, first 2 shown]
	v_cmp_gt_u32_e32 vcc, s7, v99
	v_mov_b32_e32 v87, 0
	s_mov_b64 s[28:29], 0
	v_mov_b32_e32 v2, 0
	s_mov_b64 s[8:9], 0
	v_mov_b32_e32 v88, 0
	v_mov_b32_e32 v93, 0
	;; [unrolled: 1-line block ×51, first 2 shown]
	s_waitcnt lgkmcnt(0)
	; wave barrier
                                        ; implicit-def: $sgpr26_sgpr27
                                        ; implicit-def: $vgpr35_vgpr36
	s_and_saveexec_b64 s[30:31], vcc
	s_cbranch_execz .LBB66_92
; %bb.65:
	s_movk_i32 s2, 0x70
	v_mad_u32_u24 v1, v0, s2, v102
	ds_read_b64 v[1:2], v1
	v_add_u32_e32 v3, 1, v99
	v_cmp_gt_u32_e64 s[2:3], s7, v3
	v_mov_b32_e32 v5, 0
	v_mov_b32_e32 v33, 0
	;; [unrolled: 1-line block ×25, first 2 shown]
	v_cmp_ne_u32_e32 vcc, v101, v69
	v_mov_b32_e32 v87, 0
	v_mov_b32_e32 v6, 0
	;; [unrolled: 1-line block ×50, first 2 shown]
                                        ; implicit-def: $sgpr26_sgpr27
                                        ; implicit-def: $vgpr35_vgpr36
	s_and_saveexec_b64 s[34:35], s[2:3]
	s_cbranch_execz .LBB66_91
; %bb.66:
	v_mul_u32_u24_e32 v3, 0x70, v0
	v_add_u32_e32 v4, v102, v3
	ds_read2_b64 v[9:12], v4 offset0:1 offset1:2
	v_add_u32_e32 v3, 2, v99
	v_mov_b32_e32 v5, 0
	v_mov_b32_e32 v33, 0
	;; [unrolled: 1-line block ×23, first 2 shown]
	v_cmp_ne_u32_e64 s[2:3], v69, v70
	v_cmp_gt_u32_e64 s[8:9], s7, v3
	v_mov_b32_e32 v87, 0
	s_mov_b64 s[10:11], 0
	v_mov_b32_e32 v6, 0
	v_mov_b32_e32 v88, 0
	v_mov_b32_e32 v93, 0
	v_mov_b32_e32 v86, 0
	v_mov_b32_e32 v89, 0
	v_mov_b32_e32 v34, 0
	v_mov_b32_e32 v90, 0
	v_mov_b32_e32 v32, 0
	v_mov_b32_e32 v40, 0
	v_mov_b32_e32 v91, 0
	v_mov_b32_e32 v38, 0
	v_mov_b32_e32 v92, 0
	v_mov_b32_e32 v44, 0
	v_mov_b32_e32 v42, 0
	v_mov_b32_e32 v94, 0
	v_mov_b32_e32 v48, 0
	v_mov_b32_e32 v95, 0
	v_mov_b32_e32 v46, 0
	v_mov_b32_e32 v52, 0
	v_mov_b32_e32 v96, 0
	v_mov_b32_e32 v50, 0
	v_mov_b32_e32 v72, 0
	v_mov_b32_e32 v73, 0
	v_mov_b32_e32 v79, 0
	v_mov_b32_e32 v75, 0
	v_mov_b32_e32 v71, 0
	v_mov_b32_e32 v8, 0
	v_mov_b32_e32 v54, 0
	v_mov_b32_e32 v74, 0
	v_mov_b32_e32 v30, 0
	v_mov_b32_e32 v76, 0
	v_mov_b32_e32 v56, 0
	v_mov_b32_e32 v26, 0
	v_mov_b32_e32 v77, 0
	v_mov_b32_e32 v28, 0
	v_mov_b32_e32 v78, 0
	v_mov_b32_e32 v22, 0
	v_mov_b32_e32 v24, 0
	v_mov_b32_e32 v80, 0
	v_mov_b32_e32 v18, 0
	v_mov_b32_e32 v82, 0
	v_mov_b32_e32 v20, 0
	v_mov_b32_e32 v14, 0
	v_mov_b32_e32 v16, 0
	v_mov_b32_e32 v84, 0
                                        ; implicit-def: $sgpr26_sgpr27
                                        ; implicit-def: $vgpr35_vgpr36
	s_and_saveexec_b64 s[36:37], s[8:9]
	s_cbranch_execz .LBB66_90
; %bb.67:
	v_add_u32_e32 v3, 3, v99
	v_mov_b32_e32 v5, 0
	v_mov_b32_e32 v33, 0
	;; [unrolled: 1-line block ×21, first 2 shown]
	v_cmp_ne_u32_e64 s[22:23], v70, v67
	v_cmp_gt_u32_e64 s[8:9], s7, v3
	v_mov_b32_e32 v87, 0
	v_mov_b32_e32 v6, 0
	;; [unrolled: 1-line block ×42, first 2 shown]
                                        ; implicit-def: $sgpr26_sgpr27
                                        ; implicit-def: $vgpr35_vgpr36
	s_and_saveexec_b64 s[42:43], s[8:9]
	s_cbranch_execz .LBB66_89
; %bb.68:
	v_cmp_ne_u32_e64 s[8:9], v67, v68
	v_cndmask_b32_e64 v3, 0, 1, s[8:9]
	v_cmp_ne_u32_e64 s[8:9], v65, v66
	ds_read2_b64 v[13:16], v4 offset0:3 offset1:4
	v_lshlrev_b16_e32 v3, 8, v3
	v_cndmask_b32_e64 v5, 0, 1, s[8:9]
	v_or_b32_e32 v3, v5, v3
	v_lshlrev_b32_e32 v49, 16, v3
	v_add_u32_e32 v5, 4, v99
	v_lshrrev_b32_e32 v86, 24, v49
	v_cmp_gt_u32_e64 s[8:9], s7, v5
	v_mov_b32_e32 v5, 0
	v_mov_b32_e32 v33, 0
	;; [unrolled: 1-line block ×19, first 2 shown]
	v_cmp_ne_u32_e64 s[14:15], v59, v60
	v_cmp_ne_u32_e64 s[18:19], v61, v62
	v_mov_b32_e32 v87, 0
	v_mov_b32_e32 v6, 0
	v_mov_b32_e32 v88, 0
	v_mov_b32_e32 v93, 0
	v_mov_b32_e32 v89, 0
	v_mov_b32_e32 v34, 0
	v_mov_b32_e32 v90, 0
	v_mov_b32_e32 v32, 0
	v_mov_b32_e32 v40, 0
	v_mov_b32_e32 v91, 0
	v_mov_b32_e32 v38, 0
	v_mov_b32_e32 v92, 0
	v_mov_b32_e32 v44, 0
	v_mov_b32_e32 v42, 0
	v_mov_b32_e32 v94, 0
	v_mov_b32_e32 v48, 0
	v_mov_b32_e32 v95, 0
	v_mov_b32_e32 v46, 0
	v_mov_b32_e32 v72, 0
	v_mov_b32_e32 v73, 0
	v_mov_b32_e32 v79, 0
	v_mov_b32_e32 v75, v86
	v_mov_b32_e32 v71, 0
	v_mov_b32_e32 v8, 0
	v_mov_b32_e32 v54, 0
	v_mov_b32_e32 v74, 0
	v_mov_b32_e32 v30, 0
	v_mov_b32_e32 v76, 0
	v_mov_b32_e32 v56, 0
	v_mov_b32_e32 v26, 0
	v_mov_b32_e32 v77, 0
	v_mov_b32_e32 v28, 0
	v_mov_b32_e32 v78, 0
	v_mov_b32_e32 v22, 0
	v_mov_b32_e32 v24, 0
	v_mov_b32_e32 v80, 0
	v_mov_b32_e32 v18, 0
	v_mov_b32_e32 v20, 0
	v_mov_b32_e32 v82, 0
                                        ; implicit-def: $sgpr26_sgpr27
                                        ; implicit-def: $vgpr35_vgpr36
	s_and_saveexec_b64 s[58:59], s[8:9]
	s_cbranch_execz .LBB66_88
; %bb.69:
	v_add_u32_e32 v5, 5, v99
	v_cmp_gt_u32_e64 s[10:11], s7, v5
	v_mov_b32_e32 v5, 0
	v_mov_b32_e32 v33, 0
	;; [unrolled: 1-line block ×17, first 2 shown]
	v_cmp_ne_u32_e64 s[8:9], v68, v63
	s_mov_b64 s[12:13], 0
	v_mov_b32_e32 v89, 0
	v_mov_b32_e32 v6, 0
	;; [unrolled: 1-line block ×34, first 2 shown]
                                        ; implicit-def: $sgpr26_sgpr27
                                        ; implicit-def: $vgpr35_vgpr36
	s_and_saveexec_b64 s[60:61], s[10:11]
	s_cbranch_execz .LBB66_87
; %bb.70:
	ds_read2_b64 v[17:20], v4 offset0:5 offset1:6
	v_add_u32_e32 v5, 6, v99
	v_cmp_gt_u32_e64 s[12:13], s7, v5
	v_mov_b32_e32 v5, 0
	v_mov_b32_e32 v33, 0
	;; [unrolled: 1-line block ×15, first 2 shown]
	v_cmp_ne_u32_e64 s[10:11], v63, v65
	s_mov_b64 s[16:17], 0
	v_mov_b32_e32 v89, 0
	v_mov_b32_e32 v6, 0
	v_mov_b32_e32 v88, 0
	v_mov_b32_e32 v93, 0
	v_mov_b32_e32 v34, 0
	v_mov_b32_e32 v90, 0
	v_mov_b32_e32 v32, 0
	v_mov_b32_e32 v40, 0
	v_mov_b32_e32 v91, 0
	v_mov_b32_e32 v38, 0
	v_mov_b32_e32 v92, 0
	v_mov_b32_e32 v44, 0
	v_mov_b32_e32 v42, 0
	v_mov_b32_e32 v72, 0
	v_mov_b32_e32 v73, 0
	v_mov_b32_e32 v79, 0
	v_mov_b32_e32 v75, v86
	v_mov_b32_e32 v71, 0
	v_mov_b32_e32 v8, 0
	v_mov_b32_e32 v54, 0
	v_mov_b32_e32 v74, 0
	v_mov_b32_e32 v30, 0
	v_mov_b32_e32 v76, 0
	v_mov_b32_e32 v56, 0
	v_mov_b32_e32 v26, 0
	v_mov_b32_e32 v77, 0
	v_mov_b32_e32 v28, 0
	v_mov_b32_e32 v22, 0
	v_mov_b32_e32 v24, 0
	v_mov_b32_e32 v78, 0
                                        ; implicit-def: $sgpr26_sgpr27
                                        ; implicit-def: $vgpr35_vgpr36
	s_and_saveexec_b64 s[62:63], s[12:13]
	s_cbranch_execz .LBB66_86
; %bb.71:
	v_add_u32_e32 v5, 7, v99
	v_cmp_gt_u32_e64 s[12:13], s7, v5
	v_mov_b32_e32 v5, 0
	v_mov_b32_e32 v33, 0
	;; [unrolled: 1-line block ×40, first 2 shown]
                                        ; implicit-def: $sgpr26_sgpr27
                                        ; implicit-def: $vgpr35_vgpr36
	s_and_saveexec_b64 s[64:65], s[12:13]
	s_cbranch_execz .LBB66_85
; %bb.72:
	ds_read2_b64 v[21:24], v4 offset0:7 offset1:8
	v_add_u32_e32 v5, 8, v99
	v_cmp_gt_u32_e64 s[16:17], s7, v5
	v_mov_b32_e32 v5, 0
	v_mov_b32_e32 v33, 0
	;; [unrolled: 1-line block ×11, first 2 shown]
	v_cmp_ne_u32_e64 s[12:13], v66, v64
	s_mov_b64 s[20:21], 0
	v_mov_b32_e32 v89, 0
	v_mov_b32_e32 v6, 0
	;; [unrolled: 1-line block ×22, first 2 shown]
                                        ; implicit-def: $sgpr26_sgpr27
                                        ; implicit-def: $vgpr35_vgpr36
	s_and_saveexec_b64 s[66:67], s[16:17]
	s_cbranch_execz .LBB66_84
; %bb.73:
	v_add_u32_e32 v5, 9, v99
	v_cmp_gt_u32_e64 s[20:21], s7, v5
	v_mov_b32_e32 v5, 0
	v_mov_b32_e32 v33, 0
	v_mov_b32_e32 v31, 0
	v_mov_b32_e32 v39, 0
	v_mov_b32_e32 v7, 0
	v_mov_b32_e32 v53, 0
	v_mov_b32_e32 v29, 0
	v_mov_b32_e32 v55, 0
	v_mov_b32_e32 v25, 0
	v_cmp_ne_u32_e64 s[16:17], v64, v61
	s_mov_b64 s[24:25], 0
	v_mov_b32_e32 v89, 0
	v_mov_b32_e32 v6, 0
	;; [unrolled: 1-line block ×18, first 2 shown]
                                        ; implicit-def: $sgpr26_sgpr27
                                        ; implicit-def: $vgpr35_vgpr36
	s_and_saveexec_b64 s[68:69], s[20:21]
	s_cbranch_execz .LBB66_83
; %bb.74:
	v_cndmask_b32_e64 v5, 0, 1, s[18:19]
	v_lshlrev_b16_e32 v37, 8, v5
	ds_read2_b64 v[25:28], v4 offset0:9 offset1:10
	v_or_b32_e32 v5, v37, v49
	v_lshrrev_b32_e32 v88, 8, v5
	v_add_u32_e32 v5, 10, v99
	v_cmp_gt_u32_e64 s[18:19], s7, v5
	v_mov_b32_e32 v5, 0
	v_mov_b32_e32 v33, 0
	;; [unrolled: 1-line block ×8, first 2 shown]
	s_mov_b64 s[20:21], 0
	v_mov_b32_e32 v6, 0
	v_mov_b32_e32 v89, 0
	v_mov_b32_e32 v34, 0
	v_mov_b32_e32 v90, 0
	v_mov_b32_e32 v32, 0
	v_mov_b32_e32 v72, 0
	v_mov_b32_e32 v73, v88
	v_mov_b32_e32 v75, v86
	v_mov_b32_e32 v71, 0
	v_mov_b32_e32 v8, 0
	v_mov_b32_e32 v54, 0
	v_mov_b32_e32 v74, 0
	v_mov_b32_e32 v30, 0
	v_mov_b32_e32 v56, 0
	v_mov_b32_e32 v76, 0
                                        ; implicit-def: $sgpr26_sgpr27
                                        ; implicit-def: $vgpr35_vgpr36
	s_and_saveexec_b64 s[70:71], s[18:19]
	s_cbranch_execz .LBB66_82
; %bb.75:
	v_add_u32_e32 v5, 11, v99
	v_cmp_gt_u32_e64 s[20:21], s7, v5
	v_mov_b32_e32 v5, 0
	v_mov_b32_e32 v33, 0
	;; [unrolled: 1-line block ×5, first 2 shown]
	v_cmp_ne_u32_e64 s[18:19], v62, v97
	v_mov_b32_e32 v89, 0
	v_mov_b32_e32 v6, 0
	;; [unrolled: 1-line block ×8, first 2 shown]
                                        ; implicit-def: $sgpr26_sgpr27
                                        ; implicit-def: $vgpr35_vgpr36
	s_and_saveexec_b64 s[72:73], s[20:21]
	s_cbranch_execz .LBB66_81
; %bb.76:
	ds_read2_b64 v[29:32], v4 offset0:11 offset1:12
	v_add_u32_e32 v5, 12, v99
	v_cmp_gt_u32_e64 s[24:25], s7, v5
	v_mov_b32_e32 v5, 0
	v_mov_b32_e32 v7, 0
	;; [unrolled: 1-line block ×3, first 2 shown]
	v_cmp_ne_u32_e64 s[20:21], v97, v59
	s_mov_b64 s[76:77], 0
	v_mov_b32_e32 v6, 0
	v_mov_b32_e32 v8, 0
	;; [unrolled: 1-line block ×4, first 2 shown]
                                        ; implicit-def: $sgpr26_sgpr27
                                        ; implicit-def: $vgpr35_vgpr36
	s_and_saveexec_b64 s[74:75], s[24:25]
	s_cbranch_execz .LBB66_80
; %bb.77:
	v_add_u32_e32 v6, 13, v99
	v_mov_b32_e32 v7, 0
	v_cndmask_b32_e64 v5, 0, 1, s[14:15]
	v_cmp_gt_u32_e64 s[14:15], s7, v6
	s_mov_b64 s[24:25], 0
	v_mov_b32_e32 v8, 0
	v_mov_b32_e32 v71, 0
                                        ; implicit-def: $sgpr26_sgpr27
                                        ; implicit-def: $vgpr35_vgpr36
	s_and_saveexec_b64 s[76:77], s[14:15]
	s_xor_b64 s[76:77], exec, s[76:77]
	s_cbranch_execz .LBB66_79
; %bb.78:
	ds_read2_b64 v[33:36], v4 offset0:13 offset1:14
	v_cmp_ne_u32_e64 s[14:15], v60, v57
	v_add_u32_e32 v4, 14, v99
	v_cndmask_b32_e64 v71, 0, 1, s[14:15]
	v_cmp_gt_u32_e64 s[14:15], s7, v4
	s_waitcnt lgkmcnt(0)
	v_mov_b32_e32 v7, v33
	v_cmp_ne_u32_e64 s[26:27], v57, v58
	s_and_b64 s[24:25], s[14:15], exec
	v_mov_b32_e32 v8, v34
.LBB66_79:
	s_or_b64 exec, exec, s[76:77]
	v_or_b32_e32 v87, v5, v37
	s_waitcnt lgkmcnt(0)
	v_mov_b32_e32 v5, v31
	v_mov_b32_e32 v54, v32
	s_and_b64 s[76:77], s[24:25], exec
	v_mov_b32_e32 v6, v32
	v_mov_b32_e32 v53, v31
.LBB66_80:
	s_or_b64 exec, exec, s[74:75]
	s_waitcnt lgkmcnt(0)
	v_mov_b32_e32 v34, v30
	v_cndmask_b32_e64 v89, 0, 1, s[20:21]
	s_and_b64 s[24:25], s[76:77], exec
	v_mov_b32_e32 v33, v29
	v_mov_b32_e32 v72, v87
.LBB66_81:
	s_or_b64 exec, exec, s[72:73]
	v_cndmask_b32_e64 v90, 0, 1, s[18:19]
	s_waitcnt lgkmcnt(0)
	v_mov_b32_e32 v32, v28
	v_mov_b32_e32 v56, v28
	s_and_b64 s[20:21], s[24:25], exec
	v_mov_b32_e32 v31, v27
	v_mov_b32_e32 v73, v88
	;; [unrolled: 1-line block ×6, first 2 shown]
.LBB66_82:
	s_or_b64 exec, exec, s[70:71]
	s_waitcnt lgkmcnt(0)
	v_mov_b32_e32 v40, v26
	s_and_b64 s[24:25], s[20:21], exec
	v_mov_b32_e32 v39, v25
.LBB66_83:
	s_or_b64 exec, exec, s[68:69]
	v_cndmask_b32_e64 v91, 0, 1, s[16:17]
	s_waitcnt lgkmcnt(0)
	v_mov_b32_e32 v38, v24
	v_mov_b32_e32 v28, v24
	s_and_b64 s[20:21], s[24:25], exec
	v_mov_b32_e32 v37, v23
	v_mov_b32_e32 v77, v91
	;; [unrolled: 1-line block ×3, first 2 shown]
.LBB66_84:
	s_or_b64 exec, exec, s[66:67]
	v_cndmask_b32_e64 v92, 0, 1, s[12:13]
	s_waitcnt lgkmcnt(0)
	v_mov_b32_e32 v44, v22
	s_and_b64 s[16:17], s[20:21], exec
	v_mov_b32_e32 v43, v21
	v_mov_b32_e32 v78, v92
.LBB66_85:
	s_or_b64 exec, exec, s[64:65]
	s_waitcnt lgkmcnt(0)
	v_mov_b32_e32 v42, v20
	v_mov_b32_e32 v24, v20
	s_and_b64 s[16:17], s[16:17], exec
	v_mov_b32_e32 v93, v3
	v_mov_b32_e32 v41, v19
	;; [unrolled: 1-line block ×4, first 2 shown]
.LBB66_86:
	s_or_b64 exec, exec, s[62:63]
	v_cndmask_b32_e64 v94, 0, 1, s[10:11]
	s_waitcnt lgkmcnt(0)
	v_mov_b32_e32 v48, v18
	s_and_b64 s[12:13], s[16:17], exec
	v_mov_b32_e32 v47, v17
	v_mov_b32_e32 v80, v94
.LBB66_87:
	s_or_b64 exec, exec, s[60:61]
	v_cndmask_b32_e64 v95, 0, 1, s[8:9]
	s_waitcnt lgkmcnt(0)
	v_mov_b32_e32 v46, v16
	v_mov_b32_e32 v20, v16
	s_and_b64 s[10:11], s[12:13], exec
	v_mov_b32_e32 v45, v15
	v_mov_b32_e32 v82, v95
	;; [unrolled: 1-line block ×3, first 2 shown]
.LBB66_88:
	s_or_b64 exec, exec, s[58:59]
	s_waitcnt lgkmcnt(0)
	v_mov_b32_e32 v52, v14
	s_and_b64 s[10:11], s[10:11], exec
	v_mov_b32_e32 v51, v13
.LBB66_89:
	s_or_b64 exec, exec, s[42:43]
	v_cndmask_b32_e64 v96, 0, 1, s[22:23]
	s_waitcnt lgkmcnt(0)
	v_mov_b32_e32 v50, v12
	v_mov_b32_e32 v16, v12
	s_and_b64 s[10:11], s[10:11], exec
	v_mov_b32_e32 v49, v11
	v_mov_b32_e32 v84, v96
	;; [unrolled: 1-line block ×3, first 2 shown]
.LBB66_90:
	s_or_b64 exec, exec, s[36:37]
	v_cndmask_b32_e64 v98, 0, 1, s[2:3]
	s_waitcnt lgkmcnt(0)
	v_mov_b32_e32 v3, v9
	s_and_b64 s[8:9], s[10:11], exec
	v_mov_b32_e32 v4, v10
	v_mov_b32_e32 v85, v98
.LBB66_91:
	s_or_b64 exec, exec, s[34:35]
	v_cndmask_b32_e64 v100, 0, 1, vcc
	s_and_b64 s[8:9], s[8:9], exec
	v_mov_b32_e32 v83, v100
.LBB66_92:
	s_or_b64 exec, exec, s[30:31]
	s_and_b64 vcc, exec, s[28:29]
	v_cmp_ne_u32_e64 s[2:3], 0, v0
	s_cbranch_vccz .LBB66_96
.LBB66_93:
	s_waitcnt lgkmcnt(0)
	global_load_dword v1, v81, s[56:57]
	global_load_dword v2, v81, s[56:57] offset:256
	global_load_dword v3, v81, s[56:57] offset:512
	;; [unrolled: 1-line block ×14, first 2 shown]
	s_sub_u32 s8, 0, s6
	s_subb_u32 s9, 0, 0
	s_cmp_eq_u64 s[40:41], s[8:9]
	v_mad_u32_u24 v18, v0, 56, v81
	s_movk_i32 s7, 0xffc8
	s_cselect_b32 s8, 0, -4
	v_mad_i32_i24 v15, v0, s7, v18
	s_cselect_b32 s7, 0, -1
	s_add_u32 s8, s56, s8
	s_addc_u32 s9, s57, s7
	s_waitcnt vmcnt(13)
	ds_write2st64_b32 v81, v1, v2 offset1:1
	s_waitcnt vmcnt(11)
	ds_write2st64_b32 v81, v3, v4 offset0:2 offset1:3
	s_waitcnt vmcnt(9)
	ds_write2st64_b32 v81, v5, v6 offset0:4 offset1:5
	;; [unrolled: 2-line block ×6, first 2 shown]
	s_waitcnt vmcnt(0)
	ds_write_b32 v81, v16 offset:3584
	s_waitcnt lgkmcnt(0)
	; wave barrier
	ds_read2_b32 v[7:8], v18 offset0:4 offset1:7
	ds_read2_b32 v[13:14], v18 offset0:13 offset1:14
	s_load_dword s7, s[8:9], 0x0
	ds_read2_b32 v[1:2], v18 offset1:1
	ds_read2_b32 v[3:4], v18 offset0:2 offset1:3
	ds_read2_b32 v[5:6], v18 offset0:5 offset1:6
	;; [unrolled: 1-line block ×3, first 2 shown]
	ds_read_b32 v17, v18 offset:40
	ds_read2_b32 v[11:12], v18 offset0:11 offset1:12
	s_waitcnt lgkmcnt(0)
	ds_write_b32 v15, v14 offset:3840
	v_mov_b32_e32 v16, s7
	s_waitcnt lgkmcnt(0)
	; wave barrier
	s_and_saveexec_b64 s[8:9], s[2:3]
; %bb.94:
	ds_read_b32 v16, v15 offset:3836
; %bb.95:
	s_or_b64 exec, exec, s[8:9]
	v_lshlrev_b32_e32 v34, 3, v0
	v_mov_b32_e32 v18, s39
	v_add_co_u32_e32 v35, vcc, s38, v34
	v_addc_co_u32_e32 v36, vcc, 0, v18, vcc
	s_movk_i32 s2, 0x1000
	s_waitcnt lgkmcnt(0)
	; wave barrier
	global_load_dwordx2 v[18:19], v34, s[38:39]
	global_load_dwordx2 v[20:21], v34, s[38:39] offset:512
	global_load_dwordx2 v[22:23], v34, s[38:39] offset:1024
	;; [unrolled: 1-line block ×7, first 2 shown]
	v_add_co_u32_e32 v34, vcc, s2, v35
	v_addc_co_u32_e32 v35, vcc, 0, v36, vcc
	global_load_dwordx2 v[36:37], v[34:35], off
	global_load_dwordx2 v[38:39], v[34:35], off offset:512
	global_load_dwordx2 v[40:41], v[34:35], off offset:1024
	;; [unrolled: 1-line block ×6, first 2 shown]
	v_cmp_ne_u32_e32 vcc, v12, v13
	v_cndmask_b32_e64 v71, 0, 1, vcc
	v_cmp_ne_u32_e32 vcc, v17, v11
	v_cndmask_b32_e64 v89, 0, 1, vcc
	;; [unrolled: 2-line block ×11, first 2 shown]
	v_cmp_ne_u32_e32 vcc, v2, v3
	v_lshlrev_b16_e32 v3, 8, v4
	v_cndmask_b32_e64 v96, 0, 1, vcc
	v_cmp_ne_u32_e32 vcc, v1, v2
	v_or_b32_e32 v93, v5, v3
	v_cndmask_b32_e64 v98, 0, 1, vcc
	v_cmp_ne_u32_e32 vcc, v16, v1
	v_lshl_add_u32 v1, v0, 2, v15
	s_movk_i32 s2, 0x70
	v_lshlrev_b16_e32 v2, 8, v7
	v_lshlrev_b32_e32 v3, 16, v93
	v_mad_u32_u24 v9, v0, s2, v1
	v_or_b32_e32 v87, v8, v2
	v_or_b32_e32 v2, v2, v3
	v_lshrrev_b32_e32 v86, 24, v3
	v_lshrrev_b32_e32 v88, 8, v2
	v_cmp_ne_u32_e64 s[26:27], v13, v14
	v_cndmask_b32_e64 v100, 0, 1, vcc
	s_mov_b64 s[8:9], -1
	v_mov_b32_e32 v72, v87
	v_mov_b32_e32 v73, v88
	;; [unrolled: 1-line block ×13, first 2 shown]
	s_waitcnt vmcnt(13)
	ds_write2st64_b64 v1, v[18:19], v[20:21] offset1:1
	s_waitcnt vmcnt(11)
	ds_write2st64_b64 v1, v[22:23], v[24:25] offset0:2 offset1:3
	s_waitcnt vmcnt(9)
	ds_write2st64_b64 v1, v[26:27], v[28:29] offset0:4 offset1:5
	;; [unrolled: 2-line block ×6, first 2 shown]
	s_waitcnt vmcnt(0)
	ds_write_b64 v1, v[48:49] offset:7168
	s_waitcnt lgkmcnt(0)
	; wave barrier
	ds_read2_b64 v[1:4], v9 offset1:1
	ds_read2_b64 v[49:52], v9 offset0:2 offset1:3
	ds_read2_b64 v[45:48], v9 offset0:4 offset1:5
	;; [unrolled: 1-line block ×6, first 2 shown]
	ds_read_b64 v[35:36], v9 offset:112
	s_waitcnt lgkmcnt(4)
	v_mov_b32_e32 v21, v43
	s_waitcnt lgkmcnt(3)
	v_mov_b32_e32 v25, v39
	;; [unrolled: 2-line block ×4, first 2 shown]
	v_mov_b32_e32 v56, v32
	v_mov_b32_e32 v27, v37
	;; [unrolled: 1-line block ×20, first 2 shown]
.LBB66_96:
	v_mov_b32_e32 v11, 0
	v_mov_b32_e32 v12, 0
	;; [unrolled: 1-line block ×3, first 2 shown]
	s_and_saveexec_b64 s[2:3], s[8:9]
	s_cbranch_execz .LBB66_98
; %bb.97:
	v_mov_b32_e32 v10, v4
	v_mov_b32_e32 v15, v49
	v_mov_b32_e32 v13, v51
	v_mov_b32_e32 v19, v45
	v_mov_b32_e32 v17, v47
	v_mov_b32_e32 v23, v41
	v_mov_b32_e32 v21, v43
	v_mov_b32_e32 v27, v37
	v_mov_b32_e32 v25, v39
	v_mov_b32_e32 v56, v32
	v_mov_b32_e32 v29, v33
	v_mov_b32_e32 v54, v6
	s_waitcnt lgkmcnt(0)
	v_mov_b32_e32 v11, v35
	v_cndmask_b32_e64 v65, 0, 1, s[26:27]
	v_mov_b32_e32 v83, v100
	v_mov_b32_e32 v9, v3
	;; [unrolled: 1-line block ×26, first 2 shown]
.LBB66_98:
	s_or_b64 exec, exec, s[2:3]
	s_cmp_lg_u32 s6, 0
	v_or_b32_e32 v67, v74, v76
	v_cmp_eq_u16_e64 s[2:3], 0, v65
	v_mbcnt_lo_u32_b32 v66, -1, 0
	s_waitcnt lgkmcnt(0)
	; wave barrier
	s_cbranch_scc0 .LBB66_152
; %bb.99:
	v_mov_b32_e32 v5, 0
	v_cmp_eq_u16_sdwa s[8:9], v85, v5 src0_sel:BYTE_0 src1_sel:DWORD
	v_and_b32_e32 v3, 1, v83
	v_cndmask_b32_e64 v4, 0, v1, s[8:9]
	v_cmp_eq_u32_e64 s[34:35], 1, v3
	v_cndmask_b32_e64 v3, 0, v2, s[8:9]
	v_add_co_u32_e32 v4, vcc, v4, v9
	v_cmp_eq_u16_sdwa s[38:39], v84, v5 src0_sel:BYTE_0 src1_sel:DWORD
	v_addc_co_u32_e32 v3, vcc, v3, v10, vcc
	v_cndmask_b32_e64 v4, 0, v4, s[38:39]
	v_cndmask_b32_e64 v3, 0, v3, s[38:39]
	v_add_co_u32_e32 v4, vcc, v4, v15
	v_cmp_eq_u16_sdwa s[10:11], v75, v5 src0_sel:BYTE_0 src1_sel:DWORD
	v_addc_co_u32_e32 v3, vcc, v3, v16, vcc
	v_cndmask_b32_e64 v4, 0, v4, s[10:11]
	v_or_b32_e32 v6, v84, v85
	v_cndmask_b32_e64 v3, 0, v3, s[10:11]
	v_add_co_u32_e32 v4, vcc, v4, v13
	v_cmp_ne_u16_sdwa s[12:13], v6, v5 src0_sel:BYTE_0 src1_sel:DWORD
	v_addc_co_u32_e32 v3, vcc, v3, v14, vcc
	v_and_b32_e32 v6, 1, v75
	v_cmp_eq_u16_sdwa s[14:15], v82, v5 src0_sel:BYTE_0 src1_sel:DWORD
	v_cmp_eq_u32_e32 vcc, 1, v6
	v_cndmask_b32_e64 v4, 0, v4, s[14:15]
	s_or_b64 s[36:37], s[12:13], vcc
	v_cndmask_b32_e64 v3, 0, v3, s[14:15]
	v_add_co_u32_e32 v4, vcc, v4, v19
	v_cmp_eq_u16_sdwa s[12:13], v80, v5 src0_sel:BYTE_0 src1_sel:DWORD
	v_addc_co_u32_e32 v3, vcc, v3, v20, vcc
	v_cndmask_b32_e64 v4, 0, v4, s[12:13]
	v_cndmask_b32_e64 v3, 0, v3, s[12:13]
	v_add_co_u32_e32 v4, vcc, v4, v17
	v_cmp_eq_u16_sdwa s[16:17], v79, v5 src0_sel:BYTE_0 src1_sel:DWORD
	v_addc_co_u32_e32 v3, vcc, v3, v18, vcc
	v_cndmask_b32_e64 v4, 0, v4, s[16:17]
	v_or_b32_e32 v6, v80, v82
	v_cndmask_b32_e64 v3, 0, v3, s[16:17]
	v_add_co_u32_e32 v4, vcc, v4, v23
	v_cmp_ne_u16_sdwa s[18:19], v6, v5 src0_sel:BYTE_0 src1_sel:DWORD
	v_addc_co_u32_e32 v3, vcc, v3, v24, vcc
	v_and_b32_e32 v6, 1, v79
	v_cmp_eq_u16_sdwa s[20:21], v78, v5 src0_sel:BYTE_0 src1_sel:DWORD
	v_cmp_eq_u32_e32 vcc, 1, v6
	v_cndmask_b32_e64 v4, 0, v4, s[20:21]
	s_or_b64 s[40:41], s[18:19], vcc
	;; [unrolled: 20-line block ×3, first 2 shown]
	v_cndmask_b32_e64 v3, 0, v3, s[28:29]
	v_add_co_u32_e32 v4, vcc, v4, v55
	v_cmp_eq_u16_sdwa s[24:25], v74, v5 src0_sel:BYTE_0 src1_sel:DWORD
	v_addc_co_u32_e32 v3, vcc, v3, v56, vcc
	v_cndmask_b32_e64 v4, 0, v4, s[24:25]
	v_cndmask_b32_e64 v3, 0, v3, s[24:25]
	v_add_co_u32_e32 v4, vcc, v4, v29
	v_cmp_eq_u16_sdwa s[26:27], v72, v5 src0_sel:BYTE_0 src1_sel:DWORD
	v_addc_co_u32_e32 v3, vcc, v3, v30, vcc
	v_cndmask_b32_e64 v4, 0, v4, s[26:27]
	v_cndmask_b32_e64 v3, 0, v3, s[26:27]
	v_add_co_u32_e32 v4, vcc, v4, v53
	v_addc_co_u32_e32 v3, vcc, v3, v54, vcc
	v_and_b32_e32 v6, 1, v72
	v_cmp_ne_u16_sdwa s[30:31], v67, v5 src0_sel:BYTE_0 src1_sel:DWORD
	v_cmp_eq_u32_e32 vcc, 1, v6
	s_or_b64 s[56:57], s[30:31], vcc
	v_cmp_eq_u16_sdwa s[30:31], v71, v5 src0_sel:BYTE_0 src1_sel:DWORD
	v_cndmask_b32_e64 v4, 0, v4, s[30:31]
	v_cndmask_b32_e64 v3, 0, v3, s[30:31]
	v_add_co_u32_e32 v4, vcc, v4, v7
	v_addc_co_u32_e32 v3, vcc, v3, v8, vcc
	v_cndmask_b32_e64 v6, 0, v3, s[2:3]
	v_cndmask_b32_e64 v3, 0, v4, s[2:3]
	v_add_co_u32_e32 v3, vcc, v3, v11
	v_addc_co_u32_e32 v4, vcc, v6, v12, vcc
	v_or_b32_e32 v6, v65, v71
	v_cmp_ne_u16_sdwa s[58:59], v6, v5 src0_sel:BYTE_0 src1_sel:DWORD
	s_or_b64 s[56:57], s[58:59], s[56:57]
	s_or_b64 s[42:43], s[56:57], s[42:43]
	;; [unrolled: 1-line block ×5, first 2 shown]
	v_mbcnt_hi_u32_b32 v6, -1, v66
	v_and_b32_e32 v32, 15, v6
	v_cndmask_b32_e64 v31, 0, 1, s[40:41]
	v_cndmask_b32_e64 v5, 0, 1, s[40:41]
	v_mov_b32_dpp v33, v3 row_shr:1 row_mask:0xf bank_mask:0xf
	v_mov_b32_dpp v34, v4 row_shr:1 row_mask:0xf bank_mask:0xf
	;; [unrolled: 1-line block ×3, first 2 shown]
	v_cmp_ne_u32_e32 vcc, 0, v32
	s_and_saveexec_b64 s[36:37], vcc
; %bb.100:
	v_and_b32_e32 v31, 1, v35
	v_cndmask_b32_e64 v33, v33, 0, s[40:41]
	v_or_b32_e32 v5, v31, v5
	v_cndmask_b32_e64 v31, v34, 0, s[40:41]
	v_add_co_u32_e32 v3, vcc, v33, v3
	v_addc_co_u32_e32 v4, vcc, v31, v4, vcc
	v_and_b32_e32 v31, 0xffff, v5
; %bb.101:
	s_or_b64 exec, exec, s[36:37]
	v_mov_b32_dpp v33, v3 row_shr:2 row_mask:0xf bank_mask:0xf
	v_mov_b32_dpp v34, v4 row_shr:2 row_mask:0xf bank_mask:0xf
	v_mov_b32_dpp v35, v31 row_shr:2 row_mask:0xf bank_mask:0xf
	v_cmp_lt_u32_e32 vcc, 1, v32
	s_and_saveexec_b64 s[40:41], vcc
	s_cbranch_execz .LBB66_103
; %bb.102:
	v_and_b32_e32 v31, 1, v5
	v_cmp_eq_u32_e32 vcc, 1, v31
	v_and_b32_e32 v31, 1, v35
	v_cmp_eq_u32_e64 s[36:37], 1, v31
	s_or_b64 s[36:37], vcc, s[36:37]
	v_cmp_eq_u16_e32 vcc, 0, v5
	v_cndmask_b32_e32 v31, 0, v33, vcc
	v_cndmask_b32_e64 v35, 0, 1, s[36:37]
	v_cndmask_b32_e32 v5, 0, v34, vcc
	v_add_co_u32_e32 v3, vcc, v31, v3
	v_addc_co_u32_e32 v4, vcc, v5, v4, vcc
	v_cndmask_b32_e64 v31, 0, 1, s[36:37]
	v_mov_b32_e32 v5, v35
.LBB66_103:
	s_or_b64 exec, exec, s[40:41]
	v_mov_b32_dpp v33, v3 row_shr:4 row_mask:0xf bank_mask:0xf
	v_mov_b32_dpp v34, v4 row_shr:4 row_mask:0xf bank_mask:0xf
	v_mov_b32_dpp v35, v31 row_shr:4 row_mask:0xf bank_mask:0xf
	v_cmp_lt_u32_e32 vcc, 3, v32
	s_and_saveexec_b64 s[40:41], vcc
	s_cbranch_execz .LBB66_105
; %bb.104:
	v_and_b32_e32 v31, 1, v5
	v_cmp_eq_u32_e32 vcc, 1, v31
	v_and_b32_e32 v31, 1, v35
	v_cmp_eq_u32_e64 s[36:37], 1, v31
	s_or_b64 s[36:37], vcc, s[36:37]
	v_cmp_eq_u16_e32 vcc, 0, v5
	v_cndmask_b32_e32 v31, 0, v33, vcc
	v_cndmask_b32_e64 v35, 0, 1, s[36:37]
	v_cndmask_b32_e32 v5, 0, v34, vcc
	v_add_co_u32_e32 v3, vcc, v31, v3
	v_addc_co_u32_e32 v4, vcc, v5, v4, vcc
	v_cndmask_b32_e64 v31, 0, 1, s[36:37]
	v_mov_b32_e32 v5, v35
.LBB66_105:
	;; [unrolled: 22-line block ×3, first 2 shown]
	s_or_b64 exec, exec, s[40:41]
	v_and_b32_e32 v35, 16, v6
	v_mov_b32_dpp v32, v3 row_bcast:15 row_mask:0xf bank_mask:0xf
	v_mov_b32_dpp v33, v4 row_bcast:15 row_mask:0xf bank_mask:0xf
	;; [unrolled: 1-line block ×3, first 2 shown]
	v_cmp_ne_u32_e32 vcc, 0, v35
	s_and_saveexec_b64 s[40:41], vcc
	s_cbranch_execz .LBB66_109
; %bb.108:
	v_and_b32_e32 v31, 1, v5
	v_cmp_eq_u32_e32 vcc, 1, v31
	v_and_b32_e32 v31, 1, v34
	v_cmp_eq_u32_e64 s[36:37], 1, v31
	s_or_b64 s[36:37], vcc, s[36:37]
	v_cmp_eq_u16_e32 vcc, 0, v5
	v_cndmask_b32_e32 v31, 0, v32, vcc
	v_cndmask_b32_e64 v34, 0, 1, s[36:37]
	v_cndmask_b32_e32 v5, 0, v33, vcc
	v_add_co_u32_e32 v3, vcc, v31, v3
	v_addc_co_u32_e32 v4, vcc, v5, v4, vcc
	v_cndmask_b32_e64 v31, 0, 1, s[36:37]
	v_mov_b32_e32 v5, v34
.LBB66_109:
	s_or_b64 exec, exec, s[40:41]
	v_mov_b32_dpp v32, v3 row_bcast:31 row_mask:0xf bank_mask:0xf
	v_mov_b32_dpp v33, v4 row_bcast:31 row_mask:0xf bank_mask:0xf
	;; [unrolled: 1-line block ×3, first 2 shown]
	v_cmp_lt_u32_e32 vcc, 31, v6
	s_and_saveexec_b64 s[40:41], vcc
	s_cbranch_execz .LBB66_111
; %bb.110:
	v_and_b32_e32 v34, 1, v5
	v_and_b32_e32 v31, 1, v31
	v_cmp_eq_u32_e32 vcc, 1, v34
	v_cmp_eq_u32_e64 s[36:37], 1, v31
	s_or_b64 s[36:37], vcc, s[36:37]
	v_cmp_eq_u16_e32 vcc, 0, v5
	v_cndmask_b32_e32 v32, 0, v32, vcc
	v_cndmask_b32_e64 v31, 0, 1, s[36:37]
	v_cndmask_b32_e32 v5, 0, v33, vcc
	v_add_co_u32_e32 v3, vcc, v32, v3
	v_addc_co_u32_e32 v4, vcc, v5, v4, vcc
	v_mov_b32_e32 v5, v31
.LBB66_111:
	s_or_b64 exec, exec, s[40:41]
	v_cmp_eq_u32_e32 vcc, 63, v0
	s_and_saveexec_b64 s[36:37], vcc
	s_cbranch_execz .LBB66_113
; %bb.112:
	v_mov_b32_e32 v31, 0
	ds_write_b64 v31, v[3:4]
	ds_write_b8 v31, v5 offset:8
.LBB66_113:
	s_or_b64 exec, exec, s[36:37]
	v_add_u32_e32 v31, -1, v6
	v_and_b32_e32 v32, 64, v6
	v_cmp_lt_i32_e32 vcc, v31, v32
	v_cndmask_b32_e32 v31, v31, v6, vcc
	v_lshlrev_b32_e32 v31, 2, v31
	ds_bpermute_b32 v38, v31, v3
	v_and_b32_e32 v3, 0xffff, v5
	ds_bpermute_b32 v39, v31, v4
	ds_bpermute_b32 v37, v31, v3
	v_cmp_gt_u32_e32 vcc, 64, v0
	s_waitcnt lgkmcnt(0)
	; wave barrier
	s_and_saveexec_b64 s[42:43], vcc
	s_cbranch_execz .LBB66_157
; %bb.114:
	v_mov_b32_e32 v32, 0
	ds_read_b64 v[3:4], v32
	ds_read_u8 v40, v32 offset:8
	s_mov_b32 s57, 0
	v_cmp_eq_u32_e64 s[36:37], 0, v6
	s_and_saveexec_b64 s[40:41], s[36:37]
	s_cbranch_execz .LBB66_116
; %bb.115:
	s_add_i32 s56, s6, 64
	s_lshl_b64 s[58:59], s[56:57], 4
	s_add_u32 s58, s44, s58
	s_addc_u32 s59, s45, s59
	v_mov_b32_e32 v5, 1
	v_mov_b32_e32 v31, s56
	s_waitcnt lgkmcnt(1)
	global_store_dwordx2 v32, v[3:4], s[58:59]
	s_waitcnt lgkmcnt(0)
	global_store_byte v32, v40, s[58:59] offset:8
	s_waitcnt vmcnt(0)
	buffer_wbinvl1_vol
	global_store_byte v31, v5, s[48:49]
.LBB66_116:
	s_or_b64 exec, exec, s[40:41]
	v_xad_u32 v5, v6, -1, s6
	v_add_u32_e32 v31, 64, v5
	global_load_ubyte v41, v31, s[48:49] glc
	s_waitcnt vmcnt(0)
	v_cmp_eq_u16_e32 vcc, 0, v41
	s_and_saveexec_b64 s[40:41], vcc
	s_cbranch_execz .LBB66_120
; %bb.117:
	v_mov_b32_e32 v34, s49
	v_add_co_u32_e32 v33, vcc, s48, v31
	v_addc_co_u32_e32 v34, vcc, 0, v34, vcc
	s_mov_b64 s[56:57], 0
.LBB66_118:                             ; =>This Inner Loop Header: Depth=1
	global_load_ubyte v41, v[33:34], off glc
	s_waitcnt vmcnt(0)
	v_cmp_ne_u16_e32 vcc, 0, v41
	s_or_b64 s[56:57], vcc, s[56:57]
	s_andn2_b64 exec, exec, s[56:57]
	s_cbranch_execnz .LBB66_118
; %bb.119:
	s_or_b64 exec, exec, s[56:57]
.LBB66_120:
	s_or_b64 exec, exec, s[40:41]
	v_mov_b32_e32 v33, s47
	v_mov_b32_e32 v34, s45
	v_cmp_eq_u16_e32 vcc, 1, v41
	v_cndmask_b32_e32 v33, v33, v34, vcc
	v_mov_b32_e32 v34, s46
	v_mov_b32_e32 v35, s44
	v_lshlrev_b64 v[31:32], 4, v[31:32]
	v_cndmask_b32_e32 v34, v34, v35, vcc
	v_add_co_u32_e32 v31, vcc, v34, v31
	v_addc_co_u32_e32 v32, vcc, v33, v32, vcc
	s_waitcnt lgkmcnt(0)
	buffer_wbinvl1_vol
	global_load_dwordx2 v[35:36], v[31:32], off
	global_load_ubyte v60, v[31:32], off offset:8
	v_and_b32_e32 v34, 63, v6
	v_lshlrev_b64 v[31:32], v6, -1
	v_cmp_ne_u32_e64 s[40:41], 63, v34
	v_cmp_eq_u16_e32 vcc, 2, v41
	v_addc_co_u32_e64 v33, s[40:41], 0, v6, s[40:41]
	v_and_b32_e32 v43, vcc_hi, v32
	v_lshlrev_b32_e32 v42, 2, v33
	v_or_b32_e32 v33, 0x80000000, v43
	v_and_b32_e32 v47, vcc_lo, v31
	v_ffbl_b32_e32 v33, v33
	v_add_u32_e32 v33, 32, v33
	v_ffbl_b32_e32 v43, v47
	v_min_u32_e32 v33, v43, v33
	v_add_u32_e32 v43, 1, v6
	v_cmp_le_u32_e32 vcc, v43, v33
	s_waitcnt vmcnt(1)
	ds_bpermute_b32 v45, v42, v35
	s_waitcnt vmcnt(0)
	v_and_b32_e32 v52, 1, v60
	ds_bpermute_b32 v46, v42, v36
	ds_bpermute_b32 v44, v42, v52
	s_and_saveexec_b64 s[40:41], vcc
	s_cbranch_execz .LBB66_122
; %bb.121:
	v_mov_b32_e32 v47, 0
	v_cmp_eq_u16_sdwa vcc, v60, v47 src0_sel:BYTE_0 src1_sel:DWORD
	s_waitcnt lgkmcnt(2)
	v_cndmask_b32_e32 v45, 0, v45, vcc
	s_waitcnt lgkmcnt(0)
	v_and_b32_e32 v44, 1, v44
	v_cndmask_b32_e32 v46, 0, v46, vcc
	v_add_co_u32_e32 v35, vcc, v45, v35
	v_or_b32_e32 v60, v44, v60
	v_addc_co_u32_e32 v36, vcc, v46, v36, vcc
	v_and_b32_e32 v52, 0xff, v60
.LBB66_122:
	s_or_b64 exec, exec, s[40:41]
	v_cmp_gt_u32_e32 vcc, 62, v34
	s_waitcnt lgkmcnt(0)
	v_cndmask_b32_e64 v44, 0, 2, vcc
	v_add_lshl_u32 v44, v44, v6, 2
	ds_bpermute_b32 v47, v44, v35
	ds_bpermute_b32 v48, v44, v36
	ds_bpermute_b32 v46, v44, v52
	v_add_u32_e32 v45, 2, v6
	v_cmp_le_u32_e32 vcc, v45, v33
	s_and_saveexec_b64 s[56:57], vcc
	s_cbranch_execz .LBB66_124
; %bb.123:
	v_mov_b32_e32 v49, 0
	v_cmp_eq_u16_sdwa vcc, v60, v49 src0_sel:BYTE_0 src1_sel:DWORD
	s_waitcnt lgkmcnt(2)
	v_cndmask_b32_e32 v47, 0, v47, vcc
	s_waitcnt lgkmcnt(1)
	v_cndmask_b32_e32 v48, 0, v48, vcc
	v_add_co_u32_e32 v35, vcc, v47, v35
	v_addc_co_u32_e32 v36, vcc, v48, v36, vcc
	v_and_b32_e32 v47, 1, v60
	s_waitcnt lgkmcnt(0)
	v_and_b32_e32 v46, 1, v46
	v_cmp_eq_u32_e32 vcc, 1, v47
	v_cmp_eq_u32_e64 s[40:41], 1, v46
	s_or_b64 s[40:41], vcc, s[40:41]
	v_cndmask_b32_e64 v60, 0, 1, s[40:41]
	v_cndmask_b32_e64 v52, 0, 1, s[40:41]
.LBB66_124:
	s_or_b64 exec, exec, s[56:57]
	v_cmp_gt_u32_e32 vcc, 60, v34
	s_waitcnt lgkmcnt(0)
	v_cndmask_b32_e64 v46, 0, 4, vcc
	v_add_lshl_u32 v46, v46, v6, 2
	ds_bpermute_b32 v49, v46, v35
	ds_bpermute_b32 v50, v46, v36
	ds_bpermute_b32 v48, v46, v52
	v_add_u32_e32 v47, 4, v6
	v_cmp_le_u32_e32 vcc, v47, v33
	s_and_saveexec_b64 s[56:57], vcc
	s_cbranch_execz .LBB66_126
; %bb.125:
	v_mov_b32_e32 v51, 0
	v_cmp_eq_u16_sdwa vcc, v60, v51 src0_sel:BYTE_0 src1_sel:DWORD
	s_waitcnt lgkmcnt(2)
	v_cndmask_b32_e32 v49, 0, v49, vcc
	s_waitcnt lgkmcnt(1)
	v_cndmask_b32_e32 v50, 0, v50, vcc
	v_add_co_u32_e32 v35, vcc, v49, v35
	v_addc_co_u32_e32 v36, vcc, v50, v36, vcc
	v_and_b32_e32 v49, 1, v60
	s_waitcnt lgkmcnt(0)
	v_and_b32_e32 v48, 1, v48
	v_cmp_eq_u32_e32 vcc, 1, v49
	v_cmp_eq_u32_e64 s[40:41], 1, v48
	s_or_b64 s[40:41], vcc, s[40:41]
	v_cndmask_b32_e64 v60, 0, 1, s[40:41]
	v_cndmask_b32_e64 v52, 0, 1, s[40:41]
.LBB66_126:
	;; [unrolled: 30-line block ×3, first 2 shown]
	s_or_b64 exec, exec, s[56:57]
	v_cmp_gt_u32_e32 vcc, 48, v34
	v_cndmask_b32_e64 v34, 0, 16, vcc
	s_waitcnt lgkmcnt(0)
	v_add_lshl_u32 v50, v34, v6, 2
	ds_bpermute_b32 v57, v50, v35
	ds_bpermute_b32 v58, v50, v36
	;; [unrolled: 1-line block ×3, first 2 shown]
	v_add_u32_e32 v51, 16, v6
	v_cmp_le_u32_e32 vcc, v51, v33
	s_and_saveexec_b64 s[56:57], vcc
	s_cbranch_execz .LBB66_130
; %bb.129:
	v_mov_b32_e32 v52, 0
	v_cmp_eq_u16_sdwa vcc, v60, v52 src0_sel:BYTE_0 src1_sel:DWORD
	s_waitcnt lgkmcnt(2)
	v_cndmask_b32_e32 v57, 0, v57, vcc
	s_waitcnt lgkmcnt(1)
	v_cndmask_b32_e32 v52, 0, v58, vcc
	v_add_co_u32_e32 v35, vcc, v57, v35
	v_addc_co_u32_e32 v36, vcc, v52, v36, vcc
	v_and_b32_e32 v52, 1, v60
	s_waitcnt lgkmcnt(0)
	v_and_b32_e32 v34, 1, v34
	v_cmp_eq_u32_e32 vcc, 1, v52
	v_cmp_eq_u32_e64 s[40:41], 1, v34
	s_or_b64 s[40:41], vcc, s[40:41]
	v_cndmask_b32_e64 v60, 0, 1, s[40:41]
	v_cndmask_b32_e64 v52, 0, 1, s[40:41]
.LBB66_130:
	s_or_b64 exec, exec, s[56:57]
	s_waitcnt lgkmcnt(0)
	v_mov_b32_e32 v34, 0x80
	v_lshl_or_b32 v57, v6, 2, v34
	ds_bpermute_b32 v59, v57, v35
	ds_bpermute_b32 v61, v57, v36
	ds_bpermute_b32 v34, v57, v52
	v_add_u32_e32 v58, 32, v6
	v_cmp_le_u32_e32 vcc, v58, v33
	s_and_saveexec_b64 s[56:57], vcc
	s_cbranch_execz .LBB66_132
; %bb.131:
	v_mov_b32_e32 v6, 0
	v_cmp_eq_u16_sdwa vcc, v60, v6 src0_sel:BYTE_0 src1_sel:DWORD
	s_waitcnt lgkmcnt(2)
	v_cndmask_b32_e32 v33, 0, v59, vcc
	s_waitcnt lgkmcnt(1)
	v_cndmask_b32_e32 v6, 0, v61, vcc
	v_add_co_u32_e32 v35, vcc, v33, v35
	v_addc_co_u32_e32 v36, vcc, v6, v36, vcc
	v_and_b32_e32 v6, 1, v60
	v_cmp_eq_u32_e32 vcc, 1, v6
	s_waitcnt lgkmcnt(0)
	v_and_b32_e32 v6, 1, v34
	v_cmp_eq_u32_e64 s[40:41], 1, v6
	s_or_b64 s[40:41], vcc, s[40:41]
	v_cndmask_b32_e64 v60, 0, 1, s[40:41]
.LBB66_132:
	s_or_b64 exec, exec, s[56:57]
	v_mov_b32_e32 v6, 0
	s_waitcnt lgkmcnt(2)
	v_mov_b32_e32 v59, 2
	s_branch .LBB66_135
.LBB66_133:                             ;   in Loop: Header=BB66_135 Depth=1
	s_or_b64 exec, exec, s[58:59]
	v_cmp_eq_u16_sdwa vcc, v52, v6 src0_sel:BYTE_0 src1_sel:DWORD
	v_cndmask_b32_e32 v35, 0, v35, vcc
	v_cndmask_b32_e32 v36, 0, v36, vcc
	v_add_co_u32_e32 v35, vcc, v35, v33
	v_addc_co_u32_e32 v36, vcc, v36, v34, vcc
	v_and_b32_e32 v60, 1, v52
	v_cmp_eq_u32_e32 vcc, 1, v60
	s_or_b64 s[40:41], vcc, s[56:57]
	v_subrev_u32_e32 v5, 64, v5
	v_cndmask_b32_e64 v60, 0, 1, s[40:41]
	s_mov_b64 s[40:41], 0
.LBB66_134:                             ;   in Loop: Header=BB66_135 Depth=1
	s_and_b64 vcc, exec, s[40:41]
	s_cbranch_vccnz .LBB66_153
.LBB66_135:                             ; =>This Loop Header: Depth=1
                                        ;     Child Loop BB66_138 Depth 2
	s_waitcnt lgkmcnt(0)
	v_mov_b32_e32 v33, v35
	v_cmp_ne_u16_sdwa s[40:41], v41, v59 src0_sel:BYTE_0 src1_sel:DWORD
	v_mov_b32_e32 v52, v60
	v_mov_b32_e32 v34, v36
	s_cmp_lg_u64 s[40:41], exec
	s_mov_b64 s[40:41], -1
                                        ; implicit-def: $vgpr60
                                        ; implicit-def: $vgpr35_vgpr36
                                        ; implicit-def: $vgpr41
	s_cbranch_scc1 .LBB66_134
; %bb.136:                              ;   in Loop: Header=BB66_135 Depth=1
	global_load_ubyte v41, v5, s[48:49] glc
	s_waitcnt vmcnt(0)
	v_cmp_eq_u16_e32 vcc, 0, v41
	s_and_saveexec_b64 s[40:41], vcc
	s_cbranch_execz .LBB66_140
; %bb.137:                              ;   in Loop: Header=BB66_135 Depth=1
	v_mov_b32_e32 v36, s49
	v_add_co_u32_e32 v35, vcc, s48, v5
	v_addc_co_u32_e32 v36, vcc, 0, v36, vcc
	s_mov_b64 s[56:57], 0
.LBB66_138:                             ;   Parent Loop BB66_135 Depth=1
                                        ; =>  This Inner Loop Header: Depth=2
	global_load_ubyte v41, v[35:36], off glc
	s_waitcnt vmcnt(0)
	v_cmp_ne_u16_e32 vcc, 0, v41
	s_or_b64 s[56:57], vcc, s[56:57]
	s_andn2_b64 exec, exec, s[56:57]
	s_cbranch_execnz .LBB66_138
; %bb.139:                              ;   in Loop: Header=BB66_135 Depth=1
	s_or_b64 exec, exec, s[56:57]
.LBB66_140:                             ;   in Loop: Header=BB66_135 Depth=1
	s_or_b64 exec, exec, s[40:41]
	v_mov_b32_e32 v35, s47
	v_mov_b32_e32 v36, s45
	v_cmp_eq_u16_e32 vcc, 1, v41
	v_cndmask_b32_e32 v61, v35, v36, vcc
	v_mov_b32_e32 v35, s46
	v_mov_b32_e32 v36, s44
	v_cndmask_b32_e32 v60, v35, v36, vcc
	v_lshlrev_b64 v[35:36], 4, v[5:6]
	buffer_wbinvl1_vol
	v_add_co_u32_e32 v60, vcc, v60, v35
	v_addc_co_u32_e32 v61, vcc, v61, v36, vcc
	global_load_dwordx2 v[35:36], v[60:61], off
	s_nop 0
	global_load_ubyte v60, v[60:61], off offset:8
	v_cmp_eq_u16_e32 vcc, 2, v41
	v_and_b32_e32 v61, vcc_hi, v32
	v_or_b32_e32 v61, 0x80000000, v61
	v_and_b32_e32 v69, vcc_lo, v31
	v_ffbl_b32_e32 v61, v61
	v_add_u32_e32 v61, 32, v61
	v_ffbl_b32_e32 v69, v69
	v_min_u32_e32 v61, v69, v61
	v_cmp_le_u32_e32 vcc, v43, v61
	s_waitcnt vmcnt(1)
	ds_bpermute_b32 v64, v42, v35
	s_waitcnt vmcnt(0)
	v_and_b32_e32 v62, 1, v60
	ds_bpermute_b32 v68, v42, v36
	ds_bpermute_b32 v63, v42, v62
	v_cmp_eq_u32_e64 s[56:57], 1, v62
	s_and_saveexec_b64 s[40:41], vcc
	s_cbranch_execz .LBB66_142
; %bb.141:                              ;   in Loop: Header=BB66_135 Depth=1
	v_cmp_eq_u16_sdwa vcc, v60, v6 src0_sel:BYTE_0 src1_sel:DWORD
	s_waitcnt lgkmcnt(2)
	v_cndmask_b32_e32 v64, 0, v64, vcc
	s_waitcnt lgkmcnt(1)
	v_cndmask_b32_e32 v62, 0, v68, vcc
	v_add_co_u32_e32 v35, vcc, v64, v35
	v_addc_co_u32_e32 v36, vcc, v62, v36, vcc
	s_waitcnt lgkmcnt(0)
	v_and_b32_e32 v62, 1, v63
	v_or_b32_e32 v60, v62, v60
	v_and_b32_e32 v63, 1, v60
	v_cmp_eq_u32_e32 vcc, 1, v63
	s_andn2_b64 s[56:57], s[56:57], exec
	s_and_b64 s[58:59], vcc, exec
	v_and_b32_e32 v62, 0xff, v60
	s_or_b64 s[56:57], s[56:57], s[58:59]
.LBB66_142:                             ;   in Loop: Header=BB66_135 Depth=1
	s_or_b64 exec, exec, s[40:41]
	s_waitcnt lgkmcnt(2)
	ds_bpermute_b32 v64, v44, v35
	s_waitcnt lgkmcnt(2)
	ds_bpermute_b32 v68, v44, v36
	s_waitcnt lgkmcnt(2)
	ds_bpermute_b32 v63, v44, v62
	v_cmp_le_u32_e32 vcc, v45, v61
	s_and_saveexec_b64 s[58:59], vcc
	s_cbranch_execz .LBB66_144
; %bb.143:                              ;   in Loop: Header=BB66_135 Depth=1
	v_cmp_eq_u16_sdwa vcc, v60, v6 src0_sel:BYTE_0 src1_sel:DWORD
	s_waitcnt lgkmcnt(2)
	v_cndmask_b32_e32 v64, 0, v64, vcc
	s_waitcnt lgkmcnt(1)
	v_cndmask_b32_e32 v62, 0, v68, vcc
	v_add_co_u32_e32 v35, vcc, v64, v35
	v_addc_co_u32_e32 v36, vcc, v62, v36, vcc
	v_and_b32_e32 v60, 1, v60
	v_cmp_eq_u32_e32 vcc, 1, v60
	s_waitcnt lgkmcnt(0)
	v_and_b32_e32 v60, 1, v63
	v_cmp_eq_u32_e64 s[40:41], 1, v60
	s_or_b64 s[40:41], vcc, s[40:41]
	v_cndmask_b32_e64 v60, 0, 1, s[40:41]
	v_cndmask_b32_e64 v62, 0, 1, s[40:41]
	s_andn2_b64 s[56:57], s[56:57], exec
	s_and_b64 s[40:41], s[40:41], exec
	s_or_b64 s[56:57], s[56:57], s[40:41]
.LBB66_144:                             ;   in Loop: Header=BB66_135 Depth=1
	s_or_b64 exec, exec, s[58:59]
	s_waitcnt lgkmcnt(2)
	ds_bpermute_b32 v64, v46, v35
	s_waitcnt lgkmcnt(2)
	ds_bpermute_b32 v68, v46, v36
	s_waitcnt lgkmcnt(2)
	ds_bpermute_b32 v63, v46, v62
	v_cmp_le_u32_e32 vcc, v47, v61
	s_and_saveexec_b64 s[58:59], vcc
	s_cbranch_execz .LBB66_146
; %bb.145:                              ;   in Loop: Header=BB66_135 Depth=1
	v_cmp_eq_u16_sdwa vcc, v60, v6 src0_sel:BYTE_0 src1_sel:DWORD
	s_waitcnt lgkmcnt(2)
	v_cndmask_b32_e32 v64, 0, v64, vcc
	s_waitcnt lgkmcnt(1)
	v_cndmask_b32_e32 v62, 0, v68, vcc
	v_add_co_u32_e32 v35, vcc, v64, v35
	v_addc_co_u32_e32 v36, vcc, v62, v36, vcc
	v_and_b32_e32 v60, 1, v60
	v_cmp_eq_u32_e32 vcc, 1, v60
	s_waitcnt lgkmcnt(0)
	v_and_b32_e32 v60, 1, v63
	v_cmp_eq_u32_e64 s[40:41], 1, v60
	s_or_b64 s[40:41], vcc, s[40:41]
	v_cndmask_b32_e64 v60, 0, 1, s[40:41]
	v_cndmask_b32_e64 v62, 0, 1, s[40:41]
	s_andn2_b64 s[56:57], s[56:57], exec
	s_and_b64 s[40:41], s[40:41], exec
	s_or_b64 s[56:57], s[56:57], s[40:41]
.LBB66_146:                             ;   in Loop: Header=BB66_135 Depth=1
	;; [unrolled: 30-line block ×4, first 2 shown]
	s_or_b64 exec, exec, s[58:59]
	s_waitcnt lgkmcnt(0)
	ds_bpermute_b32 v63, v57, v35
	ds_bpermute_b32 v64, v57, v36
	;; [unrolled: 1-line block ×3, first 2 shown]
	v_cmp_le_u32_e32 vcc, v58, v61
	s_and_saveexec_b64 s[58:59], vcc
	s_cbranch_execz .LBB66_133
; %bb.151:                              ;   in Loop: Header=BB66_135 Depth=1
	v_cmp_eq_u16_sdwa vcc, v60, v6 src0_sel:BYTE_0 src1_sel:DWORD
	s_waitcnt lgkmcnt(2)
	v_cndmask_b32_e32 v63, 0, v63, vcc
	s_waitcnt lgkmcnt(1)
	v_cndmask_b32_e32 v61, 0, v64, vcc
	v_add_co_u32_e32 v35, vcc, v63, v35
	v_addc_co_u32_e32 v36, vcc, v61, v36, vcc
	v_and_b32_e32 v60, 1, v60
	v_cmp_eq_u32_e32 vcc, 1, v60
	s_waitcnt lgkmcnt(0)
	v_and_b32_e32 v60, 1, v62
	v_cmp_eq_u32_e64 s[40:41], 1, v60
	s_or_b64 s[40:41], vcc, s[40:41]
	s_andn2_b64 s[56:57], s[56:57], exec
	s_and_b64 s[40:41], s[40:41], exec
	s_or_b64 s[56:57], s[56:57], s[40:41]
	s_branch .LBB66_133
.LBB66_152:
                                        ; implicit-def: $vgpr63_vgpr64
                                        ; implicit-def: $vgpr61_vgpr62
                                        ; implicit-def: $vgpr59_vgpr60
                                        ; implicit-def: $vgpr51_vgpr52
                                        ; implicit-def: $vgpr47_vgpr48
                                        ; implicit-def: $vgpr43_vgpr44
                                        ; implicit-def: $vgpr39_vgpr40
                                        ; implicit-def: $vgpr35_vgpr36
                                        ; implicit-def: $vgpr57_vgpr58
                                        ; implicit-def: $vgpr49_vgpr50
                                        ; implicit-def: $vgpr45_vgpr46
                                        ; implicit-def: $vgpr41_vgpr42
                                        ; implicit-def: $vgpr37_vgpr38
                                        ; implicit-def: $vgpr33_vgpr34
                                        ; implicit-def: $vgpr31_vgpr32
	s_cbranch_execnz .LBB66_160
	s_branch .LBB66_181
.LBB66_153:
	s_and_saveexec_b64 s[40:41], s[36:37]
	s_cbranch_execz .LBB66_155
; %bb.154:
	v_mov_b32_e32 v5, 0
	s_mov_b32 s7, 0
	v_cmp_eq_u32_sdwa vcc, v40, v5 src0_sel:BYTE_0 src1_sel:DWORD
	s_add_i32 s6, s6, 64
	v_cndmask_b32_e32 v31, 0, v33, vcc
	s_lshl_b64 s[36:37], s[6:7], 4
	v_cndmask_b32_e32 v6, 0, v34, vcc
	v_add_co_u32_e32 v3, vcc, v31, v3
	s_add_u32 s36, s46, s36
	v_addc_co_u32_e32 v4, vcc, v6, v4, vcc
	v_or_b32_e32 v6, v40, v52
	s_addc_u32 s37, s47, s37
	v_and_b32_e32 v6, 1, v6
	global_store_dwordx2 v5, v[3:4], s[36:37]
	global_store_byte v5, v6, s[36:37] offset:8
	v_mov_b32_e32 v3, 2
	v_mov_b32_e32 v4, s6
	s_waitcnt vmcnt(0) lgkmcnt(0)
	buffer_wbinvl1_vol
	global_store_byte v4, v3, s[48:49]
.LBB66_155:
	s_or_b64 exec, exec, s[40:41]
	v_cmp_eq_u32_e32 vcc, 0, v0
	s_and_b64 exec, exec, vcc
	s_cbranch_execz .LBB66_157
; %bb.156:
	v_mov_b32_e32 v3, 0
	ds_write_b64 v3, v[33:34]
	ds_write_b8 v3, v52 offset:8
.LBB66_157:
	s_or_b64 exec, exec, s[42:43]
	v_mov_b32_e32 v31, 0
	s_waitcnt lgkmcnt(0)
	; wave barrier
	ds_read_b64 v[3:4], v31
	v_mov_b32_e32 v6, v2
	v_cmp_ne_u32_e32 vcc, 0, v0
	v_mov_b32_e32 v32, v83
	v_mov_b32_e32 v5, v1
	s_and_saveexec_b64 s[6:7], vcc
; %bb.158:
	v_cmp_eq_u16_sdwa vcc, v83, v31 src0_sel:BYTE_0 src1_sel:DWORD
	v_cndmask_b32_e32 v5, 0, v38, vcc
	v_cndmask_b32_e32 v6, 0, v39, vcc
	v_add_co_u32_e32 v5, vcc, v5, v1
	v_addc_co_u32_e32 v6, vcc, v6, v2, vcc
	v_and_b32_e32 v32, 1, v37
	v_cmp_eq_u32_e32 vcc, 1, v32
	s_or_b64 s[34:35], s[34:35], vcc
	v_cndmask_b32_e64 v32, 0, 1, s[34:35]
; %bb.159:
	s_or_b64 exec, exec, s[6:7]
	v_cmp_eq_u16_sdwa vcc, v32, v31 src0_sel:BYTE_0 src1_sel:DWORD
	s_waitcnt lgkmcnt(0)
	v_cndmask_b32_e32 v3, 0, v3, vcc
	v_cndmask_b32_e32 v4, 0, v4, vcc
	v_add_co_u32_e32 v63, vcc, v3, v5
	v_addc_co_u32_e32 v64, vcc, v4, v6, vcc
	v_cndmask_b32_e64 v4, 0, v63, s[8:9]
	v_cndmask_b32_e64 v3, 0, v64, s[8:9]
	v_add_co_u32_e32 v31, vcc, v4, v9
	v_addc_co_u32_e32 v32, vcc, v3, v10, vcc
	v_cndmask_b32_e64 v4, 0, v31, s[38:39]
	v_cndmask_b32_e64 v3, 0, v32, s[38:39]
	;; [unrolled: 4-line block ×14, first 2 shown]
	v_add_co_u32_e32 v61, vcc, v4, v11
	v_addc_co_u32_e32 v62, vcc, v3, v12, vcc
	s_branch .LBB66_181
.LBB66_160:
	s_cmp_lg_u64 s[54:55], 0
	s_cselect_b64 s[6:7], -1, 0
	v_cmp_eq_u32_e32 vcc, 0, v0
	v_cmp_ne_u32_e64 s[2:3], 0, v0
	s_and_b64 s[6:7], vcc, s[6:7]
	s_and_saveexec_b64 s[8:9], s[6:7]
	s_cbranch_execz .LBB66_162
; %bb.161:
	v_mov_b32_e32 v5, 0
	global_load_dwordx2 v[3:4], v5, s[54:55]
	global_load_ubyte v6, v5, s[54:55] offset:8
	v_cmp_eq_u16_sdwa s[6:7], v83, v5 src0_sel:BYTE_0 src1_sel:DWORD
	s_waitcnt vmcnt(1)
	v_cndmask_b32_e64 v3, 0, v3, s[6:7]
	v_cndmask_b32_e64 v4, 0, v4, s[6:7]
	s_waitcnt vmcnt(0)
	v_or_b32_e32 v5, v83, v6
	v_add_co_u32_e64 v1, s[6:7], v3, v1
	v_addc_co_u32_e64 v2, s[6:7], v4, v2, s[6:7]
	v_and_b32_e32 v83, 1, v5
.LBB66_162:
	s_or_b64 exec, exec, s[8:9]
	v_and_b32_e32 v3, 1, v83
	v_cmp_eq_u32_e64 s[36:37], 1, v3
	v_mov_b32_e32 v3, 0
	v_cmp_eq_u16_sdwa s[6:7], v85, v3 src0_sel:BYTE_0 src1_sel:DWORD
	v_cndmask_b32_e64 v5, 0, v1, s[6:7]
	v_cndmask_b32_e64 v4, 0, v2, s[6:7]
	v_add_co_u32_e64 v31, s[8:9], v5, v9
	v_addc_co_u32_e64 v32, s[8:9], v4, v10, s[8:9]
	v_cmp_eq_u16_sdwa s[8:9], v84, v3 src0_sel:BYTE_0 src1_sel:DWORD
	v_cndmask_b32_e64 v5, 0, v31, s[8:9]
	v_cndmask_b32_e64 v4, 0, v32, s[8:9]
	v_add_co_u32_e64 v33, s[10:11], v5, v15
	v_addc_co_u32_e64 v34, s[10:11], v4, v16, s[10:11]
	;; [unrolled: 5-line block ×3, first 2 shown]
	v_and_b32_e32 v4, 1, v72
	v_lshlrev_b16_e32 v5, 1, v73
	v_or_b32_e32 v4, v4, v5
	v_and_b32_e32 v5, 1, v79
	v_lshlrev_b16_e32 v5, 2, v5
	v_lshlrev_b16_e32 v6, 3, v75
	v_cmp_eq_u16_sdwa s[12:13], v82, v3 src0_sel:BYTE_0 src1_sel:DWORD
	v_and_b32_e32 v4, 3, v4
	v_or_b32_e32 v5, v6, v5
	v_cndmask_b32_e64 v6, 0, v35, s[12:13]
	v_or_b32_e32 v4, v4, v5
	v_cndmask_b32_e64 v5, 0, v36, s[12:13]
	v_add_co_u32_e64 v37, s[14:15], v6, v19
	v_addc_co_u32_e64 v38, s[14:15], v5, v20, s[14:15]
	v_cmp_eq_u16_sdwa s[14:15], v80, v3 src0_sel:BYTE_0 src1_sel:DWORD
	v_cndmask_b32_e64 v6, 0, v37, s[14:15]
	v_cndmask_b32_e64 v5, 0, v38, s[14:15]
	v_add_co_u32_e64 v39, s[16:17], v6, v17
	v_addc_co_u32_e64 v40, s[16:17], v5, v18, s[16:17]
	v_cmp_eq_u16_sdwa s[16:17], v79, v3 src0_sel:BYTE_0 src1_sel:DWORD
	v_cndmask_b32_e64 v6, 0, v39, s[16:17]
	;; [unrolled: 5-line block ×9, first 2 shown]
	v_cndmask_b32_e64 v3, 0, v58, s[30:31]
	v_add_co_u32_e64 v59, s[34:35], v5, v7
	v_addc_co_u32_e64 v60, s[34:35], v3, v8, s[34:35]
	v_cmp_eq_u16_e64 s[34:35], 0, v65
	v_cndmask_b32_e64 v5, 0, v59, s[34:35]
	v_cndmask_b32_e64 v3, 0, v60, s[34:35]
	v_add_co_u32_e64 v61, s[38:39], v5, v11
	v_addc_co_u32_e64 v62, s[38:39], v3, v12, s[38:39]
	v_and_b32_e32 v3, 15, v4
	v_or_b32_e32 v4, v71, v67
	v_or_b32_e32 v4, v4, v65
	;; [unrolled: 1-line block ×8, first 2 shown]
	v_or_b32_sdwa v3, v3, v4 dst_sel:DWORD dst_unused:UNUSED_PAD src0_sel:DWORD src1_sel:BYTE_0
	v_cmp_ne_u16_e64 s[38:39], 0, v3
	s_or_b64 s[38:39], s[38:39], s[36:37]
	v_mbcnt_hi_u32_b32 v63, -1, v66
	v_and_b32_e32 v66, 15, v63
	v_cndmask_b32_e64 v65, 0, 1, s[38:39]
	v_mov_b32_e32 v5, v61
	v_cndmask_b32_e64 v64, 0, 1, s[38:39]
	v_mov_b32_dpp v67, v61 row_shr:1 row_mask:0xf bank_mask:0xf
	v_mov_b32_dpp v68, v62 row_shr:1 row_mask:0xf bank_mask:0xf
	;; [unrolled: 1-line block ×3, first 2 shown]
	v_cmp_ne_u32_e64 s[36:37], 0, v66
	v_mov_b32_e32 v3, v61
	v_mov_b32_e32 v4, v62
	;; [unrolled: 1-line block ×3, first 2 shown]
	s_and_saveexec_b64 s[40:41], s[36:37]
; %bb.163:
	v_and_b32_e32 v3, 1, v69
	v_or_b32_e32 v64, v3, v64
	v_cndmask_b32_e64 v3, v67, 0, s[38:39]
	v_cndmask_b32_e64 v4, v68, 0, s[38:39]
	v_add_co_u32_e64 v3, s[36:37], v61, v3
	v_addc_co_u32_e64 v4, s[36:37], v62, v4, s[36:37]
	v_mov_b32_e32 v6, v4
	v_and_b32_e32 v65, 0xffff, v64
	v_mov_b32_e32 v5, v3
; %bb.164:
	s_or_b64 exec, exec, s[40:41]
	v_mov_b32_dpp v67, v3 row_shr:2 row_mask:0xf bank_mask:0xf
	v_mov_b32_dpp v68, v4 row_shr:2 row_mask:0xf bank_mask:0xf
	v_mov_b32_dpp v69, v65 row_shr:2 row_mask:0xf bank_mask:0xf
	v_cmp_lt_u32_e64 s[36:37], 1, v66
	s_and_saveexec_b64 s[40:41], s[36:37]
	s_cbranch_execz .LBB66_166
; %bb.165:
	v_and_b32_e32 v3, 1, v64
	v_cmp_eq_u32_e64 s[36:37], 1, v3
	v_and_b32_e32 v3, 1, v69
	v_cmp_eq_u32_e64 s[38:39], 1, v3
	s_or_b64 s[38:39], s[36:37], s[38:39]
	v_cmp_eq_u16_e64 s[36:37], 0, v64
	v_cndmask_b32_e64 v3, 0, v67, s[36:37]
	v_cndmask_b32_e64 v4, 0, v68, s[36:37]
	v_add_co_u32_e64 v3, s[36:37], v3, v5
	v_addc_co_u32_e64 v4, s[36:37], v4, v6, s[36:37]
	v_cndmask_b32_e64 v69, 0, 1, s[38:39]
	v_mov_b32_e32 v6, v4
	v_cndmask_b32_e64 v65, 0, 1, s[38:39]
	v_mov_b32_e32 v64, v69
	v_mov_b32_e32 v5, v3
.LBB66_166:
	s_or_b64 exec, exec, s[40:41]
	v_mov_b32_dpp v67, v3 row_shr:4 row_mask:0xf bank_mask:0xf
	v_mov_b32_dpp v68, v4 row_shr:4 row_mask:0xf bank_mask:0xf
	v_mov_b32_dpp v69, v65 row_shr:4 row_mask:0xf bank_mask:0xf
	v_cmp_lt_u32_e64 s[36:37], 3, v66
	s_and_saveexec_b64 s[40:41], s[36:37]
	s_cbranch_execz .LBB66_168
; %bb.167:
	v_and_b32_e32 v3, 1, v64
	v_cmp_eq_u32_e64 s[36:37], 1, v3
	v_and_b32_e32 v3, 1, v69
	v_cmp_eq_u32_e64 s[38:39], 1, v3
	s_or_b64 s[38:39], s[36:37], s[38:39]
	v_cmp_eq_u16_e64 s[36:37], 0, v64
	v_cndmask_b32_e64 v3, 0, v67, s[36:37]
	v_cndmask_b32_e64 v4, 0, v68, s[36:37]
	v_add_co_u32_e64 v3, s[36:37], v3, v5
	v_addc_co_u32_e64 v4, s[36:37], v4, v6, s[36:37]
	v_cndmask_b32_e64 v69, 0, 1, s[38:39]
	v_mov_b32_e32 v6, v4
	v_cndmask_b32_e64 v65, 0, 1, s[38:39]
	v_mov_b32_e32 v64, v69
	v_mov_b32_e32 v5, v3
.LBB66_168:
	;; [unrolled: 24-line block ×3, first 2 shown]
	s_or_b64 exec, exec, s[40:41]
	v_and_b32_e32 v69, 16, v63
	v_mov_b32_dpp v66, v3 row_bcast:15 row_mask:0xf bank_mask:0xf
	v_mov_b32_dpp v67, v4 row_bcast:15 row_mask:0xf bank_mask:0xf
	;; [unrolled: 1-line block ×3, first 2 shown]
	v_cmp_ne_u32_e64 s[36:37], 0, v69
	s_and_saveexec_b64 s[40:41], s[36:37]
	s_cbranch_execz .LBB66_172
; %bb.171:
	v_and_b32_e32 v3, 1, v64
	v_cmp_eq_u32_e64 s[36:37], 1, v3
	v_and_b32_e32 v3, 1, v68
	v_cmp_eq_u32_e64 s[38:39], 1, v3
	s_or_b64 s[38:39], s[36:37], s[38:39]
	v_cmp_eq_u16_e64 s[36:37], 0, v64
	v_cndmask_b32_e64 v3, 0, v66, s[36:37]
	v_cndmask_b32_e64 v4, 0, v67, s[36:37]
	v_add_co_u32_e64 v3, s[36:37], v3, v5
	v_addc_co_u32_e64 v4, s[36:37], v4, v6, s[36:37]
	v_cndmask_b32_e64 v68, 0, 1, s[38:39]
	v_mov_b32_e32 v6, v4
	v_cndmask_b32_e64 v65, 0, 1, s[38:39]
	v_mov_b32_e32 v64, v68
	v_mov_b32_e32 v5, v3
.LBB66_172:
	s_or_b64 exec, exec, s[40:41]
	v_mov_b32_dpp v66, v3 row_bcast:31 row_mask:0xf bank_mask:0xf
	v_mov_b32_dpp v67, v4 row_bcast:31 row_mask:0xf bank_mask:0xf
	;; [unrolled: 1-line block ×3, first 2 shown]
	v_cmp_lt_u32_e64 s[36:37], 31, v63
	s_and_saveexec_b64 s[40:41], s[36:37]
	s_cbranch_execz .LBB66_174
; %bb.173:
	v_and_b32_e32 v3, 1, v64
	v_cmp_eq_u32_e64 s[36:37], 1, v3
	v_and_b32_e32 v3, 1, v65
	v_cmp_eq_u32_e64 s[38:39], 1, v3
	s_or_b64 s[36:37], s[36:37], s[38:39]
	v_cndmask_b32_e64 v65, 0, 1, s[36:37]
	v_cmp_eq_u16_e64 s[36:37], 0, v64
	v_cndmask_b32_e64 v3, 0, v66, s[36:37]
	v_cndmask_b32_e64 v4, 0, v67, s[36:37]
	v_add_co_u32_e64 v3, s[36:37], v3, v5
	v_addc_co_u32_e64 v4, s[36:37], v4, v6, s[36:37]
	v_mov_b32_e32 v6, v4
	v_mov_b32_e32 v64, v65
	;; [unrolled: 1-line block ×3, first 2 shown]
.LBB66_174:
	s_or_b64 exec, exec, s[40:41]
	v_cmp_eq_u32_e64 s[36:37], 63, v0
	s_and_saveexec_b64 s[38:39], s[36:37]
	s_cbranch_execz .LBB66_176
; %bb.175:
	v_mov_b32_e32 v65, 0
	ds_write_b64 v65, v[5:6]
	ds_write_b8 v65, v64 offset:8
.LBB66_176:
	s_or_b64 exec, exec, s[38:39]
	v_add_u32_e32 v5, -1, v63
	v_and_b32_e32 v6, 64, v63
	v_cmp_lt_i32_e64 s[36:37], v5, v6
	v_cndmask_b32_e64 v5, v5, v63, s[36:37]
	v_lshlrev_b32_e32 v5, 2, v5
	ds_bpermute_b32 v3, v5, v3
	ds_bpermute_b32 v4, v5, v4
	s_waitcnt lgkmcnt(0)
	; wave barrier
	s_and_saveexec_b64 s[36:37], s[2:3]
	s_cbranch_execz .LBB66_178
; %bb.177:
	v_mov_b32_e32 v5, 0
	v_cmp_eq_u16_sdwa s[2:3], v83, v5 src0_sel:BYTE_0 src1_sel:DWORD
	v_cndmask_b32_e64 v3, 0, v3, s[2:3]
	v_cndmask_b32_e64 v4, 0, v4, s[2:3]
	v_add_co_u32_e64 v1, s[2:3], v3, v1
	v_addc_co_u32_e64 v2, s[2:3], v4, v2, s[2:3]
	v_cndmask_b32_e64 v4, 0, v1, s[6:7]
	v_cndmask_b32_e64 v3, 0, v2, s[6:7]
	v_add_co_u32_e64 v31, s[2:3], v4, v9
	v_addc_co_u32_e64 v32, s[2:3], v3, v10, s[2:3]
	;; [unrolled: 4-line block ×15, first 2 shown]
.LBB66_178:
	s_or_b64 exec, exec, s[36:37]
	s_and_saveexec_b64 s[2:3], vcc
	s_cbranch_execz .LBB66_180
; %bb.179:
	v_mov_b32_e32 v5, 0
	ds_read_b64 v[3:4], v5
	ds_read_u8 v6, v5 offset:8
	v_mov_b32_e32 v7, 2
	s_waitcnt lgkmcnt(1)
	global_store_dwordx2 v5, v[3:4], s[46:47] offset:1024
	s_waitcnt lgkmcnt(0)
	global_store_byte v5, v6, s[46:47] offset:1032
	s_waitcnt vmcnt(0)
	buffer_wbinvl1_vol
	global_store_byte v5, v7, s[48:49] offset:64
.LBB66_180:
	s_or_b64 exec, exec, s[2:3]
	v_mov_b32_e32 v64, v2
	v_mov_b32_e32 v63, v1
.LBB66_181:
	s_load_dwordx2 s[2:3], s[4:5], 0x18
	s_waitcnt lgkmcnt(0)
	s_add_u32 s2, s2, s52
	s_addc_u32 s3, s3, s53
	s_and_b64 vcc, exec, s[0:1]
	s_cbranch_vccz .LBB66_235
; %bb.182:
	s_add_i32 s33, s33, s50
	v_mul_u32_u24_e32 v1, 15, v0
	v_cmp_gt_u32_e32 vcc, s33, v1
	s_and_saveexec_b64 s[0:1], vcc
	s_cbranch_execz .LBB66_206
; %bb.183:
	v_add_u32_e32 v2, 1, v1
	v_cmp_gt_u32_e32 vcc, s33, v2
	s_and_saveexec_b64 s[4:5], vcc
	s_cbranch_execz .LBB66_205
; %bb.184:
	v_add_u32_e32 v2, 2, v1
	;; [unrolled: 5-line block ×11, first 2 shown]
	v_cmp_gt_u32_e32 vcc, s33, v2
	s_and_saveexec_b64 s[24:25], vcc
; %bb.194:
	v_add_u32_e32 v2, 12, v1
	v_cmp_gt_u32_e32 vcc, s33, v2
	s_and_saveexec_b64 s[26:27], vcc
	s_or_b64 exec, exec, s[26:27]
; %bb.195:
	s_or_b64 exec, exec, s[24:25]
.LBB66_196:
	s_or_b64 exec, exec, s[22:23]
.LBB66_197:
	s_or_b64 exec, exec, s[20:21]
.LBB66_198:
	s_or_b64 exec, exec, s[18:19]
.LBB66_199:
	s_or_b64 exec, exec, s[16:17]
.LBB66_200:
	s_or_b64 exec, exec, s[14:15]
.LBB66_201:
	s_or_b64 exec, exec, s[12:13]
.LBB66_202:
	s_or_b64 exec, exec, s[10:11]
.LBB66_203:
	s_or_b64 exec, exec, s[8:9]
.LBB66_204:
	s_or_b64 exec, exec, s[6:7]
.LBB66_205:
	s_or_b64 exec, exec, s[4:5]
.LBB66_206:
	s_or_b64 exec, exec, s[0:1]
	v_lshlrev_b32_e32 v53, 3, v1
	s_movk_i32 s0, 0xff90
	v_mad_i32_i24 v1, v0, s0, v53
	; wave barrier
	ds_write2_b64 v53, v[63:64], v[31:32] offset1:1
	ds_write2_b64 v53, v[33:34], v[35:36] offset0:2 offset1:3
	ds_write2_b64 v53, v[37:38], v[39:40] offset0:4 offset1:5
	;; [unrolled: 1-line block ×6, first 2 shown]
	ds_write_b64 v53, v[61:62] offset:112
	s_waitcnt lgkmcnt(0)
	; wave barrier
	ds_read2st64_b64 v[25:28], v1 offset0:1 offset1:2
	ds_read2st64_b64 v[21:24], v1 offset0:3 offset1:4
	;; [unrolled: 1-line block ×7, first 2 shown]
	v_lshlrev_b32_e32 v29, 3, v0
	v_mov_b32_e32 v30, s3
	v_add_co_u32_e32 v29, vcc, s2, v29
	v_addc_co_u32_e32 v30, vcc, 0, v30, vcc
	v_cmp_gt_u32_e32 vcc, s33, v0
	s_and_saveexec_b64 s[0:1], vcc
	s_cbranch_execz .LBB66_208
; %bb.207:
	v_mul_i32_i24_e32 v54, 0xffffff90, v0
	v_add_u32_e32 v53, v53, v54
	ds_read_b64 v[53:54], v53
	s_waitcnt lgkmcnt(0)
	global_store_dwordx2 v[29:30], v[53:54], off
.LBB66_208:
	s_or_b64 exec, exec, s[0:1]
	v_or_b32_e32 v53, 64, v0
	v_cmp_gt_u32_e32 vcc, s33, v53
	s_and_saveexec_b64 s[0:1], vcc
	s_cbranch_execz .LBB66_210
; %bb.209:
	s_waitcnt lgkmcnt(6)
	global_store_dwordx2 v[29:30], v[25:26], off offset:512
.LBB66_210:
	s_or_b64 exec, exec, s[0:1]
	s_waitcnt lgkmcnt(6)
	v_or_b32_e32 v25, 0x80, v0
	v_cmp_gt_u32_e32 vcc, s33, v25
	s_and_saveexec_b64 s[0:1], vcc
	s_cbranch_execz .LBB66_212
; %bb.211:
	global_store_dwordx2 v[29:30], v[27:28], off offset:1024
.LBB66_212:
	s_or_b64 exec, exec, s[0:1]
	v_or_b32_e32 v25, 0xc0, v0
	v_cmp_gt_u32_e32 vcc, s33, v25
	s_and_saveexec_b64 s[0:1], vcc
	s_cbranch_execz .LBB66_214
; %bb.213:
	s_waitcnt lgkmcnt(5)
	global_store_dwordx2 v[29:30], v[21:22], off offset:1536
.LBB66_214:
	s_or_b64 exec, exec, s[0:1]
	s_waitcnt lgkmcnt(5)
	v_or_b32_e32 v21, 0x100, v0
	v_cmp_gt_u32_e32 vcc, s33, v21
	s_and_saveexec_b64 s[0:1], vcc
	s_cbranch_execz .LBB66_216
; %bb.215:
	global_store_dwordx2 v[29:30], v[23:24], off offset:2048
.LBB66_216:
	;; [unrolled: 18-line block ×3, first 2 shown]
	s_or_b64 exec, exec, s[0:1]
	v_or_b32_e32 v17, 0x1c0, v0
	v_cmp_gt_u32_e32 vcc, s33, v17
	s_and_saveexec_b64 s[0:1], vcc
	s_cbranch_execz .LBB66_222
; %bb.221:
	s_waitcnt lgkmcnt(3)
	global_store_dwordx2 v[29:30], v[13:14], off offset:3584
.LBB66_222:
	s_or_b64 exec, exec, s[0:1]
	s_waitcnt lgkmcnt(3)
	v_or_b32_e32 v13, 0x200, v0
	v_cmp_gt_u32_e32 vcc, s33, v13
	s_and_saveexec_b64 s[0:1], vcc
	s_cbranch_execz .LBB66_224
; %bb.223:
	v_add_co_u32_e32 v13, vcc, 0x1000, v29
	v_addc_co_u32_e32 v14, vcc, 0, v30, vcc
	global_store_dwordx2 v[13:14], v[15:16], off
.LBB66_224:
	s_or_b64 exec, exec, s[0:1]
	v_or_b32_e32 v13, 0x240, v0
	v_cmp_gt_u32_e32 vcc, s33, v13
	s_and_saveexec_b64 s[0:1], vcc
	s_cbranch_execz .LBB66_226
; %bb.225:
	v_add_co_u32_e32 v13, vcc, 0x1000, v29
	v_addc_co_u32_e32 v14, vcc, 0, v30, vcc
	s_waitcnt lgkmcnt(2)
	global_store_dwordx2 v[13:14], v[9:10], off offset:512
.LBB66_226:
	s_or_b64 exec, exec, s[0:1]
	s_waitcnt lgkmcnt(2)
	v_or_b32_e32 v9, 0x280, v0
	v_cmp_gt_u32_e32 vcc, s33, v9
	s_and_saveexec_b64 s[0:1], vcc
	s_cbranch_execz .LBB66_228
; %bb.227:
	v_add_co_u32_e32 v9, vcc, 0x1000, v29
	v_addc_co_u32_e32 v10, vcc, 0, v30, vcc
	global_store_dwordx2 v[9:10], v[11:12], off offset:1024
.LBB66_228:
	s_or_b64 exec, exec, s[0:1]
	v_or_b32_e32 v9, 0x2c0, v0
	v_cmp_gt_u32_e32 vcc, s33, v9
	s_and_saveexec_b64 s[0:1], vcc
	s_cbranch_execz .LBB66_230
; %bb.229:
	v_add_co_u32_e32 v9, vcc, 0x1000, v29
	v_addc_co_u32_e32 v10, vcc, 0, v30, vcc
	s_waitcnt lgkmcnt(1)
	global_store_dwordx2 v[9:10], v[5:6], off offset:1536
.LBB66_230:
	s_or_b64 exec, exec, s[0:1]
	s_waitcnt lgkmcnt(1)
	v_or_b32_e32 v5, 0x300, v0
	v_cmp_gt_u32_e32 vcc, s33, v5
	s_and_saveexec_b64 s[0:1], vcc
	s_cbranch_execz .LBB66_232
; %bb.231:
	v_add_co_u32_e32 v5, vcc, 0x1000, v29
	v_addc_co_u32_e32 v6, vcc, 0, v30, vcc
	global_store_dwordx2 v[5:6], v[7:8], off offset:2048
.LBB66_232:
	s_or_b64 exec, exec, s[0:1]
	v_or_b32_e32 v5, 0x340, v0
	v_cmp_gt_u32_e32 vcc, s33, v5
	s_and_saveexec_b64 s[0:1], vcc
	s_cbranch_execz .LBB66_234
; %bb.233:
	v_add_co_u32_e32 v5, vcc, 0x1000, v29
	v_addc_co_u32_e32 v6, vcc, 0, v30, vcc
	s_waitcnt lgkmcnt(0)
	global_store_dwordx2 v[5:6], v[1:2], off offset:2560
.LBB66_234:
	s_or_b64 exec, exec, s[0:1]
	s_waitcnt lgkmcnt(0)
	v_or_b32_e32 v1, 0x380, v0
	v_cmp_gt_u32_e64 s[0:1], s33, v1
	s_branch .LBB66_237
.LBB66_235:
	s_mov_b64 s[0:1], 0
                                        ; implicit-def: $vgpr3_vgpr4
	s_cbranch_execz .LBB66_237
; %bb.236:
	v_mul_u32_u24_e32 v1, 0x78, v0
	; wave barrier
	s_movk_i32 s4, 0x78
	ds_write2_b64 v1, v[63:64], v[31:32] offset1:1
	ds_write2_b64 v1, v[33:34], v[35:36] offset0:2 offset1:3
	ds_write2_b64 v1, v[37:38], v[39:40] offset0:4 offset1:5
	;; [unrolled: 1-line block ×6, first 2 shown]
	ds_write_b64 v1, v[61:62] offset:112
	v_mul_i32_i24_e32 v1, 0xffffff90, v0
	v_mad_u32_u24 v1, v0, s4, v1
	s_waitcnt lgkmcnt(0)
	; wave barrier
	ds_read2st64_b64 v[5:8], v1 offset1:1
	ds_read2st64_b64 v[9:12], v1 offset0:2 offset1:3
	ds_read2st64_b64 v[13:16], v1 offset0:4 offset1:5
	;; [unrolled: 1-line block ×6, first 2 shown]
	ds_read_b64 v[3:4], v1 offset:7168
	v_lshlrev_b32_e32 v1, 3, v0
	v_mov_b32_e32 v2, s3
	v_add_co_u32_e32 v33, vcc, s2, v1
	v_addc_co_u32_e32 v2, vcc, 0, v2, vcc
	s_waitcnt lgkmcnt(7)
	global_store_dwordx2 v1, v[5:6], s[2:3]
	global_store_dwordx2 v1, v[7:8], s[2:3] offset:512
	s_waitcnt lgkmcnt(6)
	global_store_dwordx2 v1, v[9:10], s[2:3] offset:1024
	global_store_dwordx2 v1, v[11:12], s[2:3] offset:1536
	s_waitcnt lgkmcnt(5)
	global_store_dwordx2 v1, v[13:14], s[2:3] offset:2048
	;; [unrolled: 3-line block ×3, first 2 shown]
	global_store_dwordx2 v1, v[19:20], s[2:3] offset:3584
	v_add_co_u32_e32 v1, vcc, 0x1000, v33
	v_addc_co_u32_e32 v2, vcc, 0, v2, vcc
	s_or_b64 s[0:1], s[0:1], exec
	s_waitcnt lgkmcnt(3)
	global_store_dwordx2 v[1:2], v[21:22], off
	global_store_dwordx2 v[1:2], v[23:24], off offset:512
	s_waitcnt lgkmcnt(2)
	global_store_dwordx2 v[1:2], v[25:26], off offset:1024
	global_store_dwordx2 v[1:2], v[27:28], off offset:1536
	s_waitcnt lgkmcnt(1)
	global_store_dwordx2 v[1:2], v[29:30], off offset:2048
	global_store_dwordx2 v[1:2], v[31:32], off offset:2560
.LBB66_237:
	s_and_saveexec_b64 s[4:5], s[0:1]
	s_cbranch_execz .LBB66_239
; %bb.238:
	v_lshlrev_b32_e32 v0, 3, v0
	v_mov_b32_e32 v1, s3
	v_add_co_u32_e32 v0, vcc, s2, v0
	v_addc_co_u32_e32 v1, vcc, 0, v1, vcc
	v_add_co_u32_e32 v0, vcc, 0x1000, v0
	v_addc_co_u32_e32 v1, vcc, 0, v1, vcc
	s_waitcnt lgkmcnt(0)
	global_store_dwordx2 v[0:1], v[3:4], off offset:3072
	s_endpgm
.LBB66_239:
	s_endpgm
	.section	.rodata,"a",@progbits
	.p2align	6, 0x0
	.amdhsa_kernel _ZN7rocprim6detail25device_scan_by_key_kernelILNS0_25lookback_scan_determinismE0ELb0ENS0_26wrapped_scan_by_key_configINS_14default_configEimEEPiN6hipcub22TransformInputIteratorImNS7_6CastOpImEEPmlEESB_mNS7_8EqualityENS7_3SumENS0_19lookback_scan_stateINS_5tupleIJmbEEELb0ELb0EEEmEEvT2_T3_T4_T5_T6_T7_T8_mmmPKNSG_IJT9_bEEE
		.amdhsa_group_segment_fixed_size 7680
		.amdhsa_private_segment_fixed_size 0
		.amdhsa_kernarg_size 104
		.amdhsa_user_sgpr_count 6
		.amdhsa_user_sgpr_private_segment_buffer 1
		.amdhsa_user_sgpr_dispatch_ptr 0
		.amdhsa_user_sgpr_queue_ptr 0
		.amdhsa_user_sgpr_kernarg_segment_ptr 1
		.amdhsa_user_sgpr_dispatch_id 0
		.amdhsa_user_sgpr_flat_scratch_init 0
		.amdhsa_user_sgpr_private_segment_size 0
		.amdhsa_uses_dynamic_stack 0
		.amdhsa_system_sgpr_private_segment_wavefront_offset 0
		.amdhsa_system_sgpr_workgroup_id_x 1
		.amdhsa_system_sgpr_workgroup_id_y 0
		.amdhsa_system_sgpr_workgroup_id_z 0
		.amdhsa_system_sgpr_workgroup_info 0
		.amdhsa_system_vgpr_workitem_id 0
		.amdhsa_next_free_vgpr 103
		.amdhsa_next_free_sgpr 98
		.amdhsa_reserve_vcc 1
		.amdhsa_reserve_flat_scratch 0
		.amdhsa_float_round_mode_32 0
		.amdhsa_float_round_mode_16_64 0
		.amdhsa_float_denorm_mode_32 3
		.amdhsa_float_denorm_mode_16_64 3
		.amdhsa_dx10_clamp 1
		.amdhsa_ieee_mode 1
		.amdhsa_fp16_overflow 0
		.amdhsa_exception_fp_ieee_invalid_op 0
		.amdhsa_exception_fp_denorm_src 0
		.amdhsa_exception_fp_ieee_div_zero 0
		.amdhsa_exception_fp_ieee_overflow 0
		.amdhsa_exception_fp_ieee_underflow 0
		.amdhsa_exception_fp_ieee_inexact 0
		.amdhsa_exception_int_div_zero 0
	.end_amdhsa_kernel
	.section	.text._ZN7rocprim6detail25device_scan_by_key_kernelILNS0_25lookback_scan_determinismE0ELb0ENS0_26wrapped_scan_by_key_configINS_14default_configEimEEPiN6hipcub22TransformInputIteratorImNS7_6CastOpImEEPmlEESB_mNS7_8EqualityENS7_3SumENS0_19lookback_scan_stateINS_5tupleIJmbEEELb0ELb0EEEmEEvT2_T3_T4_T5_T6_T7_T8_mmmPKNSG_IJT9_bEEE,"axG",@progbits,_ZN7rocprim6detail25device_scan_by_key_kernelILNS0_25lookback_scan_determinismE0ELb0ENS0_26wrapped_scan_by_key_configINS_14default_configEimEEPiN6hipcub22TransformInputIteratorImNS7_6CastOpImEEPmlEESB_mNS7_8EqualityENS7_3SumENS0_19lookback_scan_stateINS_5tupleIJmbEEELb0ELb0EEEmEEvT2_T3_T4_T5_T6_T7_T8_mmmPKNSG_IJT9_bEEE,comdat
.Lfunc_end66:
	.size	_ZN7rocprim6detail25device_scan_by_key_kernelILNS0_25lookback_scan_determinismE0ELb0ENS0_26wrapped_scan_by_key_configINS_14default_configEimEEPiN6hipcub22TransformInputIteratorImNS7_6CastOpImEEPmlEESB_mNS7_8EqualityENS7_3SumENS0_19lookback_scan_stateINS_5tupleIJmbEEELb0ELb0EEEmEEvT2_T3_T4_T5_T6_T7_T8_mmmPKNSG_IJT9_bEEE, .Lfunc_end66-_ZN7rocprim6detail25device_scan_by_key_kernelILNS0_25lookback_scan_determinismE0ELb0ENS0_26wrapped_scan_by_key_configINS_14default_configEimEEPiN6hipcub22TransformInputIteratorImNS7_6CastOpImEEPmlEESB_mNS7_8EqualityENS7_3SumENS0_19lookback_scan_stateINS_5tupleIJmbEEELb0ELb0EEEmEEvT2_T3_T4_T5_T6_T7_T8_mmmPKNSG_IJT9_bEEE
                                        ; -- End function
	.set _ZN7rocprim6detail25device_scan_by_key_kernelILNS0_25lookback_scan_determinismE0ELb0ENS0_26wrapped_scan_by_key_configINS_14default_configEimEEPiN6hipcub22TransformInputIteratorImNS7_6CastOpImEEPmlEESB_mNS7_8EqualityENS7_3SumENS0_19lookback_scan_stateINS_5tupleIJmbEEELb0ELb0EEEmEEvT2_T3_T4_T5_T6_T7_T8_mmmPKNSG_IJT9_bEEE.num_vgpr, 103
	.set _ZN7rocprim6detail25device_scan_by_key_kernelILNS0_25lookback_scan_determinismE0ELb0ENS0_26wrapped_scan_by_key_configINS_14default_configEimEEPiN6hipcub22TransformInputIteratorImNS7_6CastOpImEEPmlEESB_mNS7_8EqualityENS7_3SumENS0_19lookback_scan_stateINS_5tupleIJmbEEELb0ELb0EEEmEEvT2_T3_T4_T5_T6_T7_T8_mmmPKNSG_IJT9_bEEE.num_agpr, 0
	.set _ZN7rocprim6detail25device_scan_by_key_kernelILNS0_25lookback_scan_determinismE0ELb0ENS0_26wrapped_scan_by_key_configINS_14default_configEimEEPiN6hipcub22TransformInputIteratorImNS7_6CastOpImEEPmlEESB_mNS7_8EqualityENS7_3SumENS0_19lookback_scan_stateINS_5tupleIJmbEEELb0ELb0EEEmEEvT2_T3_T4_T5_T6_T7_T8_mmmPKNSG_IJT9_bEEE.numbered_sgpr, 78
	.set _ZN7rocprim6detail25device_scan_by_key_kernelILNS0_25lookback_scan_determinismE0ELb0ENS0_26wrapped_scan_by_key_configINS_14default_configEimEEPiN6hipcub22TransformInputIteratorImNS7_6CastOpImEEPmlEESB_mNS7_8EqualityENS7_3SumENS0_19lookback_scan_stateINS_5tupleIJmbEEELb0ELb0EEEmEEvT2_T3_T4_T5_T6_T7_T8_mmmPKNSG_IJT9_bEEE.num_named_barrier, 0
	.set _ZN7rocprim6detail25device_scan_by_key_kernelILNS0_25lookback_scan_determinismE0ELb0ENS0_26wrapped_scan_by_key_configINS_14default_configEimEEPiN6hipcub22TransformInputIteratorImNS7_6CastOpImEEPmlEESB_mNS7_8EqualityENS7_3SumENS0_19lookback_scan_stateINS_5tupleIJmbEEELb0ELb0EEEmEEvT2_T3_T4_T5_T6_T7_T8_mmmPKNSG_IJT9_bEEE.private_seg_size, 0
	.set _ZN7rocprim6detail25device_scan_by_key_kernelILNS0_25lookback_scan_determinismE0ELb0ENS0_26wrapped_scan_by_key_configINS_14default_configEimEEPiN6hipcub22TransformInputIteratorImNS7_6CastOpImEEPmlEESB_mNS7_8EqualityENS7_3SumENS0_19lookback_scan_stateINS_5tupleIJmbEEELb0ELb0EEEmEEvT2_T3_T4_T5_T6_T7_T8_mmmPKNSG_IJT9_bEEE.uses_vcc, 1
	.set _ZN7rocprim6detail25device_scan_by_key_kernelILNS0_25lookback_scan_determinismE0ELb0ENS0_26wrapped_scan_by_key_configINS_14default_configEimEEPiN6hipcub22TransformInputIteratorImNS7_6CastOpImEEPmlEESB_mNS7_8EqualityENS7_3SumENS0_19lookback_scan_stateINS_5tupleIJmbEEELb0ELb0EEEmEEvT2_T3_T4_T5_T6_T7_T8_mmmPKNSG_IJT9_bEEE.uses_flat_scratch, 0
	.set _ZN7rocprim6detail25device_scan_by_key_kernelILNS0_25lookback_scan_determinismE0ELb0ENS0_26wrapped_scan_by_key_configINS_14default_configEimEEPiN6hipcub22TransformInputIteratorImNS7_6CastOpImEEPmlEESB_mNS7_8EqualityENS7_3SumENS0_19lookback_scan_stateINS_5tupleIJmbEEELb0ELb0EEEmEEvT2_T3_T4_T5_T6_T7_T8_mmmPKNSG_IJT9_bEEE.has_dyn_sized_stack, 0
	.set _ZN7rocprim6detail25device_scan_by_key_kernelILNS0_25lookback_scan_determinismE0ELb0ENS0_26wrapped_scan_by_key_configINS_14default_configEimEEPiN6hipcub22TransformInputIteratorImNS7_6CastOpImEEPmlEESB_mNS7_8EqualityENS7_3SumENS0_19lookback_scan_stateINS_5tupleIJmbEEELb0ELb0EEEmEEvT2_T3_T4_T5_T6_T7_T8_mmmPKNSG_IJT9_bEEE.has_recursion, 0
	.set _ZN7rocprim6detail25device_scan_by_key_kernelILNS0_25lookback_scan_determinismE0ELb0ENS0_26wrapped_scan_by_key_configINS_14default_configEimEEPiN6hipcub22TransformInputIteratorImNS7_6CastOpImEEPmlEESB_mNS7_8EqualityENS7_3SumENS0_19lookback_scan_stateINS_5tupleIJmbEEELb0ELb0EEEmEEvT2_T3_T4_T5_T6_T7_T8_mmmPKNSG_IJT9_bEEE.has_indirect_call, 0
	.section	.AMDGPU.csdata,"",@progbits
; Kernel info:
; codeLenInByte = 14316
; TotalNumSgprs: 82
; NumVgprs: 103
; ScratchSize: 0
; MemoryBound: 0
; FloatMode: 240
; IeeeMode: 1
; LDSByteSize: 7680 bytes/workgroup (compile time only)
; SGPRBlocks: 12
; VGPRBlocks: 25
; NumSGPRsForWavesPerEU: 102
; NumVGPRsForWavesPerEU: 103
; Occupancy: 2
; WaveLimiterHint : 1
; COMPUTE_PGM_RSRC2:SCRATCH_EN: 0
; COMPUTE_PGM_RSRC2:USER_SGPR: 6
; COMPUTE_PGM_RSRC2:TRAP_HANDLER: 0
; COMPUTE_PGM_RSRC2:TGID_X_EN: 1
; COMPUTE_PGM_RSRC2:TGID_Y_EN: 0
; COMPUTE_PGM_RSRC2:TGID_Z_EN: 0
; COMPUTE_PGM_RSRC2:TIDIG_COMP_CNT: 0
	.section	.text._ZN7rocprim6detail31init_lookback_scan_state_kernelINS0_19lookback_scan_stateINS_5tupleIJybEEELb1ELb0EEEEEvT_jjPNS6_10value_typeE,"axG",@progbits,_ZN7rocprim6detail31init_lookback_scan_state_kernelINS0_19lookback_scan_stateINS_5tupleIJybEEELb1ELb0EEEEEvT_jjPNS6_10value_typeE,comdat
	.protected	_ZN7rocprim6detail31init_lookback_scan_state_kernelINS0_19lookback_scan_stateINS_5tupleIJybEEELb1ELb0EEEEEvT_jjPNS6_10value_typeE ; -- Begin function _ZN7rocprim6detail31init_lookback_scan_state_kernelINS0_19lookback_scan_stateINS_5tupleIJybEEELb1ELb0EEEEEvT_jjPNS6_10value_typeE
	.globl	_ZN7rocprim6detail31init_lookback_scan_state_kernelINS0_19lookback_scan_stateINS_5tupleIJybEEELb1ELb0EEEEEvT_jjPNS6_10value_typeE
	.p2align	8
	.type	_ZN7rocprim6detail31init_lookback_scan_state_kernelINS0_19lookback_scan_stateINS_5tupleIJybEEELb1ELb0EEEEEvT_jjPNS6_10value_typeE,@function
_ZN7rocprim6detail31init_lookback_scan_state_kernelINS0_19lookback_scan_stateINS_5tupleIJybEEELb1ELb0EEEEEvT_jjPNS6_10value_typeE: ; @_ZN7rocprim6detail31init_lookback_scan_state_kernelINS0_19lookback_scan_stateINS_5tupleIJybEEELb1ELb0EEEEEvT_jjPNS6_10value_typeE
; %bb.0:
	s_load_dword s7, s[4:5], 0x34
	s_load_dwordx2 s[12:13], s[4:5], 0x20
	s_load_dwordx4 s[0:3], s[4:5], 0x10
	s_waitcnt lgkmcnt(0)
	s_and_b32 s7, s7, 0xffff
	s_mul_i32 s6, s6, s7
	s_cmp_eq_u64 s[12:13], 0
	v_add_u32_e32 v0, s6, v0
	s_cbranch_scc1 .LBB67_9
; %bb.1:
	s_cmp_lt_u32 s3, s2
	s_cselect_b32 s6, s3, 0
	s_mov_b32 s15, 0
	v_cmp_eq_u32_e32 vcc, s6, v0
	s_and_saveexec_b64 s[6:7], vcc
	s_cbranch_execz .LBB67_8
; %bb.2:
	s_add_i32 s14, s3, 64
	v_mov_b32_e32 v1, s14
	global_load_ubyte v2, v1, s[0:1] glc
	s_load_dwordx4 s[8:11], s[4:5], 0x0
	v_mov_b32_e32 v1, 0
	s_add_u32 s4, s0, s14
	s_addc_u32 s5, s1, 0
	s_waitcnt vmcnt(0)
	v_cmp_ne_u32_sdwa s[16:17], v2, v1 src0_sel:WORD_0 src1_sel:DWORD
	s_and_b64 vcc, exec, s[16:17]
	v_readfirstlane_b32 s16, v2
	s_cbranch_vccnz .LBB67_7
; %bb.3:
	s_mov_b32 s3, 1
.LBB67_4:                               ; =>This Loop Header: Depth=1
                                        ;     Child Loop BB67_5 Depth 2
	s_mov_b32 s16, s3
.LBB67_5:                               ;   Parent Loop BB67_4 Depth=1
                                        ; =>  This Inner Loop Header: Depth=2
	s_add_i32 s16, s16, -1
	s_cmp_eq_u32 s16, 0
	s_sleep 1
	s_cbranch_scc0 .LBB67_5
; %bb.6:                                ;   in Loop: Header=BB67_4 Depth=1
	global_load_ubyte v2, v1, s[4:5] glc
	s_cmp_lt_u32 s3, 32
	s_cselect_b64 s[16:17], -1, 0
	s_cmp_lg_u64 s[16:17], 0
	s_addc_u32 s3, s3, 0
	s_waitcnt vmcnt(0)
	v_cmp_ne_u32_sdwa s[16:17], v2, v1 src0_sel:WORD_0 src1_sel:DWORD
	s_and_b64 vcc, exec, s[16:17]
	v_readfirstlane_b32 s16, v2
	s_cbranch_vccz .LBB67_4
.LBB67_7:
	s_and_b32 s3, 0xffff, s16
	s_cmp_eq_u32 s3, 1
	s_waitcnt lgkmcnt(0)
	s_cselect_b32 s3, s9, s11
	s_cselect_b32 s8, s8, s10
	s_lshl_b64 s[4:5], s[14:15], 4
	s_add_u32 s4, s8, s4
	s_addc_u32 s5, s3, s5
	v_mov_b32_e32 v3, 0
	buffer_wbinvl1_vol
	global_load_dwordx2 v[1:2], v3, s[4:5]
	global_load_ubyte v4, v3, s[4:5] offset:8
	s_waitcnt vmcnt(1)
	global_store_dwordx2 v3, v[1:2], s[12:13]
	s_waitcnt vmcnt(1)
	global_store_byte v3, v4, s[12:13] offset:8
.LBB67_8:
	s_or_b64 exec, exec, s[6:7]
.LBB67_9:
	v_cmp_gt_u32_e32 vcc, s2, v0
	s_and_saveexec_b64 s[2:3], vcc
	s_cbranch_execnz .LBB67_12
; %bb.10:
	s_or_b64 exec, exec, s[2:3]
	v_cmp_gt_u32_e32 vcc, 64, v0
	s_and_saveexec_b64 s[2:3], vcc
	s_cbranch_execnz .LBB67_13
.LBB67_11:
	s_endpgm
.LBB67_12:
	v_add_u32_e32 v1, 64, v0
	v_mov_b32_e32 v2, 0
	global_store_byte v1, v2, s[0:1]
	s_or_b64 exec, exec, s[2:3]
	v_cmp_gt_u32_e32 vcc, 64, v0
	s_and_saveexec_b64 s[2:3], vcc
	s_cbranch_execz .LBB67_11
.LBB67_13:
	v_mov_b32_e32 v1, 0xff
	global_store_byte v0, v1, s[0:1]
	s_endpgm
	.section	.rodata,"a",@progbits
	.p2align	6, 0x0
	.amdhsa_kernel _ZN7rocprim6detail31init_lookback_scan_state_kernelINS0_19lookback_scan_stateINS_5tupleIJybEEELb1ELb0EEEEEvT_jjPNS6_10value_typeE
		.amdhsa_group_segment_fixed_size 0
		.amdhsa_private_segment_fixed_size 0
		.amdhsa_kernarg_size 296
		.amdhsa_user_sgpr_count 6
		.amdhsa_user_sgpr_private_segment_buffer 1
		.amdhsa_user_sgpr_dispatch_ptr 0
		.amdhsa_user_sgpr_queue_ptr 0
		.amdhsa_user_sgpr_kernarg_segment_ptr 1
		.amdhsa_user_sgpr_dispatch_id 0
		.amdhsa_user_sgpr_flat_scratch_init 0
		.amdhsa_user_sgpr_private_segment_size 0
		.amdhsa_uses_dynamic_stack 0
		.amdhsa_system_sgpr_private_segment_wavefront_offset 0
		.amdhsa_system_sgpr_workgroup_id_x 1
		.amdhsa_system_sgpr_workgroup_id_y 0
		.amdhsa_system_sgpr_workgroup_id_z 0
		.amdhsa_system_sgpr_workgroup_info 0
		.amdhsa_system_vgpr_workitem_id 0
		.amdhsa_next_free_vgpr 5
		.amdhsa_next_free_sgpr 18
		.amdhsa_reserve_vcc 1
		.amdhsa_reserve_flat_scratch 0
		.amdhsa_float_round_mode_32 0
		.amdhsa_float_round_mode_16_64 0
		.amdhsa_float_denorm_mode_32 3
		.amdhsa_float_denorm_mode_16_64 3
		.amdhsa_dx10_clamp 1
		.amdhsa_ieee_mode 1
		.amdhsa_fp16_overflow 0
		.amdhsa_exception_fp_ieee_invalid_op 0
		.amdhsa_exception_fp_denorm_src 0
		.amdhsa_exception_fp_ieee_div_zero 0
		.amdhsa_exception_fp_ieee_overflow 0
		.amdhsa_exception_fp_ieee_underflow 0
		.amdhsa_exception_fp_ieee_inexact 0
		.amdhsa_exception_int_div_zero 0
	.end_amdhsa_kernel
	.section	.text._ZN7rocprim6detail31init_lookback_scan_state_kernelINS0_19lookback_scan_stateINS_5tupleIJybEEELb1ELb0EEEEEvT_jjPNS6_10value_typeE,"axG",@progbits,_ZN7rocprim6detail31init_lookback_scan_state_kernelINS0_19lookback_scan_stateINS_5tupleIJybEEELb1ELb0EEEEEvT_jjPNS6_10value_typeE,comdat
.Lfunc_end67:
	.size	_ZN7rocprim6detail31init_lookback_scan_state_kernelINS0_19lookback_scan_stateINS_5tupleIJybEEELb1ELb0EEEEEvT_jjPNS6_10value_typeE, .Lfunc_end67-_ZN7rocprim6detail31init_lookback_scan_state_kernelINS0_19lookback_scan_stateINS_5tupleIJybEEELb1ELb0EEEEEvT_jjPNS6_10value_typeE
                                        ; -- End function
	.set _ZN7rocprim6detail31init_lookback_scan_state_kernelINS0_19lookback_scan_stateINS_5tupleIJybEEELb1ELb0EEEEEvT_jjPNS6_10value_typeE.num_vgpr, 5
	.set _ZN7rocprim6detail31init_lookback_scan_state_kernelINS0_19lookback_scan_stateINS_5tupleIJybEEELb1ELb0EEEEEvT_jjPNS6_10value_typeE.num_agpr, 0
	.set _ZN7rocprim6detail31init_lookback_scan_state_kernelINS0_19lookback_scan_stateINS_5tupleIJybEEELb1ELb0EEEEEvT_jjPNS6_10value_typeE.numbered_sgpr, 18
	.set _ZN7rocprim6detail31init_lookback_scan_state_kernelINS0_19lookback_scan_stateINS_5tupleIJybEEELb1ELb0EEEEEvT_jjPNS6_10value_typeE.num_named_barrier, 0
	.set _ZN7rocprim6detail31init_lookback_scan_state_kernelINS0_19lookback_scan_stateINS_5tupleIJybEEELb1ELb0EEEEEvT_jjPNS6_10value_typeE.private_seg_size, 0
	.set _ZN7rocprim6detail31init_lookback_scan_state_kernelINS0_19lookback_scan_stateINS_5tupleIJybEEELb1ELb0EEEEEvT_jjPNS6_10value_typeE.uses_vcc, 1
	.set _ZN7rocprim6detail31init_lookback_scan_state_kernelINS0_19lookback_scan_stateINS_5tupleIJybEEELb1ELb0EEEEEvT_jjPNS6_10value_typeE.uses_flat_scratch, 0
	.set _ZN7rocprim6detail31init_lookback_scan_state_kernelINS0_19lookback_scan_stateINS_5tupleIJybEEELb1ELb0EEEEEvT_jjPNS6_10value_typeE.has_dyn_sized_stack, 0
	.set _ZN7rocprim6detail31init_lookback_scan_state_kernelINS0_19lookback_scan_stateINS_5tupleIJybEEELb1ELb0EEEEEvT_jjPNS6_10value_typeE.has_recursion, 0
	.set _ZN7rocprim6detail31init_lookback_scan_state_kernelINS0_19lookback_scan_stateINS_5tupleIJybEEELb1ELb0EEEEEvT_jjPNS6_10value_typeE.has_indirect_call, 0
	.section	.AMDGPU.csdata,"",@progbits
; Kernel info:
; codeLenInByte = 384
; TotalNumSgprs: 22
; NumVgprs: 5
; ScratchSize: 0
; MemoryBound: 0
; FloatMode: 240
; IeeeMode: 1
; LDSByteSize: 0 bytes/workgroup (compile time only)
; SGPRBlocks: 2
; VGPRBlocks: 1
; NumSGPRsForWavesPerEU: 22
; NumVGPRsForWavesPerEU: 5
; Occupancy: 10
; WaveLimiterHint : 0
; COMPUTE_PGM_RSRC2:SCRATCH_EN: 0
; COMPUTE_PGM_RSRC2:USER_SGPR: 6
; COMPUTE_PGM_RSRC2:TRAP_HANDLER: 0
; COMPUTE_PGM_RSRC2:TGID_X_EN: 1
; COMPUTE_PGM_RSRC2:TGID_Y_EN: 0
; COMPUTE_PGM_RSRC2:TGID_Z_EN: 0
; COMPUTE_PGM_RSRC2:TIDIG_COMP_CNT: 0
	.section	.text._ZN7rocprim6detail31init_lookback_scan_state_kernelINS0_19lookback_scan_stateINS_5tupleIJybEEELb0ELb0EEEEEvT_jjPNS6_10value_typeE,"axG",@progbits,_ZN7rocprim6detail31init_lookback_scan_state_kernelINS0_19lookback_scan_stateINS_5tupleIJybEEELb0ELb0EEEEEvT_jjPNS6_10value_typeE,comdat
	.protected	_ZN7rocprim6detail31init_lookback_scan_state_kernelINS0_19lookback_scan_stateINS_5tupleIJybEEELb0ELb0EEEEEvT_jjPNS6_10value_typeE ; -- Begin function _ZN7rocprim6detail31init_lookback_scan_state_kernelINS0_19lookback_scan_stateINS_5tupleIJybEEELb0ELb0EEEEEvT_jjPNS6_10value_typeE
	.globl	_ZN7rocprim6detail31init_lookback_scan_state_kernelINS0_19lookback_scan_stateINS_5tupleIJybEEELb0ELb0EEEEEvT_jjPNS6_10value_typeE
	.p2align	8
	.type	_ZN7rocprim6detail31init_lookback_scan_state_kernelINS0_19lookback_scan_stateINS_5tupleIJybEEELb0ELb0EEEEEvT_jjPNS6_10value_typeE,@function
_ZN7rocprim6detail31init_lookback_scan_state_kernelINS0_19lookback_scan_stateINS_5tupleIJybEEELb0ELb0EEEEEvT_jjPNS6_10value_typeE: ; @_ZN7rocprim6detail31init_lookback_scan_state_kernelINS0_19lookback_scan_stateINS_5tupleIJybEEELb0ELb0EEEEEvT_jjPNS6_10value_typeE
; %bb.0:
	s_load_dword s7, s[4:5], 0x34
	s_load_dwordx2 s[12:13], s[4:5], 0x20
	s_load_dwordx4 s[0:3], s[4:5], 0x10
	s_waitcnt lgkmcnt(0)
	s_and_b32 s7, s7, 0xffff
	s_mul_i32 s6, s6, s7
	s_cmp_eq_u64 s[12:13], 0
	v_add_u32_e32 v0, s6, v0
	s_cbranch_scc1 .LBB68_6
; %bb.1:
	s_cmp_lt_u32 s3, s2
	s_cselect_b32 s6, s3, 0
	s_mov_b32 s15, 0
	v_cmp_eq_u32_e32 vcc, s6, v0
	s_and_saveexec_b64 s[6:7], vcc
	s_cbranch_execz .LBB68_5
; %bb.2:
	s_add_i32 s14, s3, 64
	v_mov_b32_e32 v1, s14
	global_load_ubyte v2, v1, s[0:1] glc
	s_load_dwordx4 s[8:11], s[4:5], 0x0
	v_mov_b32_e32 v1, 0
	s_add_u32 s4, s0, s14
	s_addc_u32 s5, s1, 0
	s_waitcnt vmcnt(0)
	v_cmp_ne_u32_sdwa s[16:17], v2, v1 src0_sel:WORD_0 src1_sel:DWORD
	s_and_b64 vcc, exec, s[16:17]
	v_readfirstlane_b32 s3, v2
	s_cbranch_vccnz .LBB68_4
.LBB68_3:                               ; =>This Inner Loop Header: Depth=1
	global_load_ubyte v2, v1, s[4:5] glc
	s_waitcnt vmcnt(0)
	v_cmp_eq_u32_sdwa s[16:17], v2, v1 src0_sel:WORD_0 src1_sel:DWORD
	s_and_b64 vcc, exec, s[16:17]
	v_readfirstlane_b32 s3, v2
	s_cbranch_vccnz .LBB68_3
.LBB68_4:
	s_and_b32 s3, 0xffff, s3
	s_cmp_eq_u32 s3, 1
	s_waitcnt lgkmcnt(0)
	s_cselect_b32 s3, s9, s11
	s_cselect_b32 s8, s8, s10
	s_lshl_b64 s[4:5], s[14:15], 4
	s_add_u32 s4, s8, s4
	s_addc_u32 s5, s3, s5
	v_mov_b32_e32 v3, 0
	buffer_wbinvl1_vol
	global_load_dwordx2 v[1:2], v3, s[4:5]
	global_load_ubyte v4, v3, s[4:5] offset:8
	s_waitcnt vmcnt(1)
	global_store_dwordx2 v3, v[1:2], s[12:13]
	s_waitcnt vmcnt(1)
	global_store_byte v3, v4, s[12:13] offset:8
.LBB68_5:
	s_or_b64 exec, exec, s[6:7]
.LBB68_6:
	v_cmp_gt_u32_e32 vcc, s2, v0
	s_and_saveexec_b64 s[2:3], vcc
	s_cbranch_execnz .LBB68_9
; %bb.7:
	s_or_b64 exec, exec, s[2:3]
	v_cmp_gt_u32_e32 vcc, 64, v0
	s_and_saveexec_b64 s[2:3], vcc
	s_cbranch_execnz .LBB68_10
.LBB68_8:
	s_endpgm
.LBB68_9:
	v_add_u32_e32 v1, 64, v0
	v_mov_b32_e32 v2, 0
	global_store_byte v1, v2, s[0:1]
	s_or_b64 exec, exec, s[2:3]
	v_cmp_gt_u32_e32 vcc, 64, v0
	s_and_saveexec_b64 s[2:3], vcc
	s_cbranch_execz .LBB68_8
.LBB68_10:
	v_mov_b32_e32 v1, 0xff
	global_store_byte v0, v1, s[0:1]
	s_endpgm
	.section	.rodata,"a",@progbits
	.p2align	6, 0x0
	.amdhsa_kernel _ZN7rocprim6detail31init_lookback_scan_state_kernelINS0_19lookback_scan_stateINS_5tupleIJybEEELb0ELb0EEEEEvT_jjPNS6_10value_typeE
		.amdhsa_group_segment_fixed_size 0
		.amdhsa_private_segment_fixed_size 0
		.amdhsa_kernarg_size 296
		.amdhsa_user_sgpr_count 6
		.amdhsa_user_sgpr_private_segment_buffer 1
		.amdhsa_user_sgpr_dispatch_ptr 0
		.amdhsa_user_sgpr_queue_ptr 0
		.amdhsa_user_sgpr_kernarg_segment_ptr 1
		.amdhsa_user_sgpr_dispatch_id 0
		.amdhsa_user_sgpr_flat_scratch_init 0
		.amdhsa_user_sgpr_private_segment_size 0
		.amdhsa_uses_dynamic_stack 0
		.amdhsa_system_sgpr_private_segment_wavefront_offset 0
		.amdhsa_system_sgpr_workgroup_id_x 1
		.amdhsa_system_sgpr_workgroup_id_y 0
		.amdhsa_system_sgpr_workgroup_id_z 0
		.amdhsa_system_sgpr_workgroup_info 0
		.amdhsa_system_vgpr_workitem_id 0
		.amdhsa_next_free_vgpr 5
		.amdhsa_next_free_sgpr 18
		.amdhsa_reserve_vcc 1
		.amdhsa_reserve_flat_scratch 0
		.amdhsa_float_round_mode_32 0
		.amdhsa_float_round_mode_16_64 0
		.amdhsa_float_denorm_mode_32 3
		.amdhsa_float_denorm_mode_16_64 3
		.amdhsa_dx10_clamp 1
		.amdhsa_ieee_mode 1
		.amdhsa_fp16_overflow 0
		.amdhsa_exception_fp_ieee_invalid_op 0
		.amdhsa_exception_fp_denorm_src 0
		.amdhsa_exception_fp_ieee_div_zero 0
		.amdhsa_exception_fp_ieee_overflow 0
		.amdhsa_exception_fp_ieee_underflow 0
		.amdhsa_exception_fp_ieee_inexact 0
		.amdhsa_exception_int_div_zero 0
	.end_amdhsa_kernel
	.section	.text._ZN7rocprim6detail31init_lookback_scan_state_kernelINS0_19lookback_scan_stateINS_5tupleIJybEEELb0ELb0EEEEEvT_jjPNS6_10value_typeE,"axG",@progbits,_ZN7rocprim6detail31init_lookback_scan_state_kernelINS0_19lookback_scan_stateINS_5tupleIJybEEELb0ELb0EEEEEvT_jjPNS6_10value_typeE,comdat
.Lfunc_end68:
	.size	_ZN7rocprim6detail31init_lookback_scan_state_kernelINS0_19lookback_scan_stateINS_5tupleIJybEEELb0ELb0EEEEEvT_jjPNS6_10value_typeE, .Lfunc_end68-_ZN7rocprim6detail31init_lookback_scan_state_kernelINS0_19lookback_scan_stateINS_5tupleIJybEEELb0ELb0EEEEEvT_jjPNS6_10value_typeE
                                        ; -- End function
	.set _ZN7rocprim6detail31init_lookback_scan_state_kernelINS0_19lookback_scan_stateINS_5tupleIJybEEELb0ELb0EEEEEvT_jjPNS6_10value_typeE.num_vgpr, 5
	.set _ZN7rocprim6detail31init_lookback_scan_state_kernelINS0_19lookback_scan_stateINS_5tupleIJybEEELb0ELb0EEEEEvT_jjPNS6_10value_typeE.num_agpr, 0
	.set _ZN7rocprim6detail31init_lookback_scan_state_kernelINS0_19lookback_scan_stateINS_5tupleIJybEEELb0ELb0EEEEEvT_jjPNS6_10value_typeE.numbered_sgpr, 18
	.set _ZN7rocprim6detail31init_lookback_scan_state_kernelINS0_19lookback_scan_stateINS_5tupleIJybEEELb0ELb0EEEEEvT_jjPNS6_10value_typeE.num_named_barrier, 0
	.set _ZN7rocprim6detail31init_lookback_scan_state_kernelINS0_19lookback_scan_stateINS_5tupleIJybEEELb0ELb0EEEEEvT_jjPNS6_10value_typeE.private_seg_size, 0
	.set _ZN7rocprim6detail31init_lookback_scan_state_kernelINS0_19lookback_scan_stateINS_5tupleIJybEEELb0ELb0EEEEEvT_jjPNS6_10value_typeE.uses_vcc, 1
	.set _ZN7rocprim6detail31init_lookback_scan_state_kernelINS0_19lookback_scan_stateINS_5tupleIJybEEELb0ELb0EEEEEvT_jjPNS6_10value_typeE.uses_flat_scratch, 0
	.set _ZN7rocprim6detail31init_lookback_scan_state_kernelINS0_19lookback_scan_stateINS_5tupleIJybEEELb0ELb0EEEEEvT_jjPNS6_10value_typeE.has_dyn_sized_stack, 0
	.set _ZN7rocprim6detail31init_lookback_scan_state_kernelINS0_19lookback_scan_stateINS_5tupleIJybEEELb0ELb0EEEEEvT_jjPNS6_10value_typeE.has_recursion, 0
	.set _ZN7rocprim6detail31init_lookback_scan_state_kernelINS0_19lookback_scan_stateINS_5tupleIJybEEELb0ELb0EEEEEvT_jjPNS6_10value_typeE.has_indirect_call, 0
	.section	.AMDGPU.csdata,"",@progbits
; Kernel info:
; codeLenInByte = 344
; TotalNumSgprs: 22
; NumVgprs: 5
; ScratchSize: 0
; MemoryBound: 0
; FloatMode: 240
; IeeeMode: 1
; LDSByteSize: 0 bytes/workgroup (compile time only)
; SGPRBlocks: 2
; VGPRBlocks: 1
; NumSGPRsForWavesPerEU: 22
; NumVGPRsForWavesPerEU: 5
; Occupancy: 10
; WaveLimiterHint : 0
; COMPUTE_PGM_RSRC2:SCRATCH_EN: 0
; COMPUTE_PGM_RSRC2:USER_SGPR: 6
; COMPUTE_PGM_RSRC2:TRAP_HANDLER: 0
; COMPUTE_PGM_RSRC2:TGID_X_EN: 1
; COMPUTE_PGM_RSRC2:TGID_Y_EN: 0
; COMPUTE_PGM_RSRC2:TGID_Z_EN: 0
; COMPUTE_PGM_RSRC2:TIDIG_COMP_CNT: 0
	.section	.text._ZN7rocprim6detail25device_scan_by_key_kernelILNS0_25lookback_scan_determinismE0ELb0ENS0_26wrapped_scan_by_key_configINS_14default_configEiyEEPiN6hipcub22TransformInputIteratorIyNS7_6CastOpIyEEPylEESB_yNS7_8EqualityENS7_3SumENS0_19lookback_scan_stateINS_5tupleIJybEEELb1ELb0EEEyEEvT2_T3_T4_T5_T6_T7_T8_mmmPKNSG_IJT9_bEEE,"axG",@progbits,_ZN7rocprim6detail25device_scan_by_key_kernelILNS0_25lookback_scan_determinismE0ELb0ENS0_26wrapped_scan_by_key_configINS_14default_configEiyEEPiN6hipcub22TransformInputIteratorIyNS7_6CastOpIyEEPylEESB_yNS7_8EqualityENS7_3SumENS0_19lookback_scan_stateINS_5tupleIJybEEELb1ELb0EEEyEEvT2_T3_T4_T5_T6_T7_T8_mmmPKNSG_IJT9_bEEE,comdat
	.protected	_ZN7rocprim6detail25device_scan_by_key_kernelILNS0_25lookback_scan_determinismE0ELb0ENS0_26wrapped_scan_by_key_configINS_14default_configEiyEEPiN6hipcub22TransformInputIteratorIyNS7_6CastOpIyEEPylEESB_yNS7_8EqualityENS7_3SumENS0_19lookback_scan_stateINS_5tupleIJybEEELb1ELb0EEEyEEvT2_T3_T4_T5_T6_T7_T8_mmmPKNSG_IJT9_bEEE ; -- Begin function _ZN7rocprim6detail25device_scan_by_key_kernelILNS0_25lookback_scan_determinismE0ELb0ENS0_26wrapped_scan_by_key_configINS_14default_configEiyEEPiN6hipcub22TransformInputIteratorIyNS7_6CastOpIyEEPylEESB_yNS7_8EqualityENS7_3SumENS0_19lookback_scan_stateINS_5tupleIJybEEELb1ELb0EEEyEEvT2_T3_T4_T5_T6_T7_T8_mmmPKNSG_IJT9_bEEE
	.globl	_ZN7rocprim6detail25device_scan_by_key_kernelILNS0_25lookback_scan_determinismE0ELb0ENS0_26wrapped_scan_by_key_configINS_14default_configEiyEEPiN6hipcub22TransformInputIteratorIyNS7_6CastOpIyEEPylEESB_yNS7_8EqualityENS7_3SumENS0_19lookback_scan_stateINS_5tupleIJybEEELb1ELb0EEEyEEvT2_T3_T4_T5_T6_T7_T8_mmmPKNSG_IJT9_bEEE
	.p2align	8
	.type	_ZN7rocprim6detail25device_scan_by_key_kernelILNS0_25lookback_scan_determinismE0ELb0ENS0_26wrapped_scan_by_key_configINS_14default_configEiyEEPiN6hipcub22TransformInputIteratorIyNS7_6CastOpIyEEPylEESB_yNS7_8EqualityENS7_3SumENS0_19lookback_scan_stateINS_5tupleIJybEEELb1ELb0EEEyEEvT2_T3_T4_T5_T6_T7_T8_mmmPKNSG_IJT9_bEEE,@function
_ZN7rocprim6detail25device_scan_by_key_kernelILNS0_25lookback_scan_determinismE0ELb0ENS0_26wrapped_scan_by_key_configINS_14default_configEiyEEPiN6hipcub22TransformInputIteratorIyNS7_6CastOpIyEEPylEESB_yNS7_8EqualityENS7_3SumENS0_19lookback_scan_stateINS_5tupleIJybEEELb1ELb0EEEyEEvT2_T3_T4_T5_T6_T7_T8_mmmPKNSG_IJT9_bEEE: ; @_ZN7rocprim6detail25device_scan_by_key_kernelILNS0_25lookback_scan_determinismE0ELb0ENS0_26wrapped_scan_by_key_configINS_14default_configEiyEEPiN6hipcub22TransformInputIteratorIyNS7_6CastOpIyEEPylEESB_yNS7_8EqualityENS7_3SumENS0_19lookback_scan_stateINS_5tupleIJybEEELb1ELb0EEEyEEvT2_T3_T4_T5_T6_T7_T8_mmmPKNSG_IJT9_bEEE
; %bb.0:
	s_endpgm
	.section	.rodata,"a",@progbits
	.p2align	6, 0x0
	.amdhsa_kernel _ZN7rocprim6detail25device_scan_by_key_kernelILNS0_25lookback_scan_determinismE0ELb0ENS0_26wrapped_scan_by_key_configINS_14default_configEiyEEPiN6hipcub22TransformInputIteratorIyNS7_6CastOpIyEEPylEESB_yNS7_8EqualityENS7_3SumENS0_19lookback_scan_stateINS_5tupleIJybEEELb1ELb0EEEyEEvT2_T3_T4_T5_T6_T7_T8_mmmPKNSG_IJT9_bEEE
		.amdhsa_group_segment_fixed_size 0
		.amdhsa_private_segment_fixed_size 0
		.amdhsa_kernarg_size 104
		.amdhsa_user_sgpr_count 6
		.amdhsa_user_sgpr_private_segment_buffer 1
		.amdhsa_user_sgpr_dispatch_ptr 0
		.amdhsa_user_sgpr_queue_ptr 0
		.amdhsa_user_sgpr_kernarg_segment_ptr 1
		.amdhsa_user_sgpr_dispatch_id 0
		.amdhsa_user_sgpr_flat_scratch_init 0
		.amdhsa_user_sgpr_private_segment_size 0
		.amdhsa_uses_dynamic_stack 0
		.amdhsa_system_sgpr_private_segment_wavefront_offset 0
		.amdhsa_system_sgpr_workgroup_id_x 1
		.amdhsa_system_sgpr_workgroup_id_y 0
		.amdhsa_system_sgpr_workgroup_id_z 0
		.amdhsa_system_sgpr_workgroup_info 0
		.amdhsa_system_vgpr_workitem_id 0
		.amdhsa_next_free_vgpr 1
		.amdhsa_next_free_sgpr 0
		.amdhsa_reserve_vcc 0
		.amdhsa_reserve_flat_scratch 0
		.amdhsa_float_round_mode_32 0
		.amdhsa_float_round_mode_16_64 0
		.amdhsa_float_denorm_mode_32 3
		.amdhsa_float_denorm_mode_16_64 3
		.amdhsa_dx10_clamp 1
		.amdhsa_ieee_mode 1
		.amdhsa_fp16_overflow 0
		.amdhsa_exception_fp_ieee_invalid_op 0
		.amdhsa_exception_fp_denorm_src 0
		.amdhsa_exception_fp_ieee_div_zero 0
		.amdhsa_exception_fp_ieee_overflow 0
		.amdhsa_exception_fp_ieee_underflow 0
		.amdhsa_exception_fp_ieee_inexact 0
		.amdhsa_exception_int_div_zero 0
	.end_amdhsa_kernel
	.section	.text._ZN7rocprim6detail25device_scan_by_key_kernelILNS0_25lookback_scan_determinismE0ELb0ENS0_26wrapped_scan_by_key_configINS_14default_configEiyEEPiN6hipcub22TransformInputIteratorIyNS7_6CastOpIyEEPylEESB_yNS7_8EqualityENS7_3SumENS0_19lookback_scan_stateINS_5tupleIJybEEELb1ELb0EEEyEEvT2_T3_T4_T5_T6_T7_T8_mmmPKNSG_IJT9_bEEE,"axG",@progbits,_ZN7rocprim6detail25device_scan_by_key_kernelILNS0_25lookback_scan_determinismE0ELb0ENS0_26wrapped_scan_by_key_configINS_14default_configEiyEEPiN6hipcub22TransformInputIteratorIyNS7_6CastOpIyEEPylEESB_yNS7_8EqualityENS7_3SumENS0_19lookback_scan_stateINS_5tupleIJybEEELb1ELb0EEEyEEvT2_T3_T4_T5_T6_T7_T8_mmmPKNSG_IJT9_bEEE,comdat
.Lfunc_end69:
	.size	_ZN7rocprim6detail25device_scan_by_key_kernelILNS0_25lookback_scan_determinismE0ELb0ENS0_26wrapped_scan_by_key_configINS_14default_configEiyEEPiN6hipcub22TransformInputIteratorIyNS7_6CastOpIyEEPylEESB_yNS7_8EqualityENS7_3SumENS0_19lookback_scan_stateINS_5tupleIJybEEELb1ELb0EEEyEEvT2_T3_T4_T5_T6_T7_T8_mmmPKNSG_IJT9_bEEE, .Lfunc_end69-_ZN7rocprim6detail25device_scan_by_key_kernelILNS0_25lookback_scan_determinismE0ELb0ENS0_26wrapped_scan_by_key_configINS_14default_configEiyEEPiN6hipcub22TransformInputIteratorIyNS7_6CastOpIyEEPylEESB_yNS7_8EqualityENS7_3SumENS0_19lookback_scan_stateINS_5tupleIJybEEELb1ELb0EEEyEEvT2_T3_T4_T5_T6_T7_T8_mmmPKNSG_IJT9_bEEE
                                        ; -- End function
	.set _ZN7rocprim6detail25device_scan_by_key_kernelILNS0_25lookback_scan_determinismE0ELb0ENS0_26wrapped_scan_by_key_configINS_14default_configEiyEEPiN6hipcub22TransformInputIteratorIyNS7_6CastOpIyEEPylEESB_yNS7_8EqualityENS7_3SumENS0_19lookback_scan_stateINS_5tupleIJybEEELb1ELb0EEEyEEvT2_T3_T4_T5_T6_T7_T8_mmmPKNSG_IJT9_bEEE.num_vgpr, 0
	.set _ZN7rocprim6detail25device_scan_by_key_kernelILNS0_25lookback_scan_determinismE0ELb0ENS0_26wrapped_scan_by_key_configINS_14default_configEiyEEPiN6hipcub22TransformInputIteratorIyNS7_6CastOpIyEEPylEESB_yNS7_8EqualityENS7_3SumENS0_19lookback_scan_stateINS_5tupleIJybEEELb1ELb0EEEyEEvT2_T3_T4_T5_T6_T7_T8_mmmPKNSG_IJT9_bEEE.num_agpr, 0
	.set _ZN7rocprim6detail25device_scan_by_key_kernelILNS0_25lookback_scan_determinismE0ELb0ENS0_26wrapped_scan_by_key_configINS_14default_configEiyEEPiN6hipcub22TransformInputIteratorIyNS7_6CastOpIyEEPylEESB_yNS7_8EqualityENS7_3SumENS0_19lookback_scan_stateINS_5tupleIJybEEELb1ELb0EEEyEEvT2_T3_T4_T5_T6_T7_T8_mmmPKNSG_IJT9_bEEE.numbered_sgpr, 0
	.set _ZN7rocprim6detail25device_scan_by_key_kernelILNS0_25lookback_scan_determinismE0ELb0ENS0_26wrapped_scan_by_key_configINS_14default_configEiyEEPiN6hipcub22TransformInputIteratorIyNS7_6CastOpIyEEPylEESB_yNS7_8EqualityENS7_3SumENS0_19lookback_scan_stateINS_5tupleIJybEEELb1ELb0EEEyEEvT2_T3_T4_T5_T6_T7_T8_mmmPKNSG_IJT9_bEEE.num_named_barrier, 0
	.set _ZN7rocprim6detail25device_scan_by_key_kernelILNS0_25lookback_scan_determinismE0ELb0ENS0_26wrapped_scan_by_key_configINS_14default_configEiyEEPiN6hipcub22TransformInputIteratorIyNS7_6CastOpIyEEPylEESB_yNS7_8EqualityENS7_3SumENS0_19lookback_scan_stateINS_5tupleIJybEEELb1ELb0EEEyEEvT2_T3_T4_T5_T6_T7_T8_mmmPKNSG_IJT9_bEEE.private_seg_size, 0
	.set _ZN7rocprim6detail25device_scan_by_key_kernelILNS0_25lookback_scan_determinismE0ELb0ENS0_26wrapped_scan_by_key_configINS_14default_configEiyEEPiN6hipcub22TransformInputIteratorIyNS7_6CastOpIyEEPylEESB_yNS7_8EqualityENS7_3SumENS0_19lookback_scan_stateINS_5tupleIJybEEELb1ELb0EEEyEEvT2_T3_T4_T5_T6_T7_T8_mmmPKNSG_IJT9_bEEE.uses_vcc, 0
	.set _ZN7rocprim6detail25device_scan_by_key_kernelILNS0_25lookback_scan_determinismE0ELb0ENS0_26wrapped_scan_by_key_configINS_14default_configEiyEEPiN6hipcub22TransformInputIteratorIyNS7_6CastOpIyEEPylEESB_yNS7_8EqualityENS7_3SumENS0_19lookback_scan_stateINS_5tupleIJybEEELb1ELb0EEEyEEvT2_T3_T4_T5_T6_T7_T8_mmmPKNSG_IJT9_bEEE.uses_flat_scratch, 0
	.set _ZN7rocprim6detail25device_scan_by_key_kernelILNS0_25lookback_scan_determinismE0ELb0ENS0_26wrapped_scan_by_key_configINS_14default_configEiyEEPiN6hipcub22TransformInputIteratorIyNS7_6CastOpIyEEPylEESB_yNS7_8EqualityENS7_3SumENS0_19lookback_scan_stateINS_5tupleIJybEEELb1ELb0EEEyEEvT2_T3_T4_T5_T6_T7_T8_mmmPKNSG_IJT9_bEEE.has_dyn_sized_stack, 0
	.set _ZN7rocprim6detail25device_scan_by_key_kernelILNS0_25lookback_scan_determinismE0ELb0ENS0_26wrapped_scan_by_key_configINS_14default_configEiyEEPiN6hipcub22TransformInputIteratorIyNS7_6CastOpIyEEPylEESB_yNS7_8EqualityENS7_3SumENS0_19lookback_scan_stateINS_5tupleIJybEEELb1ELb0EEEyEEvT2_T3_T4_T5_T6_T7_T8_mmmPKNSG_IJT9_bEEE.has_recursion, 0
	.set _ZN7rocprim6detail25device_scan_by_key_kernelILNS0_25lookback_scan_determinismE0ELb0ENS0_26wrapped_scan_by_key_configINS_14default_configEiyEEPiN6hipcub22TransformInputIteratorIyNS7_6CastOpIyEEPylEESB_yNS7_8EqualityENS7_3SumENS0_19lookback_scan_stateINS_5tupleIJybEEELb1ELb0EEEyEEvT2_T3_T4_T5_T6_T7_T8_mmmPKNSG_IJT9_bEEE.has_indirect_call, 0
	.section	.AMDGPU.csdata,"",@progbits
; Kernel info:
; codeLenInByte = 4
; TotalNumSgprs: 4
; NumVgprs: 0
; ScratchSize: 0
; MemoryBound: 0
; FloatMode: 240
; IeeeMode: 1
; LDSByteSize: 0 bytes/workgroup (compile time only)
; SGPRBlocks: 0
; VGPRBlocks: 0
; NumSGPRsForWavesPerEU: 4
; NumVGPRsForWavesPerEU: 1
; Occupancy: 10
; WaveLimiterHint : 0
; COMPUTE_PGM_RSRC2:SCRATCH_EN: 0
; COMPUTE_PGM_RSRC2:USER_SGPR: 6
; COMPUTE_PGM_RSRC2:TRAP_HANDLER: 0
; COMPUTE_PGM_RSRC2:TGID_X_EN: 1
; COMPUTE_PGM_RSRC2:TGID_Y_EN: 0
; COMPUTE_PGM_RSRC2:TGID_Z_EN: 0
; COMPUTE_PGM_RSRC2:TIDIG_COMP_CNT: 0
	.section	.text._ZN7rocprim6detail25device_scan_by_key_kernelILNS0_25lookback_scan_determinismE0ELb0ENS0_26wrapped_scan_by_key_configINS_14default_configEiyEEPiN6hipcub22TransformInputIteratorIyNS7_6CastOpIyEEPylEESB_yNS7_8EqualityENS7_3SumENS0_19lookback_scan_stateINS_5tupleIJybEEELb0ELb0EEEyEEvT2_T3_T4_T5_T6_T7_T8_mmmPKNSG_IJT9_bEEE,"axG",@progbits,_ZN7rocprim6detail25device_scan_by_key_kernelILNS0_25lookback_scan_determinismE0ELb0ENS0_26wrapped_scan_by_key_configINS_14default_configEiyEEPiN6hipcub22TransformInputIteratorIyNS7_6CastOpIyEEPylEESB_yNS7_8EqualityENS7_3SumENS0_19lookback_scan_stateINS_5tupleIJybEEELb0ELb0EEEyEEvT2_T3_T4_T5_T6_T7_T8_mmmPKNSG_IJT9_bEEE,comdat
	.protected	_ZN7rocprim6detail25device_scan_by_key_kernelILNS0_25lookback_scan_determinismE0ELb0ENS0_26wrapped_scan_by_key_configINS_14default_configEiyEEPiN6hipcub22TransformInputIteratorIyNS7_6CastOpIyEEPylEESB_yNS7_8EqualityENS7_3SumENS0_19lookback_scan_stateINS_5tupleIJybEEELb0ELb0EEEyEEvT2_T3_T4_T5_T6_T7_T8_mmmPKNSG_IJT9_bEEE ; -- Begin function _ZN7rocprim6detail25device_scan_by_key_kernelILNS0_25lookback_scan_determinismE0ELb0ENS0_26wrapped_scan_by_key_configINS_14default_configEiyEEPiN6hipcub22TransformInputIteratorIyNS7_6CastOpIyEEPylEESB_yNS7_8EqualityENS7_3SumENS0_19lookback_scan_stateINS_5tupleIJybEEELb0ELb0EEEyEEvT2_T3_T4_T5_T6_T7_T8_mmmPKNSG_IJT9_bEEE
	.globl	_ZN7rocprim6detail25device_scan_by_key_kernelILNS0_25lookback_scan_determinismE0ELb0ENS0_26wrapped_scan_by_key_configINS_14default_configEiyEEPiN6hipcub22TransformInputIteratorIyNS7_6CastOpIyEEPylEESB_yNS7_8EqualityENS7_3SumENS0_19lookback_scan_stateINS_5tupleIJybEEELb0ELb0EEEyEEvT2_T3_T4_T5_T6_T7_T8_mmmPKNSG_IJT9_bEEE
	.p2align	8
	.type	_ZN7rocprim6detail25device_scan_by_key_kernelILNS0_25lookback_scan_determinismE0ELb0ENS0_26wrapped_scan_by_key_configINS_14default_configEiyEEPiN6hipcub22TransformInputIteratorIyNS7_6CastOpIyEEPylEESB_yNS7_8EqualityENS7_3SumENS0_19lookback_scan_stateINS_5tupleIJybEEELb0ELb0EEEyEEvT2_T3_T4_T5_T6_T7_T8_mmmPKNSG_IJT9_bEEE,@function
_ZN7rocprim6detail25device_scan_by_key_kernelILNS0_25lookback_scan_determinismE0ELb0ENS0_26wrapped_scan_by_key_configINS_14default_configEiyEEPiN6hipcub22TransformInputIteratorIyNS7_6CastOpIyEEPylEESB_yNS7_8EqualityENS7_3SumENS0_19lookback_scan_stateINS_5tupleIJybEEELb0ELb0EEEyEEvT2_T3_T4_T5_T6_T7_T8_mmmPKNSG_IJT9_bEEE: ; @_ZN7rocprim6detail25device_scan_by_key_kernelILNS0_25lookback_scan_determinismE0ELb0ENS0_26wrapped_scan_by_key_configINS_14default_configEiyEEPiN6hipcub22TransformInputIteratorIyNS7_6CastOpIyEEPylEESB_yNS7_8EqualityENS7_3SumENS0_19lookback_scan_stateINS_5tupleIJybEEELb0ELb0EEEyEEvT2_T3_T4_T5_T6_T7_T8_mmmPKNSG_IJT9_bEEE
; %bb.0:
	s_load_dwordx4 s[0:3], s[4:5], 0x0
	s_load_dwordx8 s[44:51], s[4:5], 0x30
	s_load_dwordx2 s[54:55], s[4:5], 0x60
	s_load_dwordx4 s[40:43], s[4:5], 0x50
	s_mul_i32 s8, s6, 0x3c0
	s_mov_b32 s9, 0
	s_lshl_b64 s[10:11], s[8:9], 2
	s_waitcnt lgkmcnt(0)
	s_add_u32 s56, s0, s10
	s_addc_u32 s57, s1, s11
	s_lshl_b64 s[52:53], s[8:9], 3
	s_add_u32 s38, s2, s52
	s_addc_u32 s39, s3, s53
	s_add_u32 s0, s40, s6
	s_addc_u32 s1, s41, 0
	s_add_u32 s2, s42, -1
	s_addc_u32 s3, s43, -1
	v_mov_b32_e32 v1, s2
	v_mov_b32_e32 v2, s3
	v_cmp_ge_u64_e64 s[0:1], s[0:1], v[1:2]
	s_mov_b64 s[28:29], -1
	s_and_b64 vcc, exec, s[0:1]
	s_mul_i32 s33, s2, 0xfffffc40
	v_lshlrev_b32_e32 v81, 2, v0
	s_cbranch_vccz .LBB70_47
; %bb.1:
	s_load_dword s36, s[56:57], 0x0
	v_mov_b32_e32 v2, s57
	v_add_co_u32_e32 v1, vcc, s56, v81
	s_add_i32 s7, s33, s50
	v_addc_co_u32_e32 v2, vcc, 0, v2, vcc
	v_cmp_gt_u32_e32 vcc, s7, v0
	s_waitcnt lgkmcnt(0)
	v_mov_b32_e32 v3, s36
	s_and_saveexec_b64 s[2:3], vcc
	s_cbranch_execz .LBB70_3
; %bb.2:
	global_load_dword v3, v[1:2], off
.LBB70_3:
	s_or_b64 exec, exec, s[2:3]
	v_or_b32_e32 v4, 64, v0
	v_cmp_gt_u32_e64 s[2:3], s7, v4
	v_mov_b32_e32 v4, s36
	s_and_saveexec_b64 s[8:9], s[2:3]
	s_cbranch_execz .LBB70_5
; %bb.4:
	global_load_dword v4, v[1:2], off offset:256
.LBB70_5:
	s_or_b64 exec, exec, s[8:9]
	v_or_b32_e32 v5, 0x80, v0
	v_cmp_gt_u32_e64 s[8:9], s7, v5
	v_mov_b32_e32 v5, s36
	s_and_saveexec_b64 s[10:11], s[8:9]
	s_cbranch_execz .LBB70_7
; %bb.6:
	global_load_dword v5, v[1:2], off offset:512
.LBB70_7:
	;; [unrolled: 9-line block ×14, first 2 shown]
	s_or_b64 exec, exec, s[36:37]
	s_sub_u32 s36, 0, s6
	s_subb_u32 s37, 0, 0
	s_cmp_eq_u64 s[40:41], s[36:37]
	s_cselect_b32 s36, 0, -4
	s_cselect_b32 s37, 0, -1
	s_add_u32 s36, s56, s36
	v_mad_u32_u24 v1, v0, 56, v81
	s_addc_u32 s37, s57, s37
	s_waitcnt vmcnt(0)
	ds_write2st64_b32 v81, v3, v4 offset1:1
	ds_write2st64_b32 v81, v5, v6 offset0:2 offset1:3
	ds_write2st64_b32 v81, v7, v8 offset0:4 offset1:5
	;; [unrolled: 1-line block ×6, first 2 shown]
	ds_write_b32 v81, v17 offset:3584
	s_waitcnt lgkmcnt(0)
	; wave barrier
	ds_read2_b32 v[63:64], v1 offset0:4 offset1:7
	ds_read2_b32 v[57:58], v1 offset0:13 offset1:14
	s_load_dword s42, s[36:37], 0x0
	ds_read2_b32 v[69:70], v1 offset1:1
	ds_read2_b32 v[67:68], v1 offset0:2 offset1:3
	ds_read2_b32 v[65:66], v1 offset0:5 offset1:6
	;; [unrolled: 1-line block ×3, first 2 shown]
	ds_read_b32 v97, v1 offset:40
	ds_read2_b32 v[59:60], v1 offset0:11 offset1:12
	s_movk_i32 s36, 0xffc8
	v_mad_i32_i24 v33, v0, s36, v1
	v_cmp_ne_u32_e64 s[36:37], 0, v0
	s_waitcnt lgkmcnt(0)
	v_mov_b32_e32 v101, s42
	ds_write_b32 v33, v58 offset:3840
	s_waitcnt lgkmcnt(0)
	; wave barrier
	s_and_saveexec_b64 s[42:43], s[36:37]
; %bb.32:
	ds_read_b32 v101, v33 offset:3836
; %bb.33:
	s_or_b64 exec, exec, s[42:43]
	v_lshlrev_b32_e32 v1, 3, v0
	v_mov_b32_e32 v2, s39
	v_add_co_u32_e64 v3, s[36:37], s38, v1
	v_addc_co_u32_e64 v4, s[36:37], 0, v2, s[36:37]
	s_waitcnt lgkmcnt(0)
	; wave barrier
                                        ; implicit-def: $vgpr1_vgpr2
	s_and_saveexec_b64 s[36:37], vcc
	s_cbranch_execz .LBB70_48
; %bb.34:
	global_load_dwordx2 v[1:2], v[3:4], off
	s_or_b64 exec, exec, s[36:37]
                                        ; implicit-def: $vgpr5_vgpr6
	s_and_saveexec_b64 s[36:37], s[2:3]
	s_cbranch_execnz .LBB70_49
.LBB70_35:
	s_or_b64 exec, exec, s[36:37]
                                        ; implicit-def: $vgpr7_vgpr8
	s_and_saveexec_b64 s[2:3], s[8:9]
	s_cbranch_execz .LBB70_50
.LBB70_36:
	global_load_dwordx2 v[7:8], v[3:4], off offset:1024
	s_or_b64 exec, exec, s[2:3]
                                        ; implicit-def: $vgpr9_vgpr10
	s_and_saveexec_b64 s[2:3], s[10:11]
	s_cbranch_execnz .LBB70_51
.LBB70_37:
	s_or_b64 exec, exec, s[2:3]
                                        ; implicit-def: $vgpr11_vgpr12
	s_and_saveexec_b64 s[2:3], s[14:15]
	s_cbranch_execz .LBB70_52
.LBB70_38:
	global_load_dwordx2 v[11:12], v[3:4], off offset:2048
	s_or_b64 exec, exec, s[2:3]
                                        ; implicit-def: $vgpr13_vgpr14
	s_and_saveexec_b64 s[2:3], s[18:19]
	s_cbranch_execnz .LBB70_53
.LBB70_39:
	s_or_b64 exec, exec, s[2:3]
                                        ; implicit-def: $vgpr15_vgpr16
	s_and_saveexec_b64 s[2:3], s[22:23]
	s_cbranch_execz .LBB70_54
.LBB70_40:
	global_load_dwordx2 v[15:16], v[3:4], off offset:3072
	s_or_b64 exec, exec, s[2:3]
                                        ; implicit-def: $vgpr17_vgpr18
	s_and_saveexec_b64 s[2:3], s[26:27]
	s_cbranch_execnz .LBB70_55
.LBB70_41:
	s_or_b64 exec, exec, s[2:3]
                                        ; implicit-def: $vgpr19_vgpr20
	s_and_saveexec_b64 s[2:3], s[30:31]
	s_cbranch_execz .LBB70_56
.LBB70_42:
	v_add_co_u32_e32 v19, vcc, 0x1000, v3
	v_addc_co_u32_e32 v20, vcc, 0, v4, vcc
	global_load_dwordx2 v[19:20], v[19:20], off
	s_or_b64 exec, exec, s[2:3]
                                        ; implicit-def: $vgpr21_vgpr22
	s_and_saveexec_b64 s[2:3], s[28:29]
	s_cbranch_execnz .LBB70_57
.LBB70_43:
	s_or_b64 exec, exec, s[2:3]
                                        ; implicit-def: $vgpr23_vgpr24
	s_and_saveexec_b64 s[2:3], s[24:25]
	s_cbranch_execz .LBB70_58
.LBB70_44:
	v_add_co_u32_e32 v23, vcc, 0x1000, v3
	v_addc_co_u32_e32 v24, vcc, 0, v4, vcc
	global_load_dwordx2 v[23:24], v[23:24], off offset:1024
	s_or_b64 exec, exec, s[2:3]
                                        ; implicit-def: $vgpr25_vgpr26
	s_and_saveexec_b64 s[2:3], s[20:21]
	s_cbranch_execnz .LBB70_59
.LBB70_45:
	s_or_b64 exec, exec, s[2:3]
                                        ; implicit-def: $vgpr27_vgpr28
	s_and_saveexec_b64 s[2:3], s[16:17]
	s_cbranch_execz .LBB70_60
.LBB70_46:
	v_add_co_u32_e32 v27, vcc, 0x1000, v3
	v_addc_co_u32_e32 v28, vcc, 0, v4, vcc
	global_load_dwordx2 v[27:28], v[27:28], off offset:2048
	s_or_b64 exec, exec, s[2:3]
                                        ; implicit-def: $vgpr29_vgpr30
	s_and_saveexec_b64 s[2:3], s[12:13]
	s_cbranch_execz .LBB70_62
	s_branch .LBB70_61
.LBB70_47:
	s_mov_b64 s[8:9], 0
                                        ; implicit-def: $sgpr26_sgpr27
                                        ; implicit-def: $vgpr87
                                        ; implicit-def: $vgpr88
                                        ; implicit-def: $vgpr93
                                        ; implicit-def: $vgpr86
                                        ; implicit-def: $vgpr35_vgpr36
                                        ; implicit-def: $vgpr1_vgpr2
                                        ; implicit-def: $vgpr5_vgpr6
                                        ; implicit-def: $vgpr89
                                        ; implicit-def: $vgpr33_vgpr34
                                        ; implicit-def: $vgpr90
                                        ; implicit-def: $vgpr39_vgpr40
                                        ; implicit-def: $vgpr91
                                        ; implicit-def: $vgpr92
                                        ; implicit-def: $vgpr43_vgpr44
                                        ; implicit-def: $vgpr94
                                        ; implicit-def: $vgpr47_vgpr48
                                        ; implicit-def: $vgpr95
                                        ; implicit-def: $vgpr51_vgpr52
                                        ; implicit-def: $vgpr96
                                        ; implicit-def: $vgpr98
                                        ; implicit-def: $vgpr100
                                        ; implicit-def: $vgpr72
                                        ; implicit-def: $vgpr73
                                        ; implicit-def: $vgpr79
                                        ; implicit-def: $vgpr75
                                        ; implicit-def: $vgpr71
                                        ; implicit-def: $vgpr53_vgpr54
                                        ; implicit-def: $vgpr74
                                        ; implicit-def: $vgpr29_vgpr30
                                        ; implicit-def: $vgpr76
                                        ; implicit-def: $vgpr55_vgpr56
                                        ; implicit-def: $vgpr25_vgpr26
                                        ; implicit-def: $vgpr77
                                        ; implicit-def: $vgpr27_vgpr28
                                        ; implicit-def: $vgpr78
                                        ; implicit-def: $vgpr21_vgpr22
                                        ; implicit-def: $vgpr23_vgpr24
                                        ; implicit-def: $vgpr80
                                        ; implicit-def: $vgpr17_vgpr18
                                        ; implicit-def: $vgpr82
                                        ; implicit-def: $vgpr19_vgpr20
                                        ; implicit-def: $vgpr13_vgpr14
                                        ; implicit-def: $vgpr84
                                        ; implicit-def: $vgpr15_vgpr16
                                        ; implicit-def: $vgpr85
                                        ; implicit-def: $vgpr9_vgpr10
                                        ; implicit-def: $vgpr83
	s_and_b64 vcc, exec, s[28:29]
	v_cmp_ne_u32_e64 s[2:3], 0, v0
	s_cbranch_vccz .LBB70_96
	s_branch .LBB70_93
.LBB70_48:
	s_or_b64 exec, exec, s[36:37]
                                        ; implicit-def: $vgpr5_vgpr6
	s_and_saveexec_b64 s[36:37], s[2:3]
	s_cbranch_execz .LBB70_35
.LBB70_49:
	global_load_dwordx2 v[5:6], v[3:4], off offset:512
	s_or_b64 exec, exec, s[36:37]
                                        ; implicit-def: $vgpr7_vgpr8
	s_and_saveexec_b64 s[2:3], s[8:9]
	s_cbranch_execnz .LBB70_36
.LBB70_50:
	s_or_b64 exec, exec, s[2:3]
                                        ; implicit-def: $vgpr9_vgpr10
	s_and_saveexec_b64 s[2:3], s[10:11]
	s_cbranch_execz .LBB70_37
.LBB70_51:
	global_load_dwordx2 v[9:10], v[3:4], off offset:1536
	s_or_b64 exec, exec, s[2:3]
                                        ; implicit-def: $vgpr11_vgpr12
	s_and_saveexec_b64 s[2:3], s[14:15]
	s_cbranch_execnz .LBB70_38
.LBB70_52:
	s_or_b64 exec, exec, s[2:3]
                                        ; implicit-def: $vgpr13_vgpr14
	s_and_saveexec_b64 s[2:3], s[18:19]
	s_cbranch_execz .LBB70_39
.LBB70_53:
	global_load_dwordx2 v[13:14], v[3:4], off offset:2560
	s_or_b64 exec, exec, s[2:3]
                                        ; implicit-def: $vgpr15_vgpr16
	s_and_saveexec_b64 s[2:3], s[22:23]
	s_cbranch_execnz .LBB70_40
.LBB70_54:
	s_or_b64 exec, exec, s[2:3]
                                        ; implicit-def: $vgpr17_vgpr18
	s_and_saveexec_b64 s[2:3], s[26:27]
	s_cbranch_execz .LBB70_41
.LBB70_55:
	global_load_dwordx2 v[17:18], v[3:4], off offset:3584
	s_or_b64 exec, exec, s[2:3]
                                        ; implicit-def: $vgpr19_vgpr20
	s_and_saveexec_b64 s[2:3], s[30:31]
	s_cbranch_execnz .LBB70_42
.LBB70_56:
	s_or_b64 exec, exec, s[2:3]
                                        ; implicit-def: $vgpr21_vgpr22
	s_and_saveexec_b64 s[2:3], s[28:29]
	s_cbranch_execz .LBB70_43
.LBB70_57:
	v_add_co_u32_e32 v21, vcc, 0x1000, v3
	v_addc_co_u32_e32 v22, vcc, 0, v4, vcc
	global_load_dwordx2 v[21:22], v[21:22], off offset:512
	s_or_b64 exec, exec, s[2:3]
                                        ; implicit-def: $vgpr23_vgpr24
	s_and_saveexec_b64 s[2:3], s[24:25]
	s_cbranch_execnz .LBB70_44
.LBB70_58:
	s_or_b64 exec, exec, s[2:3]
                                        ; implicit-def: $vgpr25_vgpr26
	s_and_saveexec_b64 s[2:3], s[20:21]
	s_cbranch_execz .LBB70_45
.LBB70_59:
	v_add_co_u32_e32 v25, vcc, 0x1000, v3
	v_addc_co_u32_e32 v26, vcc, 0, v4, vcc
	global_load_dwordx2 v[25:26], v[25:26], off offset:1536
	s_or_b64 exec, exec, s[2:3]
                                        ; implicit-def: $vgpr27_vgpr28
	s_and_saveexec_b64 s[2:3], s[16:17]
	s_cbranch_execnz .LBB70_46
.LBB70_60:
	s_or_b64 exec, exec, s[2:3]
                                        ; implicit-def: $vgpr29_vgpr30
	s_and_saveexec_b64 s[2:3], s[12:13]
	s_cbranch_execz .LBB70_62
.LBB70_61:
	v_add_co_u32_e32 v29, vcc, 0x1000, v3
	v_addc_co_u32_e32 v30, vcc, 0, v4, vcc
	global_load_dwordx2 v[29:30], v[29:30], off offset:2560
.LBB70_62:
	s_or_b64 exec, exec, s[2:3]
	v_mul_u32_u24_e32 v99, 15, v0
                                        ; implicit-def: $vgpr31_vgpr32
	s_and_saveexec_b64 s[2:3], s[34:35]
	s_cbranch_execz .LBB70_64
; %bb.63:
	v_add_co_u32_e32 v3, vcc, 0x1000, v3
	v_addc_co_u32_e32 v4, vcc, 0, v4, vcc
	global_load_dwordx2 v[31:32], v[3:4], off offset:3072
.LBB70_64:
	s_or_b64 exec, exec, s[2:3]
	v_lshl_add_u32 v102, v0, 2, v33
	s_waitcnt vmcnt(0)
	ds_write2st64_b64 v102, v[1:2], v[5:6] offset1:1
	ds_write2st64_b64 v102, v[7:8], v[9:10] offset0:2 offset1:3
	ds_write2st64_b64 v102, v[11:12], v[13:14] offset0:4 offset1:5
	;; [unrolled: 1-line block ×6, first 2 shown]
	ds_write_b64 v102, v[31:32] offset:7168
	v_mov_b32_e32 v1, 0
	v_mov_b32_e32 v5, 0
	;; [unrolled: 1-line block ×26, first 2 shown]
	v_cmp_gt_u32_e32 vcc, s7, v99
	v_mov_b32_e32 v87, 0
	s_mov_b64 s[28:29], 0
	v_mov_b32_e32 v2, 0
	s_mov_b64 s[8:9], 0
	v_mov_b32_e32 v88, 0
	v_mov_b32_e32 v93, 0
	;; [unrolled: 1-line block ×51, first 2 shown]
	s_waitcnt lgkmcnt(0)
	; wave barrier
                                        ; implicit-def: $sgpr26_sgpr27
                                        ; implicit-def: $vgpr35_vgpr36
	s_and_saveexec_b64 s[30:31], vcc
	s_cbranch_execz .LBB70_92
; %bb.65:
	s_movk_i32 s2, 0x70
	v_mad_u32_u24 v1, v0, s2, v102
	ds_read_b64 v[1:2], v1
	v_add_u32_e32 v3, 1, v99
	v_cmp_gt_u32_e64 s[2:3], s7, v3
	v_mov_b32_e32 v5, 0
	v_mov_b32_e32 v33, 0
	;; [unrolled: 1-line block ×25, first 2 shown]
	v_cmp_ne_u32_e32 vcc, v101, v69
	v_mov_b32_e32 v87, 0
	v_mov_b32_e32 v6, 0
	;; [unrolled: 1-line block ×50, first 2 shown]
                                        ; implicit-def: $sgpr26_sgpr27
                                        ; implicit-def: $vgpr35_vgpr36
	s_and_saveexec_b64 s[34:35], s[2:3]
	s_cbranch_execz .LBB70_91
; %bb.66:
	v_mul_u32_u24_e32 v3, 0x70, v0
	v_add_u32_e32 v4, v102, v3
	ds_read2_b64 v[9:12], v4 offset0:1 offset1:2
	v_add_u32_e32 v3, 2, v99
	v_mov_b32_e32 v5, 0
	v_mov_b32_e32 v33, 0
	;; [unrolled: 1-line block ×23, first 2 shown]
	v_cmp_ne_u32_e64 s[2:3], v69, v70
	v_cmp_gt_u32_e64 s[8:9], s7, v3
	v_mov_b32_e32 v87, 0
	s_mov_b64 s[10:11], 0
	v_mov_b32_e32 v6, 0
	v_mov_b32_e32 v88, 0
	;; [unrolled: 1-line block ×45, first 2 shown]
                                        ; implicit-def: $sgpr26_sgpr27
                                        ; implicit-def: $vgpr35_vgpr36
	s_and_saveexec_b64 s[36:37], s[8:9]
	s_cbranch_execz .LBB70_90
; %bb.67:
	v_add_u32_e32 v3, 3, v99
	v_mov_b32_e32 v5, 0
	v_mov_b32_e32 v33, 0
	;; [unrolled: 1-line block ×21, first 2 shown]
	v_cmp_ne_u32_e64 s[22:23], v70, v67
	v_cmp_gt_u32_e64 s[8:9], s7, v3
	v_mov_b32_e32 v87, 0
	v_mov_b32_e32 v6, 0
	;; [unrolled: 1-line block ×42, first 2 shown]
                                        ; implicit-def: $sgpr26_sgpr27
                                        ; implicit-def: $vgpr35_vgpr36
	s_and_saveexec_b64 s[42:43], s[8:9]
	s_cbranch_execz .LBB70_89
; %bb.68:
	v_cmp_ne_u32_e64 s[8:9], v67, v68
	v_cndmask_b32_e64 v3, 0, 1, s[8:9]
	v_cmp_ne_u32_e64 s[8:9], v65, v66
	ds_read2_b64 v[13:16], v4 offset0:3 offset1:4
	v_lshlrev_b16_e32 v3, 8, v3
	v_cndmask_b32_e64 v5, 0, 1, s[8:9]
	v_or_b32_e32 v3, v5, v3
	v_lshlrev_b32_e32 v49, 16, v3
	v_add_u32_e32 v5, 4, v99
	v_lshrrev_b32_e32 v86, 24, v49
	v_cmp_gt_u32_e64 s[8:9], s7, v5
	v_mov_b32_e32 v5, 0
	v_mov_b32_e32 v33, 0
	;; [unrolled: 1-line block ×19, first 2 shown]
	v_cmp_ne_u32_e64 s[14:15], v59, v60
	v_cmp_ne_u32_e64 s[18:19], v61, v62
	v_mov_b32_e32 v87, 0
	v_mov_b32_e32 v6, 0
	;; [unrolled: 1-line block ×39, first 2 shown]
                                        ; implicit-def: $sgpr26_sgpr27
                                        ; implicit-def: $vgpr35_vgpr36
	s_and_saveexec_b64 s[58:59], s[8:9]
	s_cbranch_execz .LBB70_88
; %bb.69:
	v_add_u32_e32 v5, 5, v99
	v_cmp_gt_u32_e64 s[10:11], s7, v5
	v_mov_b32_e32 v5, 0
	v_mov_b32_e32 v33, 0
	;; [unrolled: 1-line block ×17, first 2 shown]
	v_cmp_ne_u32_e64 s[8:9], v68, v63
	s_mov_b64 s[12:13], 0
	v_mov_b32_e32 v89, 0
	v_mov_b32_e32 v6, 0
	;; [unrolled: 1-line block ×34, first 2 shown]
                                        ; implicit-def: $sgpr26_sgpr27
                                        ; implicit-def: $vgpr35_vgpr36
	s_and_saveexec_b64 s[60:61], s[10:11]
	s_cbranch_execz .LBB70_87
; %bb.70:
	ds_read2_b64 v[17:20], v4 offset0:5 offset1:6
	v_add_u32_e32 v5, 6, v99
	v_cmp_gt_u32_e64 s[12:13], s7, v5
	v_mov_b32_e32 v5, 0
	v_mov_b32_e32 v33, 0
	;; [unrolled: 1-line block ×15, first 2 shown]
	v_cmp_ne_u32_e64 s[10:11], v63, v65
	s_mov_b64 s[16:17], 0
	v_mov_b32_e32 v89, 0
	v_mov_b32_e32 v6, 0
	v_mov_b32_e32 v88, 0
	v_mov_b32_e32 v93, 0
	v_mov_b32_e32 v34, 0
	v_mov_b32_e32 v90, 0
	v_mov_b32_e32 v32, 0
	v_mov_b32_e32 v40, 0
	v_mov_b32_e32 v91, 0
	v_mov_b32_e32 v38, 0
	v_mov_b32_e32 v92, 0
	v_mov_b32_e32 v44, 0
	v_mov_b32_e32 v42, 0
	v_mov_b32_e32 v72, 0
	v_mov_b32_e32 v73, 0
	v_mov_b32_e32 v79, 0
	v_mov_b32_e32 v75, v86
	v_mov_b32_e32 v71, 0
	v_mov_b32_e32 v8, 0
	v_mov_b32_e32 v54, 0
	v_mov_b32_e32 v74, 0
	v_mov_b32_e32 v30, 0
	v_mov_b32_e32 v76, 0
	v_mov_b32_e32 v56, 0
	v_mov_b32_e32 v26, 0
	v_mov_b32_e32 v77, 0
	v_mov_b32_e32 v28, 0
	v_mov_b32_e32 v22, 0
	v_mov_b32_e32 v24, 0
	v_mov_b32_e32 v78, 0
                                        ; implicit-def: $sgpr26_sgpr27
                                        ; implicit-def: $vgpr35_vgpr36
	s_and_saveexec_b64 s[62:63], s[12:13]
	s_cbranch_execz .LBB70_86
; %bb.71:
	v_add_u32_e32 v5, 7, v99
	v_cmp_gt_u32_e64 s[12:13], s7, v5
	v_mov_b32_e32 v5, 0
	v_mov_b32_e32 v33, 0
	;; [unrolled: 1-line block ×40, first 2 shown]
                                        ; implicit-def: $sgpr26_sgpr27
                                        ; implicit-def: $vgpr35_vgpr36
	s_and_saveexec_b64 s[64:65], s[12:13]
	s_cbranch_execz .LBB70_85
; %bb.72:
	ds_read2_b64 v[21:24], v4 offset0:7 offset1:8
	v_add_u32_e32 v5, 8, v99
	v_cmp_gt_u32_e64 s[16:17], s7, v5
	v_mov_b32_e32 v5, 0
	v_mov_b32_e32 v33, 0
	;; [unrolled: 1-line block ×11, first 2 shown]
	v_cmp_ne_u32_e64 s[12:13], v66, v64
	s_mov_b64 s[20:21], 0
	v_mov_b32_e32 v89, 0
	v_mov_b32_e32 v6, 0
	;; [unrolled: 1-line block ×22, first 2 shown]
                                        ; implicit-def: $sgpr26_sgpr27
                                        ; implicit-def: $vgpr35_vgpr36
	s_and_saveexec_b64 s[66:67], s[16:17]
	s_cbranch_execz .LBB70_84
; %bb.73:
	v_add_u32_e32 v5, 9, v99
	v_cmp_gt_u32_e64 s[20:21], s7, v5
	v_mov_b32_e32 v5, 0
	v_mov_b32_e32 v33, 0
	;; [unrolled: 1-line block ×9, first 2 shown]
	v_cmp_ne_u32_e64 s[16:17], v64, v61
	s_mov_b64 s[24:25], 0
	v_mov_b32_e32 v89, 0
	v_mov_b32_e32 v6, 0
	;; [unrolled: 1-line block ×18, first 2 shown]
                                        ; implicit-def: $sgpr26_sgpr27
                                        ; implicit-def: $vgpr35_vgpr36
	s_and_saveexec_b64 s[68:69], s[20:21]
	s_cbranch_execz .LBB70_83
; %bb.74:
	v_cndmask_b32_e64 v5, 0, 1, s[18:19]
	v_lshlrev_b16_e32 v37, 8, v5
	ds_read2_b64 v[25:28], v4 offset0:9 offset1:10
	v_or_b32_e32 v5, v37, v49
	v_lshrrev_b32_e32 v88, 8, v5
	v_add_u32_e32 v5, 10, v99
	v_cmp_gt_u32_e64 s[18:19], s7, v5
	v_mov_b32_e32 v5, 0
	v_mov_b32_e32 v33, 0
	;; [unrolled: 1-line block ×8, first 2 shown]
	s_mov_b64 s[20:21], 0
	v_mov_b32_e32 v6, 0
	v_mov_b32_e32 v89, 0
	;; [unrolled: 1-line block ×15, first 2 shown]
                                        ; implicit-def: $sgpr26_sgpr27
                                        ; implicit-def: $vgpr35_vgpr36
	s_and_saveexec_b64 s[70:71], s[18:19]
	s_cbranch_execz .LBB70_82
; %bb.75:
	v_add_u32_e32 v5, 11, v99
	v_cmp_gt_u32_e64 s[20:21], s7, v5
	v_mov_b32_e32 v5, 0
	v_mov_b32_e32 v33, 0
	;; [unrolled: 1-line block ×5, first 2 shown]
	v_cmp_ne_u32_e64 s[18:19], v62, v97
	v_mov_b32_e32 v89, 0
	v_mov_b32_e32 v6, 0
	;; [unrolled: 1-line block ×8, first 2 shown]
                                        ; implicit-def: $sgpr26_sgpr27
                                        ; implicit-def: $vgpr35_vgpr36
	s_and_saveexec_b64 s[72:73], s[20:21]
	s_cbranch_execz .LBB70_81
; %bb.76:
	ds_read2_b64 v[29:32], v4 offset0:11 offset1:12
	v_add_u32_e32 v5, 12, v99
	v_cmp_gt_u32_e64 s[24:25], s7, v5
	v_mov_b32_e32 v5, 0
	v_mov_b32_e32 v7, 0
	;; [unrolled: 1-line block ×3, first 2 shown]
	v_cmp_ne_u32_e64 s[20:21], v97, v59
	s_mov_b64 s[76:77], 0
	v_mov_b32_e32 v6, 0
	v_mov_b32_e32 v8, 0
	;; [unrolled: 1-line block ×4, first 2 shown]
                                        ; implicit-def: $sgpr26_sgpr27
                                        ; implicit-def: $vgpr35_vgpr36
	s_and_saveexec_b64 s[74:75], s[24:25]
	s_cbranch_execz .LBB70_80
; %bb.77:
	v_add_u32_e32 v6, 13, v99
	v_mov_b32_e32 v7, 0
	v_cndmask_b32_e64 v5, 0, 1, s[14:15]
	v_cmp_gt_u32_e64 s[14:15], s7, v6
	s_mov_b64 s[24:25], 0
	v_mov_b32_e32 v8, 0
	v_mov_b32_e32 v71, 0
                                        ; implicit-def: $sgpr26_sgpr27
                                        ; implicit-def: $vgpr35_vgpr36
	s_and_saveexec_b64 s[76:77], s[14:15]
	s_xor_b64 s[76:77], exec, s[76:77]
	s_cbranch_execz .LBB70_79
; %bb.78:
	ds_read2_b64 v[33:36], v4 offset0:13 offset1:14
	v_cmp_ne_u32_e64 s[14:15], v60, v57
	v_add_u32_e32 v4, 14, v99
	v_cndmask_b32_e64 v71, 0, 1, s[14:15]
	v_cmp_gt_u32_e64 s[14:15], s7, v4
	s_waitcnt lgkmcnt(0)
	v_mov_b32_e32 v7, v33
	v_cmp_ne_u32_e64 s[26:27], v57, v58
	s_and_b64 s[24:25], s[14:15], exec
	v_mov_b32_e32 v8, v34
.LBB70_79:
	s_or_b64 exec, exec, s[76:77]
	v_or_b32_e32 v87, v5, v37
	s_waitcnt lgkmcnt(0)
	v_mov_b32_e32 v5, v31
	v_mov_b32_e32 v54, v32
	s_and_b64 s[76:77], s[24:25], exec
	v_mov_b32_e32 v6, v32
	v_mov_b32_e32 v53, v31
.LBB70_80:
	s_or_b64 exec, exec, s[74:75]
	s_waitcnt lgkmcnt(0)
	v_mov_b32_e32 v34, v30
	v_cndmask_b32_e64 v89, 0, 1, s[20:21]
	s_and_b64 s[24:25], s[76:77], exec
	v_mov_b32_e32 v33, v29
	v_mov_b32_e32 v72, v87
.LBB70_81:
	s_or_b64 exec, exec, s[72:73]
	v_cndmask_b32_e64 v90, 0, 1, s[18:19]
	s_waitcnt lgkmcnt(0)
	v_mov_b32_e32 v32, v28
	v_mov_b32_e32 v56, v28
	s_and_b64 s[20:21], s[24:25], exec
	v_mov_b32_e32 v31, v27
	v_mov_b32_e32 v73, v88
	v_mov_b32_e32 v75, v86
	v_mov_b32_e32 v74, v89
	v_mov_b32_e32 v76, v90
	v_mov_b32_e32 v55, v27
.LBB70_82:
	s_or_b64 exec, exec, s[70:71]
	s_waitcnt lgkmcnt(0)
	v_mov_b32_e32 v40, v26
	s_and_b64 s[24:25], s[20:21], exec
	v_mov_b32_e32 v39, v25
.LBB70_83:
	s_or_b64 exec, exec, s[68:69]
	v_cndmask_b32_e64 v91, 0, 1, s[16:17]
	s_waitcnt lgkmcnt(0)
	v_mov_b32_e32 v38, v24
	v_mov_b32_e32 v28, v24
	s_and_b64 s[20:21], s[24:25], exec
	v_mov_b32_e32 v37, v23
	v_mov_b32_e32 v77, v91
	;; [unrolled: 1-line block ×3, first 2 shown]
.LBB70_84:
	s_or_b64 exec, exec, s[66:67]
	v_cndmask_b32_e64 v92, 0, 1, s[12:13]
	s_waitcnt lgkmcnt(0)
	v_mov_b32_e32 v44, v22
	s_and_b64 s[16:17], s[20:21], exec
	v_mov_b32_e32 v43, v21
	v_mov_b32_e32 v78, v92
.LBB70_85:
	s_or_b64 exec, exec, s[64:65]
	s_waitcnt lgkmcnt(0)
	v_mov_b32_e32 v42, v20
	v_mov_b32_e32 v24, v20
	s_and_b64 s[16:17], s[16:17], exec
	v_mov_b32_e32 v93, v3
	v_mov_b32_e32 v41, v19
	;; [unrolled: 1-line block ×4, first 2 shown]
.LBB70_86:
	s_or_b64 exec, exec, s[62:63]
	v_cndmask_b32_e64 v94, 0, 1, s[10:11]
	s_waitcnt lgkmcnt(0)
	v_mov_b32_e32 v48, v18
	s_and_b64 s[12:13], s[16:17], exec
	v_mov_b32_e32 v47, v17
	v_mov_b32_e32 v80, v94
.LBB70_87:
	s_or_b64 exec, exec, s[60:61]
	v_cndmask_b32_e64 v95, 0, 1, s[8:9]
	s_waitcnt lgkmcnt(0)
	v_mov_b32_e32 v46, v16
	v_mov_b32_e32 v20, v16
	s_and_b64 s[10:11], s[12:13], exec
	v_mov_b32_e32 v45, v15
	v_mov_b32_e32 v82, v95
	;; [unrolled: 1-line block ×3, first 2 shown]
.LBB70_88:
	s_or_b64 exec, exec, s[58:59]
	s_waitcnt lgkmcnt(0)
	v_mov_b32_e32 v52, v14
	s_and_b64 s[10:11], s[10:11], exec
	v_mov_b32_e32 v51, v13
.LBB70_89:
	s_or_b64 exec, exec, s[42:43]
	v_cndmask_b32_e64 v96, 0, 1, s[22:23]
	s_waitcnt lgkmcnt(0)
	v_mov_b32_e32 v50, v12
	v_mov_b32_e32 v16, v12
	s_and_b64 s[10:11], s[10:11], exec
	v_mov_b32_e32 v49, v11
	v_mov_b32_e32 v84, v96
	;; [unrolled: 1-line block ×3, first 2 shown]
.LBB70_90:
	s_or_b64 exec, exec, s[36:37]
	v_cndmask_b32_e64 v98, 0, 1, s[2:3]
	s_waitcnt lgkmcnt(0)
	v_mov_b32_e32 v3, v9
	s_and_b64 s[8:9], s[10:11], exec
	v_mov_b32_e32 v4, v10
	v_mov_b32_e32 v85, v98
.LBB70_91:
	s_or_b64 exec, exec, s[34:35]
	v_cndmask_b32_e64 v100, 0, 1, vcc
	s_and_b64 s[8:9], s[8:9], exec
	v_mov_b32_e32 v83, v100
.LBB70_92:
	s_or_b64 exec, exec, s[30:31]
	s_and_b64 vcc, exec, s[28:29]
	v_cmp_ne_u32_e64 s[2:3], 0, v0
	s_cbranch_vccz .LBB70_96
.LBB70_93:
	s_waitcnt lgkmcnt(0)
	global_load_dword v1, v81, s[56:57]
	global_load_dword v2, v81, s[56:57] offset:256
	global_load_dword v3, v81, s[56:57] offset:512
	;; [unrolled: 1-line block ×14, first 2 shown]
	s_sub_u32 s8, 0, s6
	s_subb_u32 s9, 0, 0
	s_cmp_eq_u64 s[40:41], s[8:9]
	v_mad_u32_u24 v18, v0, 56, v81
	s_movk_i32 s7, 0xffc8
	s_cselect_b32 s8, 0, -4
	v_mad_i32_i24 v15, v0, s7, v18
	s_cselect_b32 s7, 0, -1
	s_add_u32 s8, s56, s8
	s_addc_u32 s9, s57, s7
	s_waitcnt vmcnt(13)
	ds_write2st64_b32 v81, v1, v2 offset1:1
	s_waitcnt vmcnt(11)
	ds_write2st64_b32 v81, v3, v4 offset0:2 offset1:3
	s_waitcnt vmcnt(9)
	ds_write2st64_b32 v81, v5, v6 offset0:4 offset1:5
	;; [unrolled: 2-line block ×6, first 2 shown]
	s_waitcnt vmcnt(0)
	ds_write_b32 v81, v16 offset:3584
	s_waitcnt lgkmcnt(0)
	; wave barrier
	ds_read2_b32 v[7:8], v18 offset0:4 offset1:7
	ds_read2_b32 v[13:14], v18 offset0:13 offset1:14
	s_load_dword s7, s[8:9], 0x0
	ds_read2_b32 v[1:2], v18 offset1:1
	ds_read2_b32 v[3:4], v18 offset0:2 offset1:3
	ds_read2_b32 v[5:6], v18 offset0:5 offset1:6
	ds_read2_b32 v[9:10], v18 offset0:8 offset1:9
	ds_read_b32 v17, v18 offset:40
	ds_read2_b32 v[11:12], v18 offset0:11 offset1:12
	s_waitcnt lgkmcnt(0)
	ds_write_b32 v15, v14 offset:3840
	v_mov_b32_e32 v16, s7
	s_waitcnt lgkmcnt(0)
	; wave barrier
	s_and_saveexec_b64 s[8:9], s[2:3]
; %bb.94:
	ds_read_b32 v16, v15 offset:3836
; %bb.95:
	s_or_b64 exec, exec, s[8:9]
	v_lshlrev_b32_e32 v34, 3, v0
	v_mov_b32_e32 v18, s39
	v_add_co_u32_e32 v35, vcc, s38, v34
	v_addc_co_u32_e32 v36, vcc, 0, v18, vcc
	s_movk_i32 s2, 0x1000
	s_waitcnt lgkmcnt(0)
	; wave barrier
	global_load_dwordx2 v[18:19], v34, s[38:39]
	global_load_dwordx2 v[20:21], v34, s[38:39] offset:512
	global_load_dwordx2 v[22:23], v34, s[38:39] offset:1024
	;; [unrolled: 1-line block ×7, first 2 shown]
	v_add_co_u32_e32 v34, vcc, s2, v35
	v_addc_co_u32_e32 v35, vcc, 0, v36, vcc
	global_load_dwordx2 v[36:37], v[34:35], off
	global_load_dwordx2 v[38:39], v[34:35], off offset:512
	global_load_dwordx2 v[40:41], v[34:35], off offset:1024
	;; [unrolled: 1-line block ×6, first 2 shown]
	v_cmp_ne_u32_e32 vcc, v12, v13
	v_cndmask_b32_e64 v71, 0, 1, vcc
	v_cmp_ne_u32_e32 vcc, v17, v11
	v_cndmask_b32_e64 v89, 0, 1, vcc
	;; [unrolled: 2-line block ×11, first 2 shown]
	v_cmp_ne_u32_e32 vcc, v2, v3
	v_lshlrev_b16_e32 v3, 8, v4
	v_cndmask_b32_e64 v96, 0, 1, vcc
	v_cmp_ne_u32_e32 vcc, v1, v2
	v_or_b32_e32 v93, v5, v3
	v_cndmask_b32_e64 v98, 0, 1, vcc
	v_cmp_ne_u32_e32 vcc, v16, v1
	v_lshl_add_u32 v1, v0, 2, v15
	s_movk_i32 s2, 0x70
	v_lshlrev_b16_e32 v2, 8, v7
	v_lshlrev_b32_e32 v3, 16, v93
	v_mad_u32_u24 v9, v0, s2, v1
	v_or_b32_e32 v87, v8, v2
	v_or_b32_e32 v2, v2, v3
	v_lshrrev_b32_e32 v86, 24, v3
	v_lshrrev_b32_e32 v88, 8, v2
	v_cmp_ne_u32_e64 s[26:27], v13, v14
	v_cndmask_b32_e64 v100, 0, 1, vcc
	s_mov_b64 s[8:9], -1
	v_mov_b32_e32 v72, v87
	v_mov_b32_e32 v73, v88
	;; [unrolled: 1-line block ×13, first 2 shown]
	s_waitcnt vmcnt(13)
	ds_write2st64_b64 v1, v[18:19], v[20:21] offset1:1
	s_waitcnt vmcnt(11)
	ds_write2st64_b64 v1, v[22:23], v[24:25] offset0:2 offset1:3
	s_waitcnt vmcnt(9)
	ds_write2st64_b64 v1, v[26:27], v[28:29] offset0:4 offset1:5
	;; [unrolled: 2-line block ×6, first 2 shown]
	s_waitcnt vmcnt(0)
	ds_write_b64 v1, v[48:49] offset:7168
	s_waitcnt lgkmcnt(0)
	; wave barrier
	ds_read2_b64 v[1:4], v9 offset1:1
	ds_read2_b64 v[49:52], v9 offset0:2 offset1:3
	ds_read2_b64 v[45:48], v9 offset0:4 offset1:5
	;; [unrolled: 1-line block ×6, first 2 shown]
	ds_read_b64 v[35:36], v9 offset:112
	s_waitcnt lgkmcnt(4)
	v_mov_b32_e32 v21, v43
	s_waitcnt lgkmcnt(3)
	v_mov_b32_e32 v25, v39
	s_waitcnt lgkmcnt(2)
	v_mov_b32_e32 v29, v33
	s_waitcnt lgkmcnt(1)
	v_mov_b32_e32 v54, v6
	v_mov_b32_e32 v56, v32
	v_mov_b32_e32 v27, v37
	;; [unrolled: 1-line block ×20, first 2 shown]
.LBB70_96:
	v_mov_b32_e32 v11, 0
	v_mov_b32_e32 v12, 0
	;; [unrolled: 1-line block ×3, first 2 shown]
	s_and_saveexec_b64 s[2:3], s[8:9]
	s_cbranch_execz .LBB70_98
; %bb.97:
	v_mov_b32_e32 v10, v4
	v_mov_b32_e32 v15, v49
	;; [unrolled: 1-line block ×12, first 2 shown]
	s_waitcnt lgkmcnt(0)
	v_mov_b32_e32 v11, v35
	v_cndmask_b32_e64 v65, 0, 1, s[26:27]
	v_mov_b32_e32 v83, v100
	v_mov_b32_e32 v9, v3
	;; [unrolled: 1-line block ×26, first 2 shown]
.LBB70_98:
	s_or_b64 exec, exec, s[2:3]
	s_cmp_lg_u32 s6, 0
	v_or_b32_e32 v67, v74, v76
	v_cmp_eq_u16_e64 s[2:3], 0, v65
	v_mbcnt_lo_u32_b32 v66, -1, 0
	s_waitcnt lgkmcnt(0)
	; wave barrier
	s_cbranch_scc0 .LBB70_152
; %bb.99:
	v_mov_b32_e32 v5, 0
	v_cmp_eq_u16_sdwa s[8:9], v85, v5 src0_sel:BYTE_0 src1_sel:DWORD
	v_and_b32_e32 v3, 1, v83
	v_cndmask_b32_e64 v4, 0, v1, s[8:9]
	v_cmp_eq_u32_e64 s[34:35], 1, v3
	v_cndmask_b32_e64 v3, 0, v2, s[8:9]
	v_add_co_u32_e32 v4, vcc, v4, v9
	v_cmp_eq_u16_sdwa s[38:39], v84, v5 src0_sel:BYTE_0 src1_sel:DWORD
	v_addc_co_u32_e32 v3, vcc, v3, v10, vcc
	v_cndmask_b32_e64 v4, 0, v4, s[38:39]
	v_cndmask_b32_e64 v3, 0, v3, s[38:39]
	v_add_co_u32_e32 v4, vcc, v4, v15
	v_cmp_eq_u16_sdwa s[10:11], v75, v5 src0_sel:BYTE_0 src1_sel:DWORD
	v_addc_co_u32_e32 v3, vcc, v3, v16, vcc
	v_cndmask_b32_e64 v4, 0, v4, s[10:11]
	v_or_b32_e32 v6, v84, v85
	v_cndmask_b32_e64 v3, 0, v3, s[10:11]
	v_add_co_u32_e32 v4, vcc, v4, v13
	v_cmp_ne_u16_sdwa s[12:13], v6, v5 src0_sel:BYTE_0 src1_sel:DWORD
	v_addc_co_u32_e32 v3, vcc, v3, v14, vcc
	v_and_b32_e32 v6, 1, v75
	v_cmp_eq_u16_sdwa s[14:15], v82, v5 src0_sel:BYTE_0 src1_sel:DWORD
	v_cmp_eq_u32_e32 vcc, 1, v6
	v_cndmask_b32_e64 v4, 0, v4, s[14:15]
	s_or_b64 s[36:37], s[12:13], vcc
	v_cndmask_b32_e64 v3, 0, v3, s[14:15]
	v_add_co_u32_e32 v4, vcc, v4, v19
	v_cmp_eq_u16_sdwa s[12:13], v80, v5 src0_sel:BYTE_0 src1_sel:DWORD
	v_addc_co_u32_e32 v3, vcc, v3, v20, vcc
	v_cndmask_b32_e64 v4, 0, v4, s[12:13]
	v_cndmask_b32_e64 v3, 0, v3, s[12:13]
	v_add_co_u32_e32 v4, vcc, v4, v17
	v_cmp_eq_u16_sdwa s[16:17], v79, v5 src0_sel:BYTE_0 src1_sel:DWORD
	v_addc_co_u32_e32 v3, vcc, v3, v18, vcc
	v_cndmask_b32_e64 v4, 0, v4, s[16:17]
	v_or_b32_e32 v6, v80, v82
	v_cndmask_b32_e64 v3, 0, v3, s[16:17]
	v_add_co_u32_e32 v4, vcc, v4, v23
	v_cmp_ne_u16_sdwa s[18:19], v6, v5 src0_sel:BYTE_0 src1_sel:DWORD
	v_addc_co_u32_e32 v3, vcc, v3, v24, vcc
	v_and_b32_e32 v6, 1, v79
	v_cmp_eq_u16_sdwa s[20:21], v78, v5 src0_sel:BYTE_0 src1_sel:DWORD
	v_cmp_eq_u32_e32 vcc, 1, v6
	v_cndmask_b32_e64 v4, 0, v4, s[20:21]
	s_or_b64 s[40:41], s[18:19], vcc
	;; [unrolled: 20-line block ×3, first 2 shown]
	v_cndmask_b32_e64 v3, 0, v3, s[28:29]
	v_add_co_u32_e32 v4, vcc, v4, v55
	v_cmp_eq_u16_sdwa s[24:25], v74, v5 src0_sel:BYTE_0 src1_sel:DWORD
	v_addc_co_u32_e32 v3, vcc, v3, v56, vcc
	v_cndmask_b32_e64 v4, 0, v4, s[24:25]
	v_cndmask_b32_e64 v3, 0, v3, s[24:25]
	v_add_co_u32_e32 v4, vcc, v4, v29
	v_cmp_eq_u16_sdwa s[26:27], v72, v5 src0_sel:BYTE_0 src1_sel:DWORD
	v_addc_co_u32_e32 v3, vcc, v3, v30, vcc
	v_cndmask_b32_e64 v4, 0, v4, s[26:27]
	v_cndmask_b32_e64 v3, 0, v3, s[26:27]
	v_add_co_u32_e32 v4, vcc, v4, v53
	v_addc_co_u32_e32 v3, vcc, v3, v54, vcc
	v_and_b32_e32 v6, 1, v72
	v_cmp_ne_u16_sdwa s[30:31], v67, v5 src0_sel:BYTE_0 src1_sel:DWORD
	v_cmp_eq_u32_e32 vcc, 1, v6
	s_or_b64 s[56:57], s[30:31], vcc
	v_cmp_eq_u16_sdwa s[30:31], v71, v5 src0_sel:BYTE_0 src1_sel:DWORD
	v_cndmask_b32_e64 v4, 0, v4, s[30:31]
	v_cndmask_b32_e64 v3, 0, v3, s[30:31]
	v_add_co_u32_e32 v4, vcc, v4, v7
	v_addc_co_u32_e32 v3, vcc, v3, v8, vcc
	v_cndmask_b32_e64 v6, 0, v3, s[2:3]
	v_cndmask_b32_e64 v3, 0, v4, s[2:3]
	v_add_co_u32_e32 v3, vcc, v3, v11
	v_addc_co_u32_e32 v4, vcc, v6, v12, vcc
	v_or_b32_e32 v6, v65, v71
	v_cmp_ne_u16_sdwa s[58:59], v6, v5 src0_sel:BYTE_0 src1_sel:DWORD
	s_or_b64 s[56:57], s[58:59], s[56:57]
	s_or_b64 s[42:43], s[56:57], s[42:43]
	;; [unrolled: 1-line block ×5, first 2 shown]
	v_mbcnt_hi_u32_b32 v6, -1, v66
	v_and_b32_e32 v32, 15, v6
	v_cndmask_b32_e64 v31, 0, 1, s[40:41]
	v_cndmask_b32_e64 v5, 0, 1, s[40:41]
	v_mov_b32_dpp v33, v3 row_shr:1 row_mask:0xf bank_mask:0xf
	v_mov_b32_dpp v34, v4 row_shr:1 row_mask:0xf bank_mask:0xf
	v_mov_b32_dpp v35, v31 row_shr:1 row_mask:0xf bank_mask:0xf
	v_cmp_ne_u32_e32 vcc, 0, v32
	s_and_saveexec_b64 s[36:37], vcc
; %bb.100:
	v_and_b32_e32 v31, 1, v35
	v_cndmask_b32_e64 v33, v33, 0, s[40:41]
	v_or_b32_e32 v5, v31, v5
	v_cndmask_b32_e64 v31, v34, 0, s[40:41]
	v_add_co_u32_e32 v3, vcc, v33, v3
	v_addc_co_u32_e32 v4, vcc, v31, v4, vcc
	v_and_b32_e32 v31, 0xffff, v5
; %bb.101:
	s_or_b64 exec, exec, s[36:37]
	v_mov_b32_dpp v33, v3 row_shr:2 row_mask:0xf bank_mask:0xf
	v_mov_b32_dpp v34, v4 row_shr:2 row_mask:0xf bank_mask:0xf
	v_mov_b32_dpp v35, v31 row_shr:2 row_mask:0xf bank_mask:0xf
	v_cmp_lt_u32_e32 vcc, 1, v32
	s_and_saveexec_b64 s[40:41], vcc
	s_cbranch_execz .LBB70_103
; %bb.102:
	v_and_b32_e32 v31, 1, v5
	v_cmp_eq_u32_e32 vcc, 1, v31
	v_and_b32_e32 v31, 1, v35
	v_cmp_eq_u32_e64 s[36:37], 1, v31
	s_or_b64 s[36:37], vcc, s[36:37]
	v_cmp_eq_u16_e32 vcc, 0, v5
	v_cndmask_b32_e32 v31, 0, v33, vcc
	v_cndmask_b32_e64 v35, 0, 1, s[36:37]
	v_cndmask_b32_e32 v5, 0, v34, vcc
	v_add_co_u32_e32 v3, vcc, v31, v3
	v_addc_co_u32_e32 v4, vcc, v5, v4, vcc
	v_cndmask_b32_e64 v31, 0, 1, s[36:37]
	v_mov_b32_e32 v5, v35
.LBB70_103:
	s_or_b64 exec, exec, s[40:41]
	v_mov_b32_dpp v33, v3 row_shr:4 row_mask:0xf bank_mask:0xf
	v_mov_b32_dpp v34, v4 row_shr:4 row_mask:0xf bank_mask:0xf
	v_mov_b32_dpp v35, v31 row_shr:4 row_mask:0xf bank_mask:0xf
	v_cmp_lt_u32_e32 vcc, 3, v32
	s_and_saveexec_b64 s[40:41], vcc
	s_cbranch_execz .LBB70_105
; %bb.104:
	v_and_b32_e32 v31, 1, v5
	v_cmp_eq_u32_e32 vcc, 1, v31
	v_and_b32_e32 v31, 1, v35
	v_cmp_eq_u32_e64 s[36:37], 1, v31
	s_or_b64 s[36:37], vcc, s[36:37]
	v_cmp_eq_u16_e32 vcc, 0, v5
	v_cndmask_b32_e32 v31, 0, v33, vcc
	v_cndmask_b32_e64 v35, 0, 1, s[36:37]
	v_cndmask_b32_e32 v5, 0, v34, vcc
	v_add_co_u32_e32 v3, vcc, v31, v3
	v_addc_co_u32_e32 v4, vcc, v5, v4, vcc
	v_cndmask_b32_e64 v31, 0, 1, s[36:37]
	v_mov_b32_e32 v5, v35
.LBB70_105:
	;; [unrolled: 22-line block ×3, first 2 shown]
	s_or_b64 exec, exec, s[40:41]
	v_and_b32_e32 v35, 16, v6
	v_mov_b32_dpp v32, v3 row_bcast:15 row_mask:0xf bank_mask:0xf
	v_mov_b32_dpp v33, v4 row_bcast:15 row_mask:0xf bank_mask:0xf
	;; [unrolled: 1-line block ×3, first 2 shown]
	v_cmp_ne_u32_e32 vcc, 0, v35
	s_and_saveexec_b64 s[40:41], vcc
	s_cbranch_execz .LBB70_109
; %bb.108:
	v_and_b32_e32 v31, 1, v5
	v_cmp_eq_u32_e32 vcc, 1, v31
	v_and_b32_e32 v31, 1, v34
	v_cmp_eq_u32_e64 s[36:37], 1, v31
	s_or_b64 s[36:37], vcc, s[36:37]
	v_cmp_eq_u16_e32 vcc, 0, v5
	v_cndmask_b32_e32 v31, 0, v32, vcc
	v_cndmask_b32_e64 v34, 0, 1, s[36:37]
	v_cndmask_b32_e32 v5, 0, v33, vcc
	v_add_co_u32_e32 v3, vcc, v31, v3
	v_addc_co_u32_e32 v4, vcc, v5, v4, vcc
	v_cndmask_b32_e64 v31, 0, 1, s[36:37]
	v_mov_b32_e32 v5, v34
.LBB70_109:
	s_or_b64 exec, exec, s[40:41]
	v_mov_b32_dpp v32, v3 row_bcast:31 row_mask:0xf bank_mask:0xf
	v_mov_b32_dpp v33, v4 row_bcast:31 row_mask:0xf bank_mask:0xf
	;; [unrolled: 1-line block ×3, first 2 shown]
	v_cmp_lt_u32_e32 vcc, 31, v6
	s_and_saveexec_b64 s[40:41], vcc
	s_cbranch_execz .LBB70_111
; %bb.110:
	v_and_b32_e32 v34, 1, v5
	v_and_b32_e32 v31, 1, v31
	v_cmp_eq_u32_e32 vcc, 1, v34
	v_cmp_eq_u32_e64 s[36:37], 1, v31
	s_or_b64 s[36:37], vcc, s[36:37]
	v_cmp_eq_u16_e32 vcc, 0, v5
	v_cndmask_b32_e32 v32, 0, v32, vcc
	v_cndmask_b32_e64 v31, 0, 1, s[36:37]
	v_cndmask_b32_e32 v5, 0, v33, vcc
	v_add_co_u32_e32 v3, vcc, v32, v3
	v_addc_co_u32_e32 v4, vcc, v5, v4, vcc
	v_mov_b32_e32 v5, v31
.LBB70_111:
	s_or_b64 exec, exec, s[40:41]
	v_cmp_eq_u32_e32 vcc, 63, v0
	s_and_saveexec_b64 s[36:37], vcc
	s_cbranch_execz .LBB70_113
; %bb.112:
	v_mov_b32_e32 v31, 0
	ds_write_b64 v31, v[3:4]
	ds_write_b8 v31, v5 offset:8
.LBB70_113:
	s_or_b64 exec, exec, s[36:37]
	v_add_u32_e32 v31, -1, v6
	v_and_b32_e32 v32, 64, v6
	v_cmp_lt_i32_e32 vcc, v31, v32
	v_cndmask_b32_e32 v31, v31, v6, vcc
	v_lshlrev_b32_e32 v31, 2, v31
	ds_bpermute_b32 v38, v31, v3
	v_and_b32_e32 v3, 0xffff, v5
	ds_bpermute_b32 v39, v31, v4
	ds_bpermute_b32 v37, v31, v3
	v_cmp_gt_u32_e32 vcc, 64, v0
	s_waitcnt lgkmcnt(0)
	; wave barrier
	s_and_saveexec_b64 s[42:43], vcc
	s_cbranch_execz .LBB70_157
; %bb.114:
	v_mov_b32_e32 v32, 0
	ds_read_b64 v[3:4], v32
	ds_read_u8 v40, v32 offset:8
	s_mov_b32 s57, 0
	v_cmp_eq_u32_e64 s[36:37], 0, v6
	s_and_saveexec_b64 s[40:41], s[36:37]
	s_cbranch_execz .LBB70_116
; %bb.115:
	s_add_i32 s56, s6, 64
	s_lshl_b64 s[58:59], s[56:57], 4
	s_add_u32 s58, s44, s58
	s_addc_u32 s59, s45, s59
	v_mov_b32_e32 v5, 1
	v_mov_b32_e32 v31, s56
	s_waitcnt lgkmcnt(1)
	global_store_dwordx2 v32, v[3:4], s[58:59]
	s_waitcnt lgkmcnt(0)
	global_store_byte v32, v40, s[58:59] offset:8
	s_waitcnt vmcnt(0)
	buffer_wbinvl1_vol
	global_store_byte v31, v5, s[48:49]
.LBB70_116:
	s_or_b64 exec, exec, s[40:41]
	v_xad_u32 v5, v6, -1, s6
	v_add_u32_e32 v31, 64, v5
	global_load_ubyte v41, v31, s[48:49] glc
	s_waitcnt vmcnt(0)
	v_cmp_eq_u16_e32 vcc, 0, v41
	s_and_saveexec_b64 s[40:41], vcc
	s_cbranch_execz .LBB70_120
; %bb.117:
	v_mov_b32_e32 v34, s49
	v_add_co_u32_e32 v33, vcc, s48, v31
	v_addc_co_u32_e32 v34, vcc, 0, v34, vcc
	s_mov_b64 s[56:57], 0
.LBB70_118:                             ; =>This Inner Loop Header: Depth=1
	global_load_ubyte v41, v[33:34], off glc
	s_waitcnt vmcnt(0)
	v_cmp_ne_u16_e32 vcc, 0, v41
	s_or_b64 s[56:57], vcc, s[56:57]
	s_andn2_b64 exec, exec, s[56:57]
	s_cbranch_execnz .LBB70_118
; %bb.119:
	s_or_b64 exec, exec, s[56:57]
.LBB70_120:
	s_or_b64 exec, exec, s[40:41]
	v_mov_b32_e32 v33, s47
	v_mov_b32_e32 v34, s45
	v_cmp_eq_u16_e32 vcc, 1, v41
	v_cndmask_b32_e32 v33, v33, v34, vcc
	v_mov_b32_e32 v34, s46
	v_mov_b32_e32 v35, s44
	v_lshlrev_b64 v[31:32], 4, v[31:32]
	v_cndmask_b32_e32 v34, v34, v35, vcc
	v_add_co_u32_e32 v31, vcc, v34, v31
	v_addc_co_u32_e32 v32, vcc, v33, v32, vcc
	s_waitcnt lgkmcnt(0)
	buffer_wbinvl1_vol
	global_load_dwordx2 v[35:36], v[31:32], off
	global_load_ubyte v60, v[31:32], off offset:8
	v_and_b32_e32 v34, 63, v6
	v_lshlrev_b64 v[31:32], v6, -1
	v_cmp_ne_u32_e64 s[40:41], 63, v34
	v_cmp_eq_u16_e32 vcc, 2, v41
	v_addc_co_u32_e64 v33, s[40:41], 0, v6, s[40:41]
	v_and_b32_e32 v43, vcc_hi, v32
	v_lshlrev_b32_e32 v42, 2, v33
	v_or_b32_e32 v33, 0x80000000, v43
	v_and_b32_e32 v47, vcc_lo, v31
	v_ffbl_b32_e32 v33, v33
	v_add_u32_e32 v33, 32, v33
	v_ffbl_b32_e32 v43, v47
	v_min_u32_e32 v33, v43, v33
	v_add_u32_e32 v43, 1, v6
	v_cmp_le_u32_e32 vcc, v43, v33
	s_waitcnt vmcnt(1)
	ds_bpermute_b32 v45, v42, v35
	s_waitcnt vmcnt(0)
	v_and_b32_e32 v52, 1, v60
	ds_bpermute_b32 v46, v42, v36
	ds_bpermute_b32 v44, v42, v52
	s_and_saveexec_b64 s[40:41], vcc
	s_cbranch_execz .LBB70_122
; %bb.121:
	v_mov_b32_e32 v47, 0
	v_cmp_eq_u16_sdwa vcc, v60, v47 src0_sel:BYTE_0 src1_sel:DWORD
	s_waitcnt lgkmcnt(2)
	v_cndmask_b32_e32 v45, 0, v45, vcc
	s_waitcnt lgkmcnt(0)
	v_and_b32_e32 v44, 1, v44
	v_cndmask_b32_e32 v46, 0, v46, vcc
	v_add_co_u32_e32 v35, vcc, v45, v35
	v_or_b32_e32 v60, v44, v60
	v_addc_co_u32_e32 v36, vcc, v46, v36, vcc
	v_and_b32_e32 v52, 0xff, v60
.LBB70_122:
	s_or_b64 exec, exec, s[40:41]
	v_cmp_gt_u32_e32 vcc, 62, v34
	s_waitcnt lgkmcnt(0)
	v_cndmask_b32_e64 v44, 0, 2, vcc
	v_add_lshl_u32 v44, v44, v6, 2
	ds_bpermute_b32 v47, v44, v35
	ds_bpermute_b32 v48, v44, v36
	ds_bpermute_b32 v46, v44, v52
	v_add_u32_e32 v45, 2, v6
	v_cmp_le_u32_e32 vcc, v45, v33
	s_and_saveexec_b64 s[56:57], vcc
	s_cbranch_execz .LBB70_124
; %bb.123:
	v_mov_b32_e32 v49, 0
	v_cmp_eq_u16_sdwa vcc, v60, v49 src0_sel:BYTE_0 src1_sel:DWORD
	s_waitcnt lgkmcnt(2)
	v_cndmask_b32_e32 v47, 0, v47, vcc
	s_waitcnt lgkmcnt(1)
	v_cndmask_b32_e32 v48, 0, v48, vcc
	v_add_co_u32_e32 v35, vcc, v47, v35
	v_addc_co_u32_e32 v36, vcc, v48, v36, vcc
	v_and_b32_e32 v47, 1, v60
	s_waitcnt lgkmcnt(0)
	v_and_b32_e32 v46, 1, v46
	v_cmp_eq_u32_e32 vcc, 1, v47
	v_cmp_eq_u32_e64 s[40:41], 1, v46
	s_or_b64 s[40:41], vcc, s[40:41]
	v_cndmask_b32_e64 v60, 0, 1, s[40:41]
	v_cndmask_b32_e64 v52, 0, 1, s[40:41]
.LBB70_124:
	s_or_b64 exec, exec, s[56:57]
	v_cmp_gt_u32_e32 vcc, 60, v34
	s_waitcnt lgkmcnt(0)
	v_cndmask_b32_e64 v46, 0, 4, vcc
	v_add_lshl_u32 v46, v46, v6, 2
	ds_bpermute_b32 v49, v46, v35
	ds_bpermute_b32 v50, v46, v36
	ds_bpermute_b32 v48, v46, v52
	v_add_u32_e32 v47, 4, v6
	v_cmp_le_u32_e32 vcc, v47, v33
	s_and_saveexec_b64 s[56:57], vcc
	s_cbranch_execz .LBB70_126
; %bb.125:
	v_mov_b32_e32 v51, 0
	v_cmp_eq_u16_sdwa vcc, v60, v51 src0_sel:BYTE_0 src1_sel:DWORD
	s_waitcnt lgkmcnt(2)
	v_cndmask_b32_e32 v49, 0, v49, vcc
	s_waitcnt lgkmcnt(1)
	v_cndmask_b32_e32 v50, 0, v50, vcc
	v_add_co_u32_e32 v35, vcc, v49, v35
	v_addc_co_u32_e32 v36, vcc, v50, v36, vcc
	v_and_b32_e32 v49, 1, v60
	s_waitcnt lgkmcnt(0)
	v_and_b32_e32 v48, 1, v48
	v_cmp_eq_u32_e32 vcc, 1, v49
	v_cmp_eq_u32_e64 s[40:41], 1, v48
	s_or_b64 s[40:41], vcc, s[40:41]
	v_cndmask_b32_e64 v60, 0, 1, s[40:41]
	v_cndmask_b32_e64 v52, 0, 1, s[40:41]
.LBB70_126:
	;; [unrolled: 30-line block ×3, first 2 shown]
	s_or_b64 exec, exec, s[56:57]
	v_cmp_gt_u32_e32 vcc, 48, v34
	v_cndmask_b32_e64 v34, 0, 16, vcc
	s_waitcnt lgkmcnt(0)
	v_add_lshl_u32 v50, v34, v6, 2
	ds_bpermute_b32 v57, v50, v35
	ds_bpermute_b32 v58, v50, v36
	;; [unrolled: 1-line block ×3, first 2 shown]
	v_add_u32_e32 v51, 16, v6
	v_cmp_le_u32_e32 vcc, v51, v33
	s_and_saveexec_b64 s[56:57], vcc
	s_cbranch_execz .LBB70_130
; %bb.129:
	v_mov_b32_e32 v52, 0
	v_cmp_eq_u16_sdwa vcc, v60, v52 src0_sel:BYTE_0 src1_sel:DWORD
	s_waitcnt lgkmcnt(2)
	v_cndmask_b32_e32 v57, 0, v57, vcc
	s_waitcnt lgkmcnt(1)
	v_cndmask_b32_e32 v52, 0, v58, vcc
	v_add_co_u32_e32 v35, vcc, v57, v35
	v_addc_co_u32_e32 v36, vcc, v52, v36, vcc
	v_and_b32_e32 v52, 1, v60
	s_waitcnt lgkmcnt(0)
	v_and_b32_e32 v34, 1, v34
	v_cmp_eq_u32_e32 vcc, 1, v52
	v_cmp_eq_u32_e64 s[40:41], 1, v34
	s_or_b64 s[40:41], vcc, s[40:41]
	v_cndmask_b32_e64 v60, 0, 1, s[40:41]
	v_cndmask_b32_e64 v52, 0, 1, s[40:41]
.LBB70_130:
	s_or_b64 exec, exec, s[56:57]
	s_waitcnt lgkmcnt(0)
	v_mov_b32_e32 v34, 0x80
	v_lshl_or_b32 v57, v6, 2, v34
	ds_bpermute_b32 v59, v57, v35
	ds_bpermute_b32 v61, v57, v36
	;; [unrolled: 1-line block ×3, first 2 shown]
	v_add_u32_e32 v58, 32, v6
	v_cmp_le_u32_e32 vcc, v58, v33
	s_and_saveexec_b64 s[56:57], vcc
	s_cbranch_execz .LBB70_132
; %bb.131:
	v_mov_b32_e32 v6, 0
	v_cmp_eq_u16_sdwa vcc, v60, v6 src0_sel:BYTE_0 src1_sel:DWORD
	s_waitcnt lgkmcnt(2)
	v_cndmask_b32_e32 v33, 0, v59, vcc
	s_waitcnt lgkmcnt(1)
	v_cndmask_b32_e32 v6, 0, v61, vcc
	v_add_co_u32_e32 v35, vcc, v33, v35
	v_addc_co_u32_e32 v36, vcc, v6, v36, vcc
	v_and_b32_e32 v6, 1, v60
	v_cmp_eq_u32_e32 vcc, 1, v6
	s_waitcnt lgkmcnt(0)
	v_and_b32_e32 v6, 1, v34
	v_cmp_eq_u32_e64 s[40:41], 1, v6
	s_or_b64 s[40:41], vcc, s[40:41]
	v_cndmask_b32_e64 v60, 0, 1, s[40:41]
.LBB70_132:
	s_or_b64 exec, exec, s[56:57]
	v_mov_b32_e32 v6, 0
	s_waitcnt lgkmcnt(2)
	v_mov_b32_e32 v59, 2
	s_branch .LBB70_135
.LBB70_133:                             ;   in Loop: Header=BB70_135 Depth=1
	s_or_b64 exec, exec, s[58:59]
	v_cmp_eq_u16_sdwa vcc, v52, v6 src0_sel:BYTE_0 src1_sel:DWORD
	v_cndmask_b32_e32 v35, 0, v35, vcc
	v_cndmask_b32_e32 v36, 0, v36, vcc
	v_add_co_u32_e32 v35, vcc, v35, v33
	v_addc_co_u32_e32 v36, vcc, v36, v34, vcc
	v_and_b32_e32 v60, 1, v52
	v_cmp_eq_u32_e32 vcc, 1, v60
	s_or_b64 s[40:41], vcc, s[56:57]
	v_subrev_u32_e32 v5, 64, v5
	v_cndmask_b32_e64 v60, 0, 1, s[40:41]
	s_mov_b64 s[40:41], 0
.LBB70_134:                             ;   in Loop: Header=BB70_135 Depth=1
	s_and_b64 vcc, exec, s[40:41]
	s_cbranch_vccnz .LBB70_153
.LBB70_135:                             ; =>This Loop Header: Depth=1
                                        ;     Child Loop BB70_138 Depth 2
	s_waitcnt lgkmcnt(0)
	v_mov_b32_e32 v33, v35
	v_cmp_ne_u16_sdwa s[40:41], v41, v59 src0_sel:BYTE_0 src1_sel:DWORD
	v_mov_b32_e32 v52, v60
	v_mov_b32_e32 v34, v36
	s_cmp_lg_u64 s[40:41], exec
	s_mov_b64 s[40:41], -1
                                        ; implicit-def: $vgpr60
                                        ; implicit-def: $vgpr35_vgpr36
                                        ; implicit-def: $vgpr41
	s_cbranch_scc1 .LBB70_134
; %bb.136:                              ;   in Loop: Header=BB70_135 Depth=1
	global_load_ubyte v41, v5, s[48:49] glc
	s_waitcnt vmcnt(0)
	v_cmp_eq_u16_e32 vcc, 0, v41
	s_and_saveexec_b64 s[40:41], vcc
	s_cbranch_execz .LBB70_140
; %bb.137:                              ;   in Loop: Header=BB70_135 Depth=1
	v_mov_b32_e32 v36, s49
	v_add_co_u32_e32 v35, vcc, s48, v5
	v_addc_co_u32_e32 v36, vcc, 0, v36, vcc
	s_mov_b64 s[56:57], 0
.LBB70_138:                             ;   Parent Loop BB70_135 Depth=1
                                        ; =>  This Inner Loop Header: Depth=2
	global_load_ubyte v41, v[35:36], off glc
	s_waitcnt vmcnt(0)
	v_cmp_ne_u16_e32 vcc, 0, v41
	s_or_b64 s[56:57], vcc, s[56:57]
	s_andn2_b64 exec, exec, s[56:57]
	s_cbranch_execnz .LBB70_138
; %bb.139:                              ;   in Loop: Header=BB70_135 Depth=1
	s_or_b64 exec, exec, s[56:57]
.LBB70_140:                             ;   in Loop: Header=BB70_135 Depth=1
	s_or_b64 exec, exec, s[40:41]
	v_mov_b32_e32 v35, s47
	v_mov_b32_e32 v36, s45
	v_cmp_eq_u16_e32 vcc, 1, v41
	v_cndmask_b32_e32 v61, v35, v36, vcc
	v_mov_b32_e32 v35, s46
	v_mov_b32_e32 v36, s44
	v_cndmask_b32_e32 v60, v35, v36, vcc
	v_lshlrev_b64 v[35:36], 4, v[5:6]
	buffer_wbinvl1_vol
	v_add_co_u32_e32 v60, vcc, v60, v35
	v_addc_co_u32_e32 v61, vcc, v61, v36, vcc
	global_load_dwordx2 v[35:36], v[60:61], off
	s_nop 0
	global_load_ubyte v60, v[60:61], off offset:8
	v_cmp_eq_u16_e32 vcc, 2, v41
	v_and_b32_e32 v61, vcc_hi, v32
	v_or_b32_e32 v61, 0x80000000, v61
	v_and_b32_e32 v69, vcc_lo, v31
	v_ffbl_b32_e32 v61, v61
	v_add_u32_e32 v61, 32, v61
	v_ffbl_b32_e32 v69, v69
	v_min_u32_e32 v61, v69, v61
	v_cmp_le_u32_e32 vcc, v43, v61
	s_waitcnt vmcnt(1)
	ds_bpermute_b32 v64, v42, v35
	s_waitcnt vmcnt(0)
	v_and_b32_e32 v62, 1, v60
	ds_bpermute_b32 v68, v42, v36
	ds_bpermute_b32 v63, v42, v62
	v_cmp_eq_u32_e64 s[56:57], 1, v62
	s_and_saveexec_b64 s[40:41], vcc
	s_cbranch_execz .LBB70_142
; %bb.141:                              ;   in Loop: Header=BB70_135 Depth=1
	v_cmp_eq_u16_sdwa vcc, v60, v6 src0_sel:BYTE_0 src1_sel:DWORD
	s_waitcnt lgkmcnt(2)
	v_cndmask_b32_e32 v64, 0, v64, vcc
	s_waitcnt lgkmcnt(1)
	v_cndmask_b32_e32 v62, 0, v68, vcc
	v_add_co_u32_e32 v35, vcc, v64, v35
	v_addc_co_u32_e32 v36, vcc, v62, v36, vcc
	s_waitcnt lgkmcnt(0)
	v_and_b32_e32 v62, 1, v63
	v_or_b32_e32 v60, v62, v60
	v_and_b32_e32 v63, 1, v60
	v_cmp_eq_u32_e32 vcc, 1, v63
	s_andn2_b64 s[56:57], s[56:57], exec
	s_and_b64 s[58:59], vcc, exec
	v_and_b32_e32 v62, 0xff, v60
	s_or_b64 s[56:57], s[56:57], s[58:59]
.LBB70_142:                             ;   in Loop: Header=BB70_135 Depth=1
	s_or_b64 exec, exec, s[40:41]
	s_waitcnt lgkmcnt(2)
	ds_bpermute_b32 v64, v44, v35
	s_waitcnt lgkmcnt(2)
	ds_bpermute_b32 v68, v44, v36
	s_waitcnt lgkmcnt(2)
	ds_bpermute_b32 v63, v44, v62
	v_cmp_le_u32_e32 vcc, v45, v61
	s_and_saveexec_b64 s[58:59], vcc
	s_cbranch_execz .LBB70_144
; %bb.143:                              ;   in Loop: Header=BB70_135 Depth=1
	v_cmp_eq_u16_sdwa vcc, v60, v6 src0_sel:BYTE_0 src1_sel:DWORD
	s_waitcnt lgkmcnt(2)
	v_cndmask_b32_e32 v64, 0, v64, vcc
	s_waitcnt lgkmcnt(1)
	v_cndmask_b32_e32 v62, 0, v68, vcc
	v_add_co_u32_e32 v35, vcc, v64, v35
	v_addc_co_u32_e32 v36, vcc, v62, v36, vcc
	v_and_b32_e32 v60, 1, v60
	v_cmp_eq_u32_e32 vcc, 1, v60
	s_waitcnt lgkmcnt(0)
	v_and_b32_e32 v60, 1, v63
	v_cmp_eq_u32_e64 s[40:41], 1, v60
	s_or_b64 s[40:41], vcc, s[40:41]
	v_cndmask_b32_e64 v60, 0, 1, s[40:41]
	v_cndmask_b32_e64 v62, 0, 1, s[40:41]
	s_andn2_b64 s[56:57], s[56:57], exec
	s_and_b64 s[40:41], s[40:41], exec
	s_or_b64 s[56:57], s[56:57], s[40:41]
.LBB70_144:                             ;   in Loop: Header=BB70_135 Depth=1
	s_or_b64 exec, exec, s[58:59]
	s_waitcnt lgkmcnt(2)
	ds_bpermute_b32 v64, v46, v35
	s_waitcnt lgkmcnt(2)
	ds_bpermute_b32 v68, v46, v36
	s_waitcnt lgkmcnt(2)
	ds_bpermute_b32 v63, v46, v62
	v_cmp_le_u32_e32 vcc, v47, v61
	s_and_saveexec_b64 s[58:59], vcc
	s_cbranch_execz .LBB70_146
; %bb.145:                              ;   in Loop: Header=BB70_135 Depth=1
	v_cmp_eq_u16_sdwa vcc, v60, v6 src0_sel:BYTE_0 src1_sel:DWORD
	s_waitcnt lgkmcnt(2)
	v_cndmask_b32_e32 v64, 0, v64, vcc
	s_waitcnt lgkmcnt(1)
	v_cndmask_b32_e32 v62, 0, v68, vcc
	v_add_co_u32_e32 v35, vcc, v64, v35
	v_addc_co_u32_e32 v36, vcc, v62, v36, vcc
	v_and_b32_e32 v60, 1, v60
	v_cmp_eq_u32_e32 vcc, 1, v60
	s_waitcnt lgkmcnt(0)
	v_and_b32_e32 v60, 1, v63
	v_cmp_eq_u32_e64 s[40:41], 1, v60
	s_or_b64 s[40:41], vcc, s[40:41]
	v_cndmask_b32_e64 v60, 0, 1, s[40:41]
	v_cndmask_b32_e64 v62, 0, 1, s[40:41]
	s_andn2_b64 s[56:57], s[56:57], exec
	s_and_b64 s[40:41], s[40:41], exec
	s_or_b64 s[56:57], s[56:57], s[40:41]
.LBB70_146:                             ;   in Loop: Header=BB70_135 Depth=1
	;; [unrolled: 30-line block ×4, first 2 shown]
	s_or_b64 exec, exec, s[58:59]
	s_waitcnt lgkmcnt(0)
	ds_bpermute_b32 v63, v57, v35
	ds_bpermute_b32 v64, v57, v36
	;; [unrolled: 1-line block ×3, first 2 shown]
	v_cmp_le_u32_e32 vcc, v58, v61
	s_and_saveexec_b64 s[58:59], vcc
	s_cbranch_execz .LBB70_133
; %bb.151:                              ;   in Loop: Header=BB70_135 Depth=1
	v_cmp_eq_u16_sdwa vcc, v60, v6 src0_sel:BYTE_0 src1_sel:DWORD
	s_waitcnt lgkmcnt(2)
	v_cndmask_b32_e32 v63, 0, v63, vcc
	s_waitcnt lgkmcnt(1)
	v_cndmask_b32_e32 v61, 0, v64, vcc
	v_add_co_u32_e32 v35, vcc, v63, v35
	v_addc_co_u32_e32 v36, vcc, v61, v36, vcc
	v_and_b32_e32 v60, 1, v60
	v_cmp_eq_u32_e32 vcc, 1, v60
	s_waitcnt lgkmcnt(0)
	v_and_b32_e32 v60, 1, v62
	v_cmp_eq_u32_e64 s[40:41], 1, v60
	s_or_b64 s[40:41], vcc, s[40:41]
	s_andn2_b64 s[56:57], s[56:57], exec
	s_and_b64 s[40:41], s[40:41], exec
	s_or_b64 s[56:57], s[56:57], s[40:41]
	s_branch .LBB70_133
.LBB70_152:
                                        ; implicit-def: $vgpr63_vgpr64
                                        ; implicit-def: $vgpr61_vgpr62
                                        ; implicit-def: $vgpr59_vgpr60
                                        ; implicit-def: $vgpr51_vgpr52
                                        ; implicit-def: $vgpr47_vgpr48
                                        ; implicit-def: $vgpr43_vgpr44
                                        ; implicit-def: $vgpr39_vgpr40
                                        ; implicit-def: $vgpr35_vgpr36
                                        ; implicit-def: $vgpr57_vgpr58
                                        ; implicit-def: $vgpr49_vgpr50
                                        ; implicit-def: $vgpr45_vgpr46
                                        ; implicit-def: $vgpr41_vgpr42
                                        ; implicit-def: $vgpr37_vgpr38
                                        ; implicit-def: $vgpr33_vgpr34
                                        ; implicit-def: $vgpr31_vgpr32
	s_cbranch_execnz .LBB70_160
	s_branch .LBB70_181
.LBB70_153:
	s_and_saveexec_b64 s[40:41], s[36:37]
	s_cbranch_execz .LBB70_155
; %bb.154:
	v_mov_b32_e32 v5, 0
	s_mov_b32 s7, 0
	v_cmp_eq_u32_sdwa vcc, v40, v5 src0_sel:BYTE_0 src1_sel:DWORD
	s_add_i32 s6, s6, 64
	v_cndmask_b32_e32 v31, 0, v33, vcc
	s_lshl_b64 s[36:37], s[6:7], 4
	v_cndmask_b32_e32 v6, 0, v34, vcc
	v_add_co_u32_e32 v3, vcc, v31, v3
	s_add_u32 s36, s46, s36
	v_addc_co_u32_e32 v4, vcc, v6, v4, vcc
	v_or_b32_e32 v6, v40, v52
	s_addc_u32 s37, s47, s37
	v_and_b32_e32 v6, 1, v6
	global_store_dwordx2 v5, v[3:4], s[36:37]
	global_store_byte v5, v6, s[36:37] offset:8
	v_mov_b32_e32 v3, 2
	v_mov_b32_e32 v4, s6
	s_waitcnt vmcnt(0) lgkmcnt(0)
	buffer_wbinvl1_vol
	global_store_byte v4, v3, s[48:49]
.LBB70_155:
	s_or_b64 exec, exec, s[40:41]
	v_cmp_eq_u32_e32 vcc, 0, v0
	s_and_b64 exec, exec, vcc
	s_cbranch_execz .LBB70_157
; %bb.156:
	v_mov_b32_e32 v3, 0
	ds_write_b64 v3, v[33:34]
	ds_write_b8 v3, v52 offset:8
.LBB70_157:
	s_or_b64 exec, exec, s[42:43]
	v_mov_b32_e32 v31, 0
	s_waitcnt lgkmcnt(0)
	; wave barrier
	ds_read_b64 v[3:4], v31
	v_mov_b32_e32 v6, v2
	v_cmp_ne_u32_e32 vcc, 0, v0
	v_mov_b32_e32 v32, v83
	v_mov_b32_e32 v5, v1
	s_and_saveexec_b64 s[6:7], vcc
; %bb.158:
	v_cmp_eq_u16_sdwa vcc, v83, v31 src0_sel:BYTE_0 src1_sel:DWORD
	v_cndmask_b32_e32 v5, 0, v38, vcc
	v_cndmask_b32_e32 v6, 0, v39, vcc
	v_add_co_u32_e32 v5, vcc, v5, v1
	v_addc_co_u32_e32 v6, vcc, v6, v2, vcc
	v_and_b32_e32 v32, 1, v37
	v_cmp_eq_u32_e32 vcc, 1, v32
	s_or_b64 s[34:35], s[34:35], vcc
	v_cndmask_b32_e64 v32, 0, 1, s[34:35]
; %bb.159:
	s_or_b64 exec, exec, s[6:7]
	v_cmp_eq_u16_sdwa vcc, v32, v31 src0_sel:BYTE_0 src1_sel:DWORD
	s_waitcnt lgkmcnt(0)
	v_cndmask_b32_e32 v3, 0, v3, vcc
	v_cndmask_b32_e32 v4, 0, v4, vcc
	v_add_co_u32_e32 v63, vcc, v3, v5
	v_addc_co_u32_e32 v64, vcc, v4, v6, vcc
	v_cndmask_b32_e64 v4, 0, v63, s[8:9]
	v_cndmask_b32_e64 v3, 0, v64, s[8:9]
	v_add_co_u32_e32 v31, vcc, v4, v9
	v_addc_co_u32_e32 v32, vcc, v3, v10, vcc
	v_cndmask_b32_e64 v4, 0, v31, s[38:39]
	v_cndmask_b32_e64 v3, 0, v32, s[38:39]
	;; [unrolled: 4-line block ×14, first 2 shown]
	v_add_co_u32_e32 v61, vcc, v4, v11
	v_addc_co_u32_e32 v62, vcc, v3, v12, vcc
	s_branch .LBB70_181
.LBB70_160:
	s_cmp_lg_u64 s[54:55], 0
	s_cselect_b64 s[6:7], -1, 0
	v_cmp_eq_u32_e32 vcc, 0, v0
	v_cmp_ne_u32_e64 s[2:3], 0, v0
	s_and_b64 s[6:7], vcc, s[6:7]
	s_and_saveexec_b64 s[8:9], s[6:7]
	s_cbranch_execz .LBB70_162
; %bb.161:
	v_mov_b32_e32 v5, 0
	global_load_dwordx2 v[3:4], v5, s[54:55]
	global_load_ubyte v6, v5, s[54:55] offset:8
	v_cmp_eq_u16_sdwa s[6:7], v83, v5 src0_sel:BYTE_0 src1_sel:DWORD
	s_waitcnt vmcnt(1)
	v_cndmask_b32_e64 v3, 0, v3, s[6:7]
	v_cndmask_b32_e64 v4, 0, v4, s[6:7]
	s_waitcnt vmcnt(0)
	v_or_b32_e32 v5, v83, v6
	v_add_co_u32_e64 v1, s[6:7], v3, v1
	v_addc_co_u32_e64 v2, s[6:7], v4, v2, s[6:7]
	v_and_b32_e32 v83, 1, v5
.LBB70_162:
	s_or_b64 exec, exec, s[8:9]
	v_and_b32_e32 v3, 1, v83
	v_cmp_eq_u32_e64 s[36:37], 1, v3
	v_mov_b32_e32 v3, 0
	v_cmp_eq_u16_sdwa s[6:7], v85, v3 src0_sel:BYTE_0 src1_sel:DWORD
	v_cndmask_b32_e64 v5, 0, v1, s[6:7]
	v_cndmask_b32_e64 v4, 0, v2, s[6:7]
	v_add_co_u32_e64 v31, s[8:9], v5, v9
	v_addc_co_u32_e64 v32, s[8:9], v4, v10, s[8:9]
	v_cmp_eq_u16_sdwa s[8:9], v84, v3 src0_sel:BYTE_0 src1_sel:DWORD
	v_cndmask_b32_e64 v5, 0, v31, s[8:9]
	v_cndmask_b32_e64 v4, 0, v32, s[8:9]
	v_add_co_u32_e64 v33, s[10:11], v5, v15
	v_addc_co_u32_e64 v34, s[10:11], v4, v16, s[10:11]
	;; [unrolled: 5-line block ×3, first 2 shown]
	v_and_b32_e32 v4, 1, v72
	v_lshlrev_b16_e32 v5, 1, v73
	v_or_b32_e32 v4, v4, v5
	v_and_b32_e32 v5, 1, v79
	v_lshlrev_b16_e32 v5, 2, v5
	v_lshlrev_b16_e32 v6, 3, v75
	v_cmp_eq_u16_sdwa s[12:13], v82, v3 src0_sel:BYTE_0 src1_sel:DWORD
	v_and_b32_e32 v4, 3, v4
	v_or_b32_e32 v5, v6, v5
	v_cndmask_b32_e64 v6, 0, v35, s[12:13]
	v_or_b32_e32 v4, v4, v5
	v_cndmask_b32_e64 v5, 0, v36, s[12:13]
	v_add_co_u32_e64 v37, s[14:15], v6, v19
	v_addc_co_u32_e64 v38, s[14:15], v5, v20, s[14:15]
	v_cmp_eq_u16_sdwa s[14:15], v80, v3 src0_sel:BYTE_0 src1_sel:DWORD
	v_cndmask_b32_e64 v6, 0, v37, s[14:15]
	v_cndmask_b32_e64 v5, 0, v38, s[14:15]
	v_add_co_u32_e64 v39, s[16:17], v6, v17
	v_addc_co_u32_e64 v40, s[16:17], v5, v18, s[16:17]
	v_cmp_eq_u16_sdwa s[16:17], v79, v3 src0_sel:BYTE_0 src1_sel:DWORD
	v_cndmask_b32_e64 v6, 0, v39, s[16:17]
	;; [unrolled: 5-line block ×9, first 2 shown]
	v_cndmask_b32_e64 v3, 0, v58, s[30:31]
	v_add_co_u32_e64 v59, s[34:35], v5, v7
	v_addc_co_u32_e64 v60, s[34:35], v3, v8, s[34:35]
	v_cmp_eq_u16_e64 s[34:35], 0, v65
	v_cndmask_b32_e64 v5, 0, v59, s[34:35]
	v_cndmask_b32_e64 v3, 0, v60, s[34:35]
	v_add_co_u32_e64 v61, s[38:39], v5, v11
	v_addc_co_u32_e64 v62, s[38:39], v3, v12, s[38:39]
	v_and_b32_e32 v3, 15, v4
	v_or_b32_e32 v4, v71, v67
	v_or_b32_e32 v4, v4, v65
	;; [unrolled: 1-line block ×8, first 2 shown]
	v_or_b32_sdwa v3, v3, v4 dst_sel:DWORD dst_unused:UNUSED_PAD src0_sel:DWORD src1_sel:BYTE_0
	v_cmp_ne_u16_e64 s[38:39], 0, v3
	s_or_b64 s[38:39], s[38:39], s[36:37]
	v_mbcnt_hi_u32_b32 v63, -1, v66
	v_and_b32_e32 v66, 15, v63
	v_cndmask_b32_e64 v65, 0, 1, s[38:39]
	v_mov_b32_e32 v5, v61
	v_cndmask_b32_e64 v64, 0, 1, s[38:39]
	v_mov_b32_dpp v67, v61 row_shr:1 row_mask:0xf bank_mask:0xf
	v_mov_b32_dpp v68, v62 row_shr:1 row_mask:0xf bank_mask:0xf
	;; [unrolled: 1-line block ×3, first 2 shown]
	v_cmp_ne_u32_e64 s[36:37], 0, v66
	v_mov_b32_e32 v3, v61
	v_mov_b32_e32 v4, v62
	;; [unrolled: 1-line block ×3, first 2 shown]
	s_and_saveexec_b64 s[40:41], s[36:37]
; %bb.163:
	v_and_b32_e32 v3, 1, v69
	v_or_b32_e32 v64, v3, v64
	v_cndmask_b32_e64 v3, v67, 0, s[38:39]
	v_cndmask_b32_e64 v4, v68, 0, s[38:39]
	v_add_co_u32_e64 v3, s[36:37], v61, v3
	v_addc_co_u32_e64 v4, s[36:37], v62, v4, s[36:37]
	v_mov_b32_e32 v6, v4
	v_and_b32_e32 v65, 0xffff, v64
	v_mov_b32_e32 v5, v3
; %bb.164:
	s_or_b64 exec, exec, s[40:41]
	v_mov_b32_dpp v67, v3 row_shr:2 row_mask:0xf bank_mask:0xf
	v_mov_b32_dpp v68, v4 row_shr:2 row_mask:0xf bank_mask:0xf
	v_mov_b32_dpp v69, v65 row_shr:2 row_mask:0xf bank_mask:0xf
	v_cmp_lt_u32_e64 s[36:37], 1, v66
	s_and_saveexec_b64 s[40:41], s[36:37]
	s_cbranch_execz .LBB70_166
; %bb.165:
	v_and_b32_e32 v3, 1, v64
	v_cmp_eq_u32_e64 s[36:37], 1, v3
	v_and_b32_e32 v3, 1, v69
	v_cmp_eq_u32_e64 s[38:39], 1, v3
	s_or_b64 s[38:39], s[36:37], s[38:39]
	v_cmp_eq_u16_e64 s[36:37], 0, v64
	v_cndmask_b32_e64 v3, 0, v67, s[36:37]
	v_cndmask_b32_e64 v4, 0, v68, s[36:37]
	v_add_co_u32_e64 v3, s[36:37], v3, v5
	v_addc_co_u32_e64 v4, s[36:37], v4, v6, s[36:37]
	v_cndmask_b32_e64 v69, 0, 1, s[38:39]
	v_mov_b32_e32 v6, v4
	v_cndmask_b32_e64 v65, 0, 1, s[38:39]
	v_mov_b32_e32 v64, v69
	v_mov_b32_e32 v5, v3
.LBB70_166:
	s_or_b64 exec, exec, s[40:41]
	v_mov_b32_dpp v67, v3 row_shr:4 row_mask:0xf bank_mask:0xf
	v_mov_b32_dpp v68, v4 row_shr:4 row_mask:0xf bank_mask:0xf
	v_mov_b32_dpp v69, v65 row_shr:4 row_mask:0xf bank_mask:0xf
	v_cmp_lt_u32_e64 s[36:37], 3, v66
	s_and_saveexec_b64 s[40:41], s[36:37]
	s_cbranch_execz .LBB70_168
; %bb.167:
	v_and_b32_e32 v3, 1, v64
	v_cmp_eq_u32_e64 s[36:37], 1, v3
	v_and_b32_e32 v3, 1, v69
	v_cmp_eq_u32_e64 s[38:39], 1, v3
	s_or_b64 s[38:39], s[36:37], s[38:39]
	v_cmp_eq_u16_e64 s[36:37], 0, v64
	v_cndmask_b32_e64 v3, 0, v67, s[36:37]
	v_cndmask_b32_e64 v4, 0, v68, s[36:37]
	v_add_co_u32_e64 v3, s[36:37], v3, v5
	v_addc_co_u32_e64 v4, s[36:37], v4, v6, s[36:37]
	v_cndmask_b32_e64 v69, 0, 1, s[38:39]
	v_mov_b32_e32 v6, v4
	v_cndmask_b32_e64 v65, 0, 1, s[38:39]
	v_mov_b32_e32 v64, v69
	v_mov_b32_e32 v5, v3
.LBB70_168:
	;; [unrolled: 24-line block ×3, first 2 shown]
	s_or_b64 exec, exec, s[40:41]
	v_and_b32_e32 v69, 16, v63
	v_mov_b32_dpp v66, v3 row_bcast:15 row_mask:0xf bank_mask:0xf
	v_mov_b32_dpp v67, v4 row_bcast:15 row_mask:0xf bank_mask:0xf
	;; [unrolled: 1-line block ×3, first 2 shown]
	v_cmp_ne_u32_e64 s[36:37], 0, v69
	s_and_saveexec_b64 s[40:41], s[36:37]
	s_cbranch_execz .LBB70_172
; %bb.171:
	v_and_b32_e32 v3, 1, v64
	v_cmp_eq_u32_e64 s[36:37], 1, v3
	v_and_b32_e32 v3, 1, v68
	v_cmp_eq_u32_e64 s[38:39], 1, v3
	s_or_b64 s[38:39], s[36:37], s[38:39]
	v_cmp_eq_u16_e64 s[36:37], 0, v64
	v_cndmask_b32_e64 v3, 0, v66, s[36:37]
	v_cndmask_b32_e64 v4, 0, v67, s[36:37]
	v_add_co_u32_e64 v3, s[36:37], v3, v5
	v_addc_co_u32_e64 v4, s[36:37], v4, v6, s[36:37]
	v_cndmask_b32_e64 v68, 0, 1, s[38:39]
	v_mov_b32_e32 v6, v4
	v_cndmask_b32_e64 v65, 0, 1, s[38:39]
	v_mov_b32_e32 v64, v68
	v_mov_b32_e32 v5, v3
.LBB70_172:
	s_or_b64 exec, exec, s[40:41]
	v_mov_b32_dpp v66, v3 row_bcast:31 row_mask:0xf bank_mask:0xf
	v_mov_b32_dpp v67, v4 row_bcast:31 row_mask:0xf bank_mask:0xf
	;; [unrolled: 1-line block ×3, first 2 shown]
	v_cmp_lt_u32_e64 s[36:37], 31, v63
	s_and_saveexec_b64 s[40:41], s[36:37]
	s_cbranch_execz .LBB70_174
; %bb.173:
	v_and_b32_e32 v3, 1, v64
	v_cmp_eq_u32_e64 s[36:37], 1, v3
	v_and_b32_e32 v3, 1, v65
	v_cmp_eq_u32_e64 s[38:39], 1, v3
	s_or_b64 s[36:37], s[36:37], s[38:39]
	v_cndmask_b32_e64 v65, 0, 1, s[36:37]
	v_cmp_eq_u16_e64 s[36:37], 0, v64
	v_cndmask_b32_e64 v3, 0, v66, s[36:37]
	v_cndmask_b32_e64 v4, 0, v67, s[36:37]
	v_add_co_u32_e64 v3, s[36:37], v3, v5
	v_addc_co_u32_e64 v4, s[36:37], v4, v6, s[36:37]
	v_mov_b32_e32 v6, v4
	v_mov_b32_e32 v64, v65
	;; [unrolled: 1-line block ×3, first 2 shown]
.LBB70_174:
	s_or_b64 exec, exec, s[40:41]
	v_cmp_eq_u32_e64 s[36:37], 63, v0
	s_and_saveexec_b64 s[38:39], s[36:37]
	s_cbranch_execz .LBB70_176
; %bb.175:
	v_mov_b32_e32 v65, 0
	ds_write_b64 v65, v[5:6]
	ds_write_b8 v65, v64 offset:8
.LBB70_176:
	s_or_b64 exec, exec, s[38:39]
	v_add_u32_e32 v5, -1, v63
	v_and_b32_e32 v6, 64, v63
	v_cmp_lt_i32_e64 s[36:37], v5, v6
	v_cndmask_b32_e64 v5, v5, v63, s[36:37]
	v_lshlrev_b32_e32 v5, 2, v5
	ds_bpermute_b32 v3, v5, v3
	ds_bpermute_b32 v4, v5, v4
	s_waitcnt lgkmcnt(0)
	; wave barrier
	s_and_saveexec_b64 s[36:37], s[2:3]
	s_cbranch_execz .LBB70_178
; %bb.177:
	v_mov_b32_e32 v5, 0
	v_cmp_eq_u16_sdwa s[2:3], v83, v5 src0_sel:BYTE_0 src1_sel:DWORD
	v_cndmask_b32_e64 v3, 0, v3, s[2:3]
	v_cndmask_b32_e64 v4, 0, v4, s[2:3]
	v_add_co_u32_e64 v1, s[2:3], v3, v1
	v_addc_co_u32_e64 v2, s[2:3], v4, v2, s[2:3]
	v_cndmask_b32_e64 v4, 0, v1, s[6:7]
	v_cndmask_b32_e64 v3, 0, v2, s[6:7]
	v_add_co_u32_e64 v31, s[2:3], v4, v9
	v_addc_co_u32_e64 v32, s[2:3], v3, v10, s[2:3]
	;; [unrolled: 4-line block ×15, first 2 shown]
.LBB70_178:
	s_or_b64 exec, exec, s[36:37]
	s_and_saveexec_b64 s[2:3], vcc
	s_cbranch_execz .LBB70_180
; %bb.179:
	v_mov_b32_e32 v5, 0
	ds_read_b64 v[3:4], v5
	ds_read_u8 v6, v5 offset:8
	v_mov_b32_e32 v7, 2
	s_waitcnt lgkmcnt(1)
	global_store_dwordx2 v5, v[3:4], s[46:47] offset:1024
	s_waitcnt lgkmcnt(0)
	global_store_byte v5, v6, s[46:47] offset:1032
	s_waitcnt vmcnt(0)
	buffer_wbinvl1_vol
	global_store_byte v5, v7, s[48:49] offset:64
.LBB70_180:
	s_or_b64 exec, exec, s[2:3]
	v_mov_b32_e32 v64, v2
	v_mov_b32_e32 v63, v1
.LBB70_181:
	s_load_dwordx2 s[2:3], s[4:5], 0x18
	s_waitcnt lgkmcnt(0)
	s_add_u32 s2, s2, s52
	s_addc_u32 s3, s3, s53
	s_and_b64 vcc, exec, s[0:1]
	s_cbranch_vccz .LBB70_235
; %bb.182:
	s_add_i32 s33, s33, s50
	v_mul_u32_u24_e32 v1, 15, v0
	v_cmp_gt_u32_e32 vcc, s33, v1
	s_and_saveexec_b64 s[0:1], vcc
	s_cbranch_execz .LBB70_206
; %bb.183:
	v_add_u32_e32 v2, 1, v1
	v_cmp_gt_u32_e32 vcc, s33, v2
	s_and_saveexec_b64 s[4:5], vcc
	s_cbranch_execz .LBB70_205
; %bb.184:
	v_add_u32_e32 v2, 2, v1
	;; [unrolled: 5-line block ×11, first 2 shown]
	v_cmp_gt_u32_e32 vcc, s33, v2
	s_and_saveexec_b64 s[24:25], vcc
; %bb.194:
	v_add_u32_e32 v2, 12, v1
	v_cmp_gt_u32_e32 vcc, s33, v2
	s_and_saveexec_b64 s[26:27], vcc
	s_or_b64 exec, exec, s[26:27]
; %bb.195:
	s_or_b64 exec, exec, s[24:25]
.LBB70_196:
	s_or_b64 exec, exec, s[22:23]
.LBB70_197:
	s_or_b64 exec, exec, s[20:21]
.LBB70_198:
	s_or_b64 exec, exec, s[18:19]
.LBB70_199:
	s_or_b64 exec, exec, s[16:17]
.LBB70_200:
	s_or_b64 exec, exec, s[14:15]
.LBB70_201:
	s_or_b64 exec, exec, s[12:13]
.LBB70_202:
	s_or_b64 exec, exec, s[10:11]
.LBB70_203:
	s_or_b64 exec, exec, s[8:9]
.LBB70_204:
	s_or_b64 exec, exec, s[6:7]
.LBB70_205:
	s_or_b64 exec, exec, s[4:5]
.LBB70_206:
	s_or_b64 exec, exec, s[0:1]
	v_lshlrev_b32_e32 v53, 3, v1
	s_movk_i32 s0, 0xff90
	v_mad_i32_i24 v1, v0, s0, v53
	; wave barrier
	ds_write2_b64 v53, v[63:64], v[31:32] offset1:1
	ds_write2_b64 v53, v[33:34], v[35:36] offset0:2 offset1:3
	ds_write2_b64 v53, v[37:38], v[39:40] offset0:4 offset1:5
	;; [unrolled: 1-line block ×6, first 2 shown]
	ds_write_b64 v53, v[61:62] offset:112
	s_waitcnt lgkmcnt(0)
	; wave barrier
	ds_read2st64_b64 v[25:28], v1 offset0:1 offset1:2
	ds_read2st64_b64 v[21:24], v1 offset0:3 offset1:4
	;; [unrolled: 1-line block ×7, first 2 shown]
	v_lshlrev_b32_e32 v29, 3, v0
	v_mov_b32_e32 v30, s3
	v_add_co_u32_e32 v29, vcc, s2, v29
	v_addc_co_u32_e32 v30, vcc, 0, v30, vcc
	v_cmp_gt_u32_e32 vcc, s33, v0
	s_and_saveexec_b64 s[0:1], vcc
	s_cbranch_execz .LBB70_208
; %bb.207:
	v_mul_i32_i24_e32 v54, 0xffffff90, v0
	v_add_u32_e32 v53, v53, v54
	ds_read_b64 v[53:54], v53
	s_waitcnt lgkmcnt(0)
	global_store_dwordx2 v[29:30], v[53:54], off
.LBB70_208:
	s_or_b64 exec, exec, s[0:1]
	v_or_b32_e32 v53, 64, v0
	v_cmp_gt_u32_e32 vcc, s33, v53
	s_and_saveexec_b64 s[0:1], vcc
	s_cbranch_execz .LBB70_210
; %bb.209:
	s_waitcnt lgkmcnt(6)
	global_store_dwordx2 v[29:30], v[25:26], off offset:512
.LBB70_210:
	s_or_b64 exec, exec, s[0:1]
	s_waitcnt lgkmcnt(6)
	v_or_b32_e32 v25, 0x80, v0
	v_cmp_gt_u32_e32 vcc, s33, v25
	s_and_saveexec_b64 s[0:1], vcc
	s_cbranch_execz .LBB70_212
; %bb.211:
	global_store_dwordx2 v[29:30], v[27:28], off offset:1024
.LBB70_212:
	s_or_b64 exec, exec, s[0:1]
	v_or_b32_e32 v25, 0xc0, v0
	v_cmp_gt_u32_e32 vcc, s33, v25
	s_and_saveexec_b64 s[0:1], vcc
	s_cbranch_execz .LBB70_214
; %bb.213:
	s_waitcnt lgkmcnt(5)
	global_store_dwordx2 v[29:30], v[21:22], off offset:1536
.LBB70_214:
	s_or_b64 exec, exec, s[0:1]
	s_waitcnt lgkmcnt(5)
	v_or_b32_e32 v21, 0x100, v0
	v_cmp_gt_u32_e32 vcc, s33, v21
	s_and_saveexec_b64 s[0:1], vcc
	s_cbranch_execz .LBB70_216
; %bb.215:
	global_store_dwordx2 v[29:30], v[23:24], off offset:2048
.LBB70_216:
	;; [unrolled: 18-line block ×3, first 2 shown]
	s_or_b64 exec, exec, s[0:1]
	v_or_b32_e32 v17, 0x1c0, v0
	v_cmp_gt_u32_e32 vcc, s33, v17
	s_and_saveexec_b64 s[0:1], vcc
	s_cbranch_execz .LBB70_222
; %bb.221:
	s_waitcnt lgkmcnt(3)
	global_store_dwordx2 v[29:30], v[13:14], off offset:3584
.LBB70_222:
	s_or_b64 exec, exec, s[0:1]
	s_waitcnt lgkmcnt(3)
	v_or_b32_e32 v13, 0x200, v0
	v_cmp_gt_u32_e32 vcc, s33, v13
	s_and_saveexec_b64 s[0:1], vcc
	s_cbranch_execz .LBB70_224
; %bb.223:
	v_add_co_u32_e32 v13, vcc, 0x1000, v29
	v_addc_co_u32_e32 v14, vcc, 0, v30, vcc
	global_store_dwordx2 v[13:14], v[15:16], off
.LBB70_224:
	s_or_b64 exec, exec, s[0:1]
	v_or_b32_e32 v13, 0x240, v0
	v_cmp_gt_u32_e32 vcc, s33, v13
	s_and_saveexec_b64 s[0:1], vcc
	s_cbranch_execz .LBB70_226
; %bb.225:
	v_add_co_u32_e32 v13, vcc, 0x1000, v29
	v_addc_co_u32_e32 v14, vcc, 0, v30, vcc
	s_waitcnt lgkmcnt(2)
	global_store_dwordx2 v[13:14], v[9:10], off offset:512
.LBB70_226:
	s_or_b64 exec, exec, s[0:1]
	s_waitcnt lgkmcnt(2)
	v_or_b32_e32 v9, 0x280, v0
	v_cmp_gt_u32_e32 vcc, s33, v9
	s_and_saveexec_b64 s[0:1], vcc
	s_cbranch_execz .LBB70_228
; %bb.227:
	v_add_co_u32_e32 v9, vcc, 0x1000, v29
	v_addc_co_u32_e32 v10, vcc, 0, v30, vcc
	global_store_dwordx2 v[9:10], v[11:12], off offset:1024
.LBB70_228:
	s_or_b64 exec, exec, s[0:1]
	v_or_b32_e32 v9, 0x2c0, v0
	v_cmp_gt_u32_e32 vcc, s33, v9
	s_and_saveexec_b64 s[0:1], vcc
	s_cbranch_execz .LBB70_230
; %bb.229:
	v_add_co_u32_e32 v9, vcc, 0x1000, v29
	v_addc_co_u32_e32 v10, vcc, 0, v30, vcc
	s_waitcnt lgkmcnt(1)
	global_store_dwordx2 v[9:10], v[5:6], off offset:1536
.LBB70_230:
	s_or_b64 exec, exec, s[0:1]
	s_waitcnt lgkmcnt(1)
	v_or_b32_e32 v5, 0x300, v0
	v_cmp_gt_u32_e32 vcc, s33, v5
	s_and_saveexec_b64 s[0:1], vcc
	s_cbranch_execz .LBB70_232
; %bb.231:
	v_add_co_u32_e32 v5, vcc, 0x1000, v29
	v_addc_co_u32_e32 v6, vcc, 0, v30, vcc
	global_store_dwordx2 v[5:6], v[7:8], off offset:2048
.LBB70_232:
	s_or_b64 exec, exec, s[0:1]
	v_or_b32_e32 v5, 0x340, v0
	v_cmp_gt_u32_e32 vcc, s33, v5
	s_and_saveexec_b64 s[0:1], vcc
	s_cbranch_execz .LBB70_234
; %bb.233:
	v_add_co_u32_e32 v5, vcc, 0x1000, v29
	v_addc_co_u32_e32 v6, vcc, 0, v30, vcc
	s_waitcnt lgkmcnt(0)
	global_store_dwordx2 v[5:6], v[1:2], off offset:2560
.LBB70_234:
	s_or_b64 exec, exec, s[0:1]
	s_waitcnt lgkmcnt(0)
	v_or_b32_e32 v1, 0x380, v0
	v_cmp_gt_u32_e64 s[0:1], s33, v1
	s_branch .LBB70_237
.LBB70_235:
	s_mov_b64 s[0:1], 0
                                        ; implicit-def: $vgpr3_vgpr4
	s_cbranch_execz .LBB70_237
; %bb.236:
	v_mul_u32_u24_e32 v1, 0x78, v0
	; wave barrier
	s_movk_i32 s4, 0x78
	ds_write2_b64 v1, v[63:64], v[31:32] offset1:1
	ds_write2_b64 v1, v[33:34], v[35:36] offset0:2 offset1:3
	ds_write2_b64 v1, v[37:38], v[39:40] offset0:4 offset1:5
	;; [unrolled: 1-line block ×6, first 2 shown]
	ds_write_b64 v1, v[61:62] offset:112
	v_mul_i32_i24_e32 v1, 0xffffff90, v0
	v_mad_u32_u24 v1, v0, s4, v1
	s_waitcnt lgkmcnt(0)
	; wave barrier
	ds_read2st64_b64 v[5:8], v1 offset1:1
	ds_read2st64_b64 v[9:12], v1 offset0:2 offset1:3
	ds_read2st64_b64 v[13:16], v1 offset0:4 offset1:5
	;; [unrolled: 1-line block ×6, first 2 shown]
	ds_read_b64 v[3:4], v1 offset:7168
	v_lshlrev_b32_e32 v1, 3, v0
	v_mov_b32_e32 v2, s3
	v_add_co_u32_e32 v33, vcc, s2, v1
	v_addc_co_u32_e32 v2, vcc, 0, v2, vcc
	s_waitcnt lgkmcnt(7)
	global_store_dwordx2 v1, v[5:6], s[2:3]
	global_store_dwordx2 v1, v[7:8], s[2:3] offset:512
	s_waitcnt lgkmcnt(6)
	global_store_dwordx2 v1, v[9:10], s[2:3] offset:1024
	global_store_dwordx2 v1, v[11:12], s[2:3] offset:1536
	s_waitcnt lgkmcnt(5)
	global_store_dwordx2 v1, v[13:14], s[2:3] offset:2048
	;; [unrolled: 3-line block ×3, first 2 shown]
	global_store_dwordx2 v1, v[19:20], s[2:3] offset:3584
	v_add_co_u32_e32 v1, vcc, 0x1000, v33
	v_addc_co_u32_e32 v2, vcc, 0, v2, vcc
	s_or_b64 s[0:1], s[0:1], exec
	s_waitcnt lgkmcnt(3)
	global_store_dwordx2 v[1:2], v[21:22], off
	global_store_dwordx2 v[1:2], v[23:24], off offset:512
	s_waitcnt lgkmcnt(2)
	global_store_dwordx2 v[1:2], v[25:26], off offset:1024
	global_store_dwordx2 v[1:2], v[27:28], off offset:1536
	s_waitcnt lgkmcnt(1)
	global_store_dwordx2 v[1:2], v[29:30], off offset:2048
	global_store_dwordx2 v[1:2], v[31:32], off offset:2560
.LBB70_237:
	s_and_saveexec_b64 s[4:5], s[0:1]
	s_cbranch_execz .LBB70_239
; %bb.238:
	v_lshlrev_b32_e32 v0, 3, v0
	v_mov_b32_e32 v1, s3
	v_add_co_u32_e32 v0, vcc, s2, v0
	v_addc_co_u32_e32 v1, vcc, 0, v1, vcc
	v_add_co_u32_e32 v0, vcc, 0x1000, v0
	v_addc_co_u32_e32 v1, vcc, 0, v1, vcc
	s_waitcnt lgkmcnt(0)
	global_store_dwordx2 v[0:1], v[3:4], off offset:3072
	s_endpgm
.LBB70_239:
	s_endpgm
	.section	.rodata,"a",@progbits
	.p2align	6, 0x0
	.amdhsa_kernel _ZN7rocprim6detail25device_scan_by_key_kernelILNS0_25lookback_scan_determinismE0ELb0ENS0_26wrapped_scan_by_key_configINS_14default_configEiyEEPiN6hipcub22TransformInputIteratorIyNS7_6CastOpIyEEPylEESB_yNS7_8EqualityENS7_3SumENS0_19lookback_scan_stateINS_5tupleIJybEEELb0ELb0EEEyEEvT2_T3_T4_T5_T6_T7_T8_mmmPKNSG_IJT9_bEEE
		.amdhsa_group_segment_fixed_size 7680
		.amdhsa_private_segment_fixed_size 0
		.amdhsa_kernarg_size 104
		.amdhsa_user_sgpr_count 6
		.amdhsa_user_sgpr_private_segment_buffer 1
		.amdhsa_user_sgpr_dispatch_ptr 0
		.amdhsa_user_sgpr_queue_ptr 0
		.amdhsa_user_sgpr_kernarg_segment_ptr 1
		.amdhsa_user_sgpr_dispatch_id 0
		.amdhsa_user_sgpr_flat_scratch_init 0
		.amdhsa_user_sgpr_private_segment_size 0
		.amdhsa_uses_dynamic_stack 0
		.amdhsa_system_sgpr_private_segment_wavefront_offset 0
		.amdhsa_system_sgpr_workgroup_id_x 1
		.amdhsa_system_sgpr_workgroup_id_y 0
		.amdhsa_system_sgpr_workgroup_id_z 0
		.amdhsa_system_sgpr_workgroup_info 0
		.amdhsa_system_vgpr_workitem_id 0
		.amdhsa_next_free_vgpr 103
		.amdhsa_next_free_sgpr 98
		.amdhsa_reserve_vcc 1
		.amdhsa_reserve_flat_scratch 0
		.amdhsa_float_round_mode_32 0
		.amdhsa_float_round_mode_16_64 0
		.amdhsa_float_denorm_mode_32 3
		.amdhsa_float_denorm_mode_16_64 3
		.amdhsa_dx10_clamp 1
		.amdhsa_ieee_mode 1
		.amdhsa_fp16_overflow 0
		.amdhsa_exception_fp_ieee_invalid_op 0
		.amdhsa_exception_fp_denorm_src 0
		.amdhsa_exception_fp_ieee_div_zero 0
		.amdhsa_exception_fp_ieee_overflow 0
		.amdhsa_exception_fp_ieee_underflow 0
		.amdhsa_exception_fp_ieee_inexact 0
		.amdhsa_exception_int_div_zero 0
	.end_amdhsa_kernel
	.section	.text._ZN7rocprim6detail25device_scan_by_key_kernelILNS0_25lookback_scan_determinismE0ELb0ENS0_26wrapped_scan_by_key_configINS_14default_configEiyEEPiN6hipcub22TransformInputIteratorIyNS7_6CastOpIyEEPylEESB_yNS7_8EqualityENS7_3SumENS0_19lookback_scan_stateINS_5tupleIJybEEELb0ELb0EEEyEEvT2_T3_T4_T5_T6_T7_T8_mmmPKNSG_IJT9_bEEE,"axG",@progbits,_ZN7rocprim6detail25device_scan_by_key_kernelILNS0_25lookback_scan_determinismE0ELb0ENS0_26wrapped_scan_by_key_configINS_14default_configEiyEEPiN6hipcub22TransformInputIteratorIyNS7_6CastOpIyEEPylEESB_yNS7_8EqualityENS7_3SumENS0_19lookback_scan_stateINS_5tupleIJybEEELb0ELb0EEEyEEvT2_T3_T4_T5_T6_T7_T8_mmmPKNSG_IJT9_bEEE,comdat
.Lfunc_end70:
	.size	_ZN7rocprim6detail25device_scan_by_key_kernelILNS0_25lookback_scan_determinismE0ELb0ENS0_26wrapped_scan_by_key_configINS_14default_configEiyEEPiN6hipcub22TransformInputIteratorIyNS7_6CastOpIyEEPylEESB_yNS7_8EqualityENS7_3SumENS0_19lookback_scan_stateINS_5tupleIJybEEELb0ELb0EEEyEEvT2_T3_T4_T5_T6_T7_T8_mmmPKNSG_IJT9_bEEE, .Lfunc_end70-_ZN7rocprim6detail25device_scan_by_key_kernelILNS0_25lookback_scan_determinismE0ELb0ENS0_26wrapped_scan_by_key_configINS_14default_configEiyEEPiN6hipcub22TransformInputIteratorIyNS7_6CastOpIyEEPylEESB_yNS7_8EqualityENS7_3SumENS0_19lookback_scan_stateINS_5tupleIJybEEELb0ELb0EEEyEEvT2_T3_T4_T5_T6_T7_T8_mmmPKNSG_IJT9_bEEE
                                        ; -- End function
	.set _ZN7rocprim6detail25device_scan_by_key_kernelILNS0_25lookback_scan_determinismE0ELb0ENS0_26wrapped_scan_by_key_configINS_14default_configEiyEEPiN6hipcub22TransformInputIteratorIyNS7_6CastOpIyEEPylEESB_yNS7_8EqualityENS7_3SumENS0_19lookback_scan_stateINS_5tupleIJybEEELb0ELb0EEEyEEvT2_T3_T4_T5_T6_T7_T8_mmmPKNSG_IJT9_bEEE.num_vgpr, 103
	.set _ZN7rocprim6detail25device_scan_by_key_kernelILNS0_25lookback_scan_determinismE0ELb0ENS0_26wrapped_scan_by_key_configINS_14default_configEiyEEPiN6hipcub22TransformInputIteratorIyNS7_6CastOpIyEEPylEESB_yNS7_8EqualityENS7_3SumENS0_19lookback_scan_stateINS_5tupleIJybEEELb0ELb0EEEyEEvT2_T3_T4_T5_T6_T7_T8_mmmPKNSG_IJT9_bEEE.num_agpr, 0
	.set _ZN7rocprim6detail25device_scan_by_key_kernelILNS0_25lookback_scan_determinismE0ELb0ENS0_26wrapped_scan_by_key_configINS_14default_configEiyEEPiN6hipcub22TransformInputIteratorIyNS7_6CastOpIyEEPylEESB_yNS7_8EqualityENS7_3SumENS0_19lookback_scan_stateINS_5tupleIJybEEELb0ELb0EEEyEEvT2_T3_T4_T5_T6_T7_T8_mmmPKNSG_IJT9_bEEE.numbered_sgpr, 78
	.set _ZN7rocprim6detail25device_scan_by_key_kernelILNS0_25lookback_scan_determinismE0ELb0ENS0_26wrapped_scan_by_key_configINS_14default_configEiyEEPiN6hipcub22TransformInputIteratorIyNS7_6CastOpIyEEPylEESB_yNS7_8EqualityENS7_3SumENS0_19lookback_scan_stateINS_5tupleIJybEEELb0ELb0EEEyEEvT2_T3_T4_T5_T6_T7_T8_mmmPKNSG_IJT9_bEEE.num_named_barrier, 0
	.set _ZN7rocprim6detail25device_scan_by_key_kernelILNS0_25lookback_scan_determinismE0ELb0ENS0_26wrapped_scan_by_key_configINS_14default_configEiyEEPiN6hipcub22TransformInputIteratorIyNS7_6CastOpIyEEPylEESB_yNS7_8EqualityENS7_3SumENS0_19lookback_scan_stateINS_5tupleIJybEEELb0ELb0EEEyEEvT2_T3_T4_T5_T6_T7_T8_mmmPKNSG_IJT9_bEEE.private_seg_size, 0
	.set _ZN7rocprim6detail25device_scan_by_key_kernelILNS0_25lookback_scan_determinismE0ELb0ENS0_26wrapped_scan_by_key_configINS_14default_configEiyEEPiN6hipcub22TransformInputIteratorIyNS7_6CastOpIyEEPylEESB_yNS7_8EqualityENS7_3SumENS0_19lookback_scan_stateINS_5tupleIJybEEELb0ELb0EEEyEEvT2_T3_T4_T5_T6_T7_T8_mmmPKNSG_IJT9_bEEE.uses_vcc, 1
	.set _ZN7rocprim6detail25device_scan_by_key_kernelILNS0_25lookback_scan_determinismE0ELb0ENS0_26wrapped_scan_by_key_configINS_14default_configEiyEEPiN6hipcub22TransformInputIteratorIyNS7_6CastOpIyEEPylEESB_yNS7_8EqualityENS7_3SumENS0_19lookback_scan_stateINS_5tupleIJybEEELb0ELb0EEEyEEvT2_T3_T4_T5_T6_T7_T8_mmmPKNSG_IJT9_bEEE.uses_flat_scratch, 0
	.set _ZN7rocprim6detail25device_scan_by_key_kernelILNS0_25lookback_scan_determinismE0ELb0ENS0_26wrapped_scan_by_key_configINS_14default_configEiyEEPiN6hipcub22TransformInputIteratorIyNS7_6CastOpIyEEPylEESB_yNS7_8EqualityENS7_3SumENS0_19lookback_scan_stateINS_5tupleIJybEEELb0ELb0EEEyEEvT2_T3_T4_T5_T6_T7_T8_mmmPKNSG_IJT9_bEEE.has_dyn_sized_stack, 0
	.set _ZN7rocprim6detail25device_scan_by_key_kernelILNS0_25lookback_scan_determinismE0ELb0ENS0_26wrapped_scan_by_key_configINS_14default_configEiyEEPiN6hipcub22TransformInputIteratorIyNS7_6CastOpIyEEPylEESB_yNS7_8EqualityENS7_3SumENS0_19lookback_scan_stateINS_5tupleIJybEEELb0ELb0EEEyEEvT2_T3_T4_T5_T6_T7_T8_mmmPKNSG_IJT9_bEEE.has_recursion, 0
	.set _ZN7rocprim6detail25device_scan_by_key_kernelILNS0_25lookback_scan_determinismE0ELb0ENS0_26wrapped_scan_by_key_configINS_14default_configEiyEEPiN6hipcub22TransformInputIteratorIyNS7_6CastOpIyEEPylEESB_yNS7_8EqualityENS7_3SumENS0_19lookback_scan_stateINS_5tupleIJybEEELb0ELb0EEEyEEvT2_T3_T4_T5_T6_T7_T8_mmmPKNSG_IJT9_bEEE.has_indirect_call, 0
	.section	.AMDGPU.csdata,"",@progbits
; Kernel info:
; codeLenInByte = 14316
; TotalNumSgprs: 82
; NumVgprs: 103
; ScratchSize: 0
; MemoryBound: 0
; FloatMode: 240
; IeeeMode: 1
; LDSByteSize: 7680 bytes/workgroup (compile time only)
; SGPRBlocks: 12
; VGPRBlocks: 25
; NumSGPRsForWavesPerEU: 102
; NumVGPRsForWavesPerEU: 103
; Occupancy: 2
; WaveLimiterHint : 1
; COMPUTE_PGM_RSRC2:SCRATCH_EN: 0
; COMPUTE_PGM_RSRC2:USER_SGPR: 6
; COMPUTE_PGM_RSRC2:TRAP_HANDLER: 0
; COMPUTE_PGM_RSRC2:TGID_X_EN: 1
; COMPUTE_PGM_RSRC2:TGID_Y_EN: 0
; COMPUTE_PGM_RSRC2:TGID_Z_EN: 0
; COMPUTE_PGM_RSRC2:TIDIG_COMP_CNT: 0
	.section	.text._ZN7rocprim6detail25device_scan_by_key_kernelILNS0_25lookback_scan_determinismE0ELb0ENS0_26wrapped_scan_by_key_configINS_14default_configEiyEEPiN6hipcub22TransformInputIteratorIyNS7_6CastOpIyEEPylEESB_yNS7_8EqualityENS7_3MinENS0_19lookback_scan_stateINS_5tupleIJybEEELb1ELb0EEEyEEvT2_T3_T4_T5_T6_T7_T8_mmmPKNSG_IJT9_bEEE,"axG",@progbits,_ZN7rocprim6detail25device_scan_by_key_kernelILNS0_25lookback_scan_determinismE0ELb0ENS0_26wrapped_scan_by_key_configINS_14default_configEiyEEPiN6hipcub22TransformInputIteratorIyNS7_6CastOpIyEEPylEESB_yNS7_8EqualityENS7_3MinENS0_19lookback_scan_stateINS_5tupleIJybEEELb1ELb0EEEyEEvT2_T3_T4_T5_T6_T7_T8_mmmPKNSG_IJT9_bEEE,comdat
	.protected	_ZN7rocprim6detail25device_scan_by_key_kernelILNS0_25lookback_scan_determinismE0ELb0ENS0_26wrapped_scan_by_key_configINS_14default_configEiyEEPiN6hipcub22TransformInputIteratorIyNS7_6CastOpIyEEPylEESB_yNS7_8EqualityENS7_3MinENS0_19lookback_scan_stateINS_5tupleIJybEEELb1ELb0EEEyEEvT2_T3_T4_T5_T6_T7_T8_mmmPKNSG_IJT9_bEEE ; -- Begin function _ZN7rocprim6detail25device_scan_by_key_kernelILNS0_25lookback_scan_determinismE0ELb0ENS0_26wrapped_scan_by_key_configINS_14default_configEiyEEPiN6hipcub22TransformInputIteratorIyNS7_6CastOpIyEEPylEESB_yNS7_8EqualityENS7_3MinENS0_19lookback_scan_stateINS_5tupleIJybEEELb1ELb0EEEyEEvT2_T3_T4_T5_T6_T7_T8_mmmPKNSG_IJT9_bEEE
	.globl	_ZN7rocprim6detail25device_scan_by_key_kernelILNS0_25lookback_scan_determinismE0ELb0ENS0_26wrapped_scan_by_key_configINS_14default_configEiyEEPiN6hipcub22TransformInputIteratorIyNS7_6CastOpIyEEPylEESB_yNS7_8EqualityENS7_3MinENS0_19lookback_scan_stateINS_5tupleIJybEEELb1ELb0EEEyEEvT2_T3_T4_T5_T6_T7_T8_mmmPKNSG_IJT9_bEEE
	.p2align	8
	.type	_ZN7rocprim6detail25device_scan_by_key_kernelILNS0_25lookback_scan_determinismE0ELb0ENS0_26wrapped_scan_by_key_configINS_14default_configEiyEEPiN6hipcub22TransformInputIteratorIyNS7_6CastOpIyEEPylEESB_yNS7_8EqualityENS7_3MinENS0_19lookback_scan_stateINS_5tupleIJybEEELb1ELb0EEEyEEvT2_T3_T4_T5_T6_T7_T8_mmmPKNSG_IJT9_bEEE,@function
_ZN7rocprim6detail25device_scan_by_key_kernelILNS0_25lookback_scan_determinismE0ELb0ENS0_26wrapped_scan_by_key_configINS_14default_configEiyEEPiN6hipcub22TransformInputIteratorIyNS7_6CastOpIyEEPylEESB_yNS7_8EqualityENS7_3MinENS0_19lookback_scan_stateINS_5tupleIJybEEELb1ELb0EEEyEEvT2_T3_T4_T5_T6_T7_T8_mmmPKNSG_IJT9_bEEE: ; @_ZN7rocprim6detail25device_scan_by_key_kernelILNS0_25lookback_scan_determinismE0ELb0ENS0_26wrapped_scan_by_key_configINS_14default_configEiyEEPiN6hipcub22TransformInputIteratorIyNS7_6CastOpIyEEPylEESB_yNS7_8EqualityENS7_3MinENS0_19lookback_scan_stateINS_5tupleIJybEEELb1ELb0EEEyEEvT2_T3_T4_T5_T6_T7_T8_mmmPKNSG_IJT9_bEEE
; %bb.0:
	s_endpgm
	.section	.rodata,"a",@progbits
	.p2align	6, 0x0
	.amdhsa_kernel _ZN7rocprim6detail25device_scan_by_key_kernelILNS0_25lookback_scan_determinismE0ELb0ENS0_26wrapped_scan_by_key_configINS_14default_configEiyEEPiN6hipcub22TransformInputIteratorIyNS7_6CastOpIyEEPylEESB_yNS7_8EqualityENS7_3MinENS0_19lookback_scan_stateINS_5tupleIJybEEELb1ELb0EEEyEEvT2_T3_T4_T5_T6_T7_T8_mmmPKNSG_IJT9_bEEE
		.amdhsa_group_segment_fixed_size 0
		.amdhsa_private_segment_fixed_size 0
		.amdhsa_kernarg_size 104
		.amdhsa_user_sgpr_count 6
		.amdhsa_user_sgpr_private_segment_buffer 1
		.amdhsa_user_sgpr_dispatch_ptr 0
		.amdhsa_user_sgpr_queue_ptr 0
		.amdhsa_user_sgpr_kernarg_segment_ptr 1
		.amdhsa_user_sgpr_dispatch_id 0
		.amdhsa_user_sgpr_flat_scratch_init 0
		.amdhsa_user_sgpr_private_segment_size 0
		.amdhsa_uses_dynamic_stack 0
		.amdhsa_system_sgpr_private_segment_wavefront_offset 0
		.amdhsa_system_sgpr_workgroup_id_x 1
		.amdhsa_system_sgpr_workgroup_id_y 0
		.amdhsa_system_sgpr_workgroup_id_z 0
		.amdhsa_system_sgpr_workgroup_info 0
		.amdhsa_system_vgpr_workitem_id 0
		.amdhsa_next_free_vgpr 1
		.amdhsa_next_free_sgpr 0
		.amdhsa_reserve_vcc 0
		.amdhsa_reserve_flat_scratch 0
		.amdhsa_float_round_mode_32 0
		.amdhsa_float_round_mode_16_64 0
		.amdhsa_float_denorm_mode_32 3
		.amdhsa_float_denorm_mode_16_64 3
		.amdhsa_dx10_clamp 1
		.amdhsa_ieee_mode 1
		.amdhsa_fp16_overflow 0
		.amdhsa_exception_fp_ieee_invalid_op 0
		.amdhsa_exception_fp_denorm_src 0
		.amdhsa_exception_fp_ieee_div_zero 0
		.amdhsa_exception_fp_ieee_overflow 0
		.amdhsa_exception_fp_ieee_underflow 0
		.amdhsa_exception_fp_ieee_inexact 0
		.amdhsa_exception_int_div_zero 0
	.end_amdhsa_kernel
	.section	.text._ZN7rocprim6detail25device_scan_by_key_kernelILNS0_25lookback_scan_determinismE0ELb0ENS0_26wrapped_scan_by_key_configINS_14default_configEiyEEPiN6hipcub22TransformInputIteratorIyNS7_6CastOpIyEEPylEESB_yNS7_8EqualityENS7_3MinENS0_19lookback_scan_stateINS_5tupleIJybEEELb1ELb0EEEyEEvT2_T3_T4_T5_T6_T7_T8_mmmPKNSG_IJT9_bEEE,"axG",@progbits,_ZN7rocprim6detail25device_scan_by_key_kernelILNS0_25lookback_scan_determinismE0ELb0ENS0_26wrapped_scan_by_key_configINS_14default_configEiyEEPiN6hipcub22TransformInputIteratorIyNS7_6CastOpIyEEPylEESB_yNS7_8EqualityENS7_3MinENS0_19lookback_scan_stateINS_5tupleIJybEEELb1ELb0EEEyEEvT2_T3_T4_T5_T6_T7_T8_mmmPKNSG_IJT9_bEEE,comdat
.Lfunc_end71:
	.size	_ZN7rocprim6detail25device_scan_by_key_kernelILNS0_25lookback_scan_determinismE0ELb0ENS0_26wrapped_scan_by_key_configINS_14default_configEiyEEPiN6hipcub22TransformInputIteratorIyNS7_6CastOpIyEEPylEESB_yNS7_8EqualityENS7_3MinENS0_19lookback_scan_stateINS_5tupleIJybEEELb1ELb0EEEyEEvT2_T3_T4_T5_T6_T7_T8_mmmPKNSG_IJT9_bEEE, .Lfunc_end71-_ZN7rocprim6detail25device_scan_by_key_kernelILNS0_25lookback_scan_determinismE0ELb0ENS0_26wrapped_scan_by_key_configINS_14default_configEiyEEPiN6hipcub22TransformInputIteratorIyNS7_6CastOpIyEEPylEESB_yNS7_8EqualityENS7_3MinENS0_19lookback_scan_stateINS_5tupleIJybEEELb1ELb0EEEyEEvT2_T3_T4_T5_T6_T7_T8_mmmPKNSG_IJT9_bEEE
                                        ; -- End function
	.set _ZN7rocprim6detail25device_scan_by_key_kernelILNS0_25lookback_scan_determinismE0ELb0ENS0_26wrapped_scan_by_key_configINS_14default_configEiyEEPiN6hipcub22TransformInputIteratorIyNS7_6CastOpIyEEPylEESB_yNS7_8EqualityENS7_3MinENS0_19lookback_scan_stateINS_5tupleIJybEEELb1ELb0EEEyEEvT2_T3_T4_T5_T6_T7_T8_mmmPKNSG_IJT9_bEEE.num_vgpr, 0
	.set _ZN7rocprim6detail25device_scan_by_key_kernelILNS0_25lookback_scan_determinismE0ELb0ENS0_26wrapped_scan_by_key_configINS_14default_configEiyEEPiN6hipcub22TransformInputIteratorIyNS7_6CastOpIyEEPylEESB_yNS7_8EqualityENS7_3MinENS0_19lookback_scan_stateINS_5tupleIJybEEELb1ELb0EEEyEEvT2_T3_T4_T5_T6_T7_T8_mmmPKNSG_IJT9_bEEE.num_agpr, 0
	.set _ZN7rocprim6detail25device_scan_by_key_kernelILNS0_25lookback_scan_determinismE0ELb0ENS0_26wrapped_scan_by_key_configINS_14default_configEiyEEPiN6hipcub22TransformInputIteratorIyNS7_6CastOpIyEEPylEESB_yNS7_8EqualityENS7_3MinENS0_19lookback_scan_stateINS_5tupleIJybEEELb1ELb0EEEyEEvT2_T3_T4_T5_T6_T7_T8_mmmPKNSG_IJT9_bEEE.numbered_sgpr, 0
	.set _ZN7rocprim6detail25device_scan_by_key_kernelILNS0_25lookback_scan_determinismE0ELb0ENS0_26wrapped_scan_by_key_configINS_14default_configEiyEEPiN6hipcub22TransformInputIteratorIyNS7_6CastOpIyEEPylEESB_yNS7_8EqualityENS7_3MinENS0_19lookback_scan_stateINS_5tupleIJybEEELb1ELb0EEEyEEvT2_T3_T4_T5_T6_T7_T8_mmmPKNSG_IJT9_bEEE.num_named_barrier, 0
	.set _ZN7rocprim6detail25device_scan_by_key_kernelILNS0_25lookback_scan_determinismE0ELb0ENS0_26wrapped_scan_by_key_configINS_14default_configEiyEEPiN6hipcub22TransformInputIteratorIyNS7_6CastOpIyEEPylEESB_yNS7_8EqualityENS7_3MinENS0_19lookback_scan_stateINS_5tupleIJybEEELb1ELb0EEEyEEvT2_T3_T4_T5_T6_T7_T8_mmmPKNSG_IJT9_bEEE.private_seg_size, 0
	.set _ZN7rocprim6detail25device_scan_by_key_kernelILNS0_25lookback_scan_determinismE0ELb0ENS0_26wrapped_scan_by_key_configINS_14default_configEiyEEPiN6hipcub22TransformInputIteratorIyNS7_6CastOpIyEEPylEESB_yNS7_8EqualityENS7_3MinENS0_19lookback_scan_stateINS_5tupleIJybEEELb1ELb0EEEyEEvT2_T3_T4_T5_T6_T7_T8_mmmPKNSG_IJT9_bEEE.uses_vcc, 0
	.set _ZN7rocprim6detail25device_scan_by_key_kernelILNS0_25lookback_scan_determinismE0ELb0ENS0_26wrapped_scan_by_key_configINS_14default_configEiyEEPiN6hipcub22TransformInputIteratorIyNS7_6CastOpIyEEPylEESB_yNS7_8EqualityENS7_3MinENS0_19lookback_scan_stateINS_5tupleIJybEEELb1ELb0EEEyEEvT2_T3_T4_T5_T6_T7_T8_mmmPKNSG_IJT9_bEEE.uses_flat_scratch, 0
	.set _ZN7rocprim6detail25device_scan_by_key_kernelILNS0_25lookback_scan_determinismE0ELb0ENS0_26wrapped_scan_by_key_configINS_14default_configEiyEEPiN6hipcub22TransformInputIteratorIyNS7_6CastOpIyEEPylEESB_yNS7_8EqualityENS7_3MinENS0_19lookback_scan_stateINS_5tupleIJybEEELb1ELb0EEEyEEvT2_T3_T4_T5_T6_T7_T8_mmmPKNSG_IJT9_bEEE.has_dyn_sized_stack, 0
	.set _ZN7rocprim6detail25device_scan_by_key_kernelILNS0_25lookback_scan_determinismE0ELb0ENS0_26wrapped_scan_by_key_configINS_14default_configEiyEEPiN6hipcub22TransformInputIteratorIyNS7_6CastOpIyEEPylEESB_yNS7_8EqualityENS7_3MinENS0_19lookback_scan_stateINS_5tupleIJybEEELb1ELb0EEEyEEvT2_T3_T4_T5_T6_T7_T8_mmmPKNSG_IJT9_bEEE.has_recursion, 0
	.set _ZN7rocprim6detail25device_scan_by_key_kernelILNS0_25lookback_scan_determinismE0ELb0ENS0_26wrapped_scan_by_key_configINS_14default_configEiyEEPiN6hipcub22TransformInputIteratorIyNS7_6CastOpIyEEPylEESB_yNS7_8EqualityENS7_3MinENS0_19lookback_scan_stateINS_5tupleIJybEEELb1ELb0EEEyEEvT2_T3_T4_T5_T6_T7_T8_mmmPKNSG_IJT9_bEEE.has_indirect_call, 0
	.section	.AMDGPU.csdata,"",@progbits
; Kernel info:
; codeLenInByte = 4
; TotalNumSgprs: 4
; NumVgprs: 0
; ScratchSize: 0
; MemoryBound: 0
; FloatMode: 240
; IeeeMode: 1
; LDSByteSize: 0 bytes/workgroup (compile time only)
; SGPRBlocks: 0
; VGPRBlocks: 0
; NumSGPRsForWavesPerEU: 4
; NumVGPRsForWavesPerEU: 1
; Occupancy: 10
; WaveLimiterHint : 0
; COMPUTE_PGM_RSRC2:SCRATCH_EN: 0
; COMPUTE_PGM_RSRC2:USER_SGPR: 6
; COMPUTE_PGM_RSRC2:TRAP_HANDLER: 0
; COMPUTE_PGM_RSRC2:TGID_X_EN: 1
; COMPUTE_PGM_RSRC2:TGID_Y_EN: 0
; COMPUTE_PGM_RSRC2:TGID_Z_EN: 0
; COMPUTE_PGM_RSRC2:TIDIG_COMP_CNT: 0
	.section	.text._ZN7rocprim6detail25device_scan_by_key_kernelILNS0_25lookback_scan_determinismE0ELb0ENS0_26wrapped_scan_by_key_configINS_14default_configEiyEEPiN6hipcub22TransformInputIteratorIyNS7_6CastOpIyEEPylEESB_yNS7_8EqualityENS7_3MinENS0_19lookback_scan_stateINS_5tupleIJybEEELb0ELb0EEEyEEvT2_T3_T4_T5_T6_T7_T8_mmmPKNSG_IJT9_bEEE,"axG",@progbits,_ZN7rocprim6detail25device_scan_by_key_kernelILNS0_25lookback_scan_determinismE0ELb0ENS0_26wrapped_scan_by_key_configINS_14default_configEiyEEPiN6hipcub22TransformInputIteratorIyNS7_6CastOpIyEEPylEESB_yNS7_8EqualityENS7_3MinENS0_19lookback_scan_stateINS_5tupleIJybEEELb0ELb0EEEyEEvT2_T3_T4_T5_T6_T7_T8_mmmPKNSG_IJT9_bEEE,comdat
	.protected	_ZN7rocprim6detail25device_scan_by_key_kernelILNS0_25lookback_scan_determinismE0ELb0ENS0_26wrapped_scan_by_key_configINS_14default_configEiyEEPiN6hipcub22TransformInputIteratorIyNS7_6CastOpIyEEPylEESB_yNS7_8EqualityENS7_3MinENS0_19lookback_scan_stateINS_5tupleIJybEEELb0ELb0EEEyEEvT2_T3_T4_T5_T6_T7_T8_mmmPKNSG_IJT9_bEEE ; -- Begin function _ZN7rocprim6detail25device_scan_by_key_kernelILNS0_25lookback_scan_determinismE0ELb0ENS0_26wrapped_scan_by_key_configINS_14default_configEiyEEPiN6hipcub22TransformInputIteratorIyNS7_6CastOpIyEEPylEESB_yNS7_8EqualityENS7_3MinENS0_19lookback_scan_stateINS_5tupleIJybEEELb0ELb0EEEyEEvT2_T3_T4_T5_T6_T7_T8_mmmPKNSG_IJT9_bEEE
	.globl	_ZN7rocprim6detail25device_scan_by_key_kernelILNS0_25lookback_scan_determinismE0ELb0ENS0_26wrapped_scan_by_key_configINS_14default_configEiyEEPiN6hipcub22TransformInputIteratorIyNS7_6CastOpIyEEPylEESB_yNS7_8EqualityENS7_3MinENS0_19lookback_scan_stateINS_5tupleIJybEEELb0ELb0EEEyEEvT2_T3_T4_T5_T6_T7_T8_mmmPKNSG_IJT9_bEEE
	.p2align	8
	.type	_ZN7rocprim6detail25device_scan_by_key_kernelILNS0_25lookback_scan_determinismE0ELb0ENS0_26wrapped_scan_by_key_configINS_14default_configEiyEEPiN6hipcub22TransformInputIteratorIyNS7_6CastOpIyEEPylEESB_yNS7_8EqualityENS7_3MinENS0_19lookback_scan_stateINS_5tupleIJybEEELb0ELb0EEEyEEvT2_T3_T4_T5_T6_T7_T8_mmmPKNSG_IJT9_bEEE,@function
_ZN7rocprim6detail25device_scan_by_key_kernelILNS0_25lookback_scan_determinismE0ELb0ENS0_26wrapped_scan_by_key_configINS_14default_configEiyEEPiN6hipcub22TransformInputIteratorIyNS7_6CastOpIyEEPylEESB_yNS7_8EqualityENS7_3MinENS0_19lookback_scan_stateINS_5tupleIJybEEELb0ELb0EEEyEEvT2_T3_T4_T5_T6_T7_T8_mmmPKNSG_IJT9_bEEE: ; @_ZN7rocprim6detail25device_scan_by_key_kernelILNS0_25lookback_scan_determinismE0ELb0ENS0_26wrapped_scan_by_key_configINS_14default_configEiyEEPiN6hipcub22TransformInputIteratorIyNS7_6CastOpIyEEPylEESB_yNS7_8EqualityENS7_3MinENS0_19lookback_scan_stateINS_5tupleIJybEEELb0ELb0EEEyEEvT2_T3_T4_T5_T6_T7_T8_mmmPKNSG_IJT9_bEEE
; %bb.0:
	s_load_dwordx4 s[0:3], s[4:5], 0x0
	s_load_dwordx8 s[44:51], s[4:5], 0x30
	s_load_dwordx2 s[54:55], s[4:5], 0x60
	s_load_dwordx4 s[40:43], s[4:5], 0x50
	s_mul_i32 s8, s6, 0x3c0
	s_mov_b32 s9, 0
	s_lshl_b64 s[10:11], s[8:9], 2
	s_waitcnt lgkmcnt(0)
	s_add_u32 s56, s0, s10
	s_addc_u32 s57, s1, s11
	s_lshl_b64 s[52:53], s[8:9], 3
	s_add_u32 s38, s2, s52
	s_addc_u32 s39, s3, s53
	s_add_u32 s0, s40, s6
	s_addc_u32 s1, s41, 0
	s_add_u32 s2, s42, -1
	s_addc_u32 s3, s43, -1
	v_mov_b32_e32 v1, s2
	v_mov_b32_e32 v2, s3
	v_cmp_ge_u64_e64 s[0:1], s[0:1], v[1:2]
	s_mov_b64 s[28:29], -1
	s_and_b64 vcc, exec, s[0:1]
	s_mul_i32 s33, s2, 0xfffffc40
	v_lshlrev_b32_e32 v82, 2, v0
	s_cbranch_vccz .LBB72_47
; %bb.1:
	s_load_dword s36, s[56:57], 0x0
	v_mov_b32_e32 v2, s57
	v_add_co_u32_e32 v1, vcc, s56, v82
	s_add_i32 s7, s33, s50
	v_addc_co_u32_e32 v2, vcc, 0, v2, vcc
	v_cmp_gt_u32_e32 vcc, s7, v0
	s_waitcnt lgkmcnt(0)
	v_mov_b32_e32 v3, s36
	s_and_saveexec_b64 s[2:3], vcc
	s_cbranch_execz .LBB72_3
; %bb.2:
	global_load_dword v3, v[1:2], off
.LBB72_3:
	s_or_b64 exec, exec, s[2:3]
	v_or_b32_e32 v4, 64, v0
	v_cmp_gt_u32_e64 s[2:3], s7, v4
	v_mov_b32_e32 v4, s36
	s_and_saveexec_b64 s[8:9], s[2:3]
	s_cbranch_execz .LBB72_5
; %bb.4:
	global_load_dword v4, v[1:2], off offset:256
.LBB72_5:
	s_or_b64 exec, exec, s[8:9]
	v_or_b32_e32 v5, 0x80, v0
	v_cmp_gt_u32_e64 s[8:9], s7, v5
	v_mov_b32_e32 v5, s36
	s_and_saveexec_b64 s[10:11], s[8:9]
	s_cbranch_execz .LBB72_7
; %bb.6:
	global_load_dword v5, v[1:2], off offset:512
.LBB72_7:
	;; [unrolled: 9-line block ×14, first 2 shown]
	s_or_b64 exec, exec, s[36:37]
	s_sub_u32 s36, 0, s6
	s_subb_u32 s37, 0, 0
	s_cmp_eq_u64 s[40:41], s[36:37]
	s_cselect_b32 s36, 0, -4
	s_cselect_b32 s37, 0, -1
	s_add_u32 s36, s56, s36
	v_mad_u32_u24 v1, v0, 56, v82
	s_addc_u32 s37, s57, s37
	s_waitcnt vmcnt(0)
	ds_write2st64_b32 v82, v3, v4 offset1:1
	ds_write2st64_b32 v82, v5, v6 offset0:2 offset1:3
	ds_write2st64_b32 v82, v7, v8 offset0:4 offset1:5
	;; [unrolled: 1-line block ×6, first 2 shown]
	ds_write_b32 v82, v17 offset:3584
	s_waitcnt lgkmcnt(0)
	; wave barrier
	ds_read2_b32 v[63:64], v1 offset0:4 offset1:7
	ds_read2_b32 v[57:58], v1 offset0:13 offset1:14
	s_load_dword s42, s[36:37], 0x0
	ds_read2_b32 v[69:70], v1 offset1:1
	ds_read2_b32 v[67:68], v1 offset0:2 offset1:3
	ds_read2_b32 v[65:66], v1 offset0:5 offset1:6
	;; [unrolled: 1-line block ×3, first 2 shown]
	ds_read_b32 v97, v1 offset:40
	ds_read2_b32 v[59:60], v1 offset0:11 offset1:12
	s_movk_i32 s36, 0xffc8
	v_mad_i32_i24 v33, v0, s36, v1
	v_cmp_ne_u32_e64 s[36:37], 0, v0
	s_waitcnt lgkmcnt(0)
	v_mov_b32_e32 v101, s42
	ds_write_b32 v33, v58 offset:3840
	s_waitcnt lgkmcnt(0)
	; wave barrier
	s_and_saveexec_b64 s[42:43], s[36:37]
; %bb.32:
	ds_read_b32 v101, v33 offset:3836
; %bb.33:
	s_or_b64 exec, exec, s[42:43]
	v_lshlrev_b32_e32 v1, 3, v0
	v_mov_b32_e32 v2, s39
	v_add_co_u32_e64 v3, s[36:37], s38, v1
	v_addc_co_u32_e64 v4, s[36:37], 0, v2, s[36:37]
	s_waitcnt lgkmcnt(0)
	; wave barrier
                                        ; implicit-def: $vgpr1_vgpr2
	s_and_saveexec_b64 s[36:37], vcc
	s_cbranch_execz .LBB72_48
; %bb.34:
	global_load_dwordx2 v[1:2], v[3:4], off
	s_or_b64 exec, exec, s[36:37]
                                        ; implicit-def: $vgpr5_vgpr6
	s_and_saveexec_b64 s[36:37], s[2:3]
	s_cbranch_execnz .LBB72_49
.LBB72_35:
	s_or_b64 exec, exec, s[36:37]
                                        ; implicit-def: $vgpr7_vgpr8
	s_and_saveexec_b64 s[2:3], s[8:9]
	s_cbranch_execz .LBB72_50
.LBB72_36:
	global_load_dwordx2 v[7:8], v[3:4], off offset:1024
	s_or_b64 exec, exec, s[2:3]
                                        ; implicit-def: $vgpr9_vgpr10
	s_and_saveexec_b64 s[2:3], s[10:11]
	s_cbranch_execnz .LBB72_51
.LBB72_37:
	s_or_b64 exec, exec, s[2:3]
                                        ; implicit-def: $vgpr11_vgpr12
	s_and_saveexec_b64 s[2:3], s[14:15]
	s_cbranch_execz .LBB72_52
.LBB72_38:
	global_load_dwordx2 v[11:12], v[3:4], off offset:2048
	s_or_b64 exec, exec, s[2:3]
                                        ; implicit-def: $vgpr13_vgpr14
	s_and_saveexec_b64 s[2:3], s[18:19]
	s_cbranch_execnz .LBB72_53
.LBB72_39:
	s_or_b64 exec, exec, s[2:3]
                                        ; implicit-def: $vgpr15_vgpr16
	s_and_saveexec_b64 s[2:3], s[22:23]
	s_cbranch_execz .LBB72_54
.LBB72_40:
	global_load_dwordx2 v[15:16], v[3:4], off offset:3072
	s_or_b64 exec, exec, s[2:3]
                                        ; implicit-def: $vgpr17_vgpr18
	s_and_saveexec_b64 s[2:3], s[26:27]
	s_cbranch_execnz .LBB72_55
.LBB72_41:
	s_or_b64 exec, exec, s[2:3]
                                        ; implicit-def: $vgpr19_vgpr20
	s_and_saveexec_b64 s[2:3], s[30:31]
	s_cbranch_execz .LBB72_56
.LBB72_42:
	v_add_co_u32_e32 v19, vcc, 0x1000, v3
	v_addc_co_u32_e32 v20, vcc, 0, v4, vcc
	global_load_dwordx2 v[19:20], v[19:20], off
	s_or_b64 exec, exec, s[2:3]
                                        ; implicit-def: $vgpr21_vgpr22
	s_and_saveexec_b64 s[2:3], s[28:29]
	s_cbranch_execnz .LBB72_57
.LBB72_43:
	s_or_b64 exec, exec, s[2:3]
                                        ; implicit-def: $vgpr23_vgpr24
	s_and_saveexec_b64 s[2:3], s[24:25]
	s_cbranch_execz .LBB72_58
.LBB72_44:
	v_add_co_u32_e32 v23, vcc, 0x1000, v3
	v_addc_co_u32_e32 v24, vcc, 0, v4, vcc
	global_load_dwordx2 v[23:24], v[23:24], off offset:1024
	s_or_b64 exec, exec, s[2:3]
                                        ; implicit-def: $vgpr25_vgpr26
	s_and_saveexec_b64 s[2:3], s[20:21]
	s_cbranch_execnz .LBB72_59
.LBB72_45:
	s_or_b64 exec, exec, s[2:3]
                                        ; implicit-def: $vgpr27_vgpr28
	s_and_saveexec_b64 s[2:3], s[16:17]
	s_cbranch_execz .LBB72_60
.LBB72_46:
	v_add_co_u32_e32 v27, vcc, 0x1000, v3
	v_addc_co_u32_e32 v28, vcc, 0, v4, vcc
	global_load_dwordx2 v[27:28], v[27:28], off offset:2048
	s_or_b64 exec, exec, s[2:3]
                                        ; implicit-def: $vgpr29_vgpr30
	s_and_saveexec_b64 s[2:3], s[12:13]
	s_cbranch_execz .LBB72_62
	s_branch .LBB72_61
.LBB72_47:
	s_mov_b64 s[8:9], 0
                                        ; implicit-def: $sgpr26_sgpr27
                                        ; implicit-def: $vgpr87
                                        ; implicit-def: $vgpr88
                                        ; implicit-def: $vgpr93
                                        ; implicit-def: $vgpr86
                                        ; implicit-def: $vgpr35_vgpr36
                                        ; implicit-def: $vgpr1_vgpr2
                                        ; implicit-def: $vgpr5_vgpr6
                                        ; implicit-def: $vgpr89
                                        ; implicit-def: $vgpr33_vgpr34
                                        ; implicit-def: $vgpr90
                                        ; implicit-def: $vgpr39_vgpr40
                                        ; implicit-def: $vgpr91
                                        ; implicit-def: $vgpr92
                                        ; implicit-def: $vgpr43_vgpr44
                                        ; implicit-def: $vgpr94
                                        ; implicit-def: $vgpr47_vgpr48
                                        ; implicit-def: $vgpr95
                                        ; implicit-def: $vgpr51_vgpr52
                                        ; implicit-def: $vgpr96
                                        ; implicit-def: $vgpr98
                                        ; implicit-def: $vgpr100
                                        ; implicit-def: $vgpr72
                                        ; implicit-def: $vgpr73
                                        ; implicit-def: $vgpr79
                                        ; implicit-def: $vgpr75
                                        ; implicit-def: $vgpr71
                                        ; implicit-def: $vgpr53_vgpr54
                                        ; implicit-def: $vgpr74
                                        ; implicit-def: $vgpr29_vgpr30
                                        ; implicit-def: $vgpr76
                                        ; implicit-def: $vgpr55_vgpr56
                                        ; implicit-def: $vgpr25_vgpr26
                                        ; implicit-def: $vgpr77
                                        ; implicit-def: $vgpr27_vgpr28
                                        ; implicit-def: $vgpr78
                                        ; implicit-def: $vgpr21_vgpr22
                                        ; implicit-def: $vgpr23_vgpr24
                                        ; implicit-def: $vgpr80
                                        ; implicit-def: $vgpr17_vgpr18
                                        ; implicit-def: $vgpr81
                                        ; implicit-def: $vgpr19_vgpr20
                                        ; implicit-def: $vgpr13_vgpr14
                                        ; implicit-def: $vgpr84
                                        ; implicit-def: $vgpr15_vgpr16
                                        ; implicit-def: $vgpr85
                                        ; implicit-def: $vgpr9_vgpr10
                                        ; implicit-def: $vgpr83
	s_and_b64 vcc, exec, s[28:29]
	v_cmp_ne_u32_e64 s[2:3], 0, v0
	s_cbranch_vccz .LBB72_96
	s_branch .LBB72_93
.LBB72_48:
	s_or_b64 exec, exec, s[36:37]
                                        ; implicit-def: $vgpr5_vgpr6
	s_and_saveexec_b64 s[36:37], s[2:3]
	s_cbranch_execz .LBB72_35
.LBB72_49:
	global_load_dwordx2 v[5:6], v[3:4], off offset:512
	s_or_b64 exec, exec, s[36:37]
                                        ; implicit-def: $vgpr7_vgpr8
	s_and_saveexec_b64 s[2:3], s[8:9]
	s_cbranch_execnz .LBB72_36
.LBB72_50:
	s_or_b64 exec, exec, s[2:3]
                                        ; implicit-def: $vgpr9_vgpr10
	s_and_saveexec_b64 s[2:3], s[10:11]
	s_cbranch_execz .LBB72_37
.LBB72_51:
	global_load_dwordx2 v[9:10], v[3:4], off offset:1536
	s_or_b64 exec, exec, s[2:3]
                                        ; implicit-def: $vgpr11_vgpr12
	s_and_saveexec_b64 s[2:3], s[14:15]
	s_cbranch_execnz .LBB72_38
.LBB72_52:
	s_or_b64 exec, exec, s[2:3]
                                        ; implicit-def: $vgpr13_vgpr14
	s_and_saveexec_b64 s[2:3], s[18:19]
	s_cbranch_execz .LBB72_39
.LBB72_53:
	global_load_dwordx2 v[13:14], v[3:4], off offset:2560
	s_or_b64 exec, exec, s[2:3]
                                        ; implicit-def: $vgpr15_vgpr16
	s_and_saveexec_b64 s[2:3], s[22:23]
	s_cbranch_execnz .LBB72_40
.LBB72_54:
	s_or_b64 exec, exec, s[2:3]
                                        ; implicit-def: $vgpr17_vgpr18
	s_and_saveexec_b64 s[2:3], s[26:27]
	s_cbranch_execz .LBB72_41
.LBB72_55:
	global_load_dwordx2 v[17:18], v[3:4], off offset:3584
	s_or_b64 exec, exec, s[2:3]
                                        ; implicit-def: $vgpr19_vgpr20
	s_and_saveexec_b64 s[2:3], s[30:31]
	s_cbranch_execnz .LBB72_42
.LBB72_56:
	s_or_b64 exec, exec, s[2:3]
                                        ; implicit-def: $vgpr21_vgpr22
	s_and_saveexec_b64 s[2:3], s[28:29]
	s_cbranch_execz .LBB72_43
.LBB72_57:
	v_add_co_u32_e32 v21, vcc, 0x1000, v3
	v_addc_co_u32_e32 v22, vcc, 0, v4, vcc
	global_load_dwordx2 v[21:22], v[21:22], off offset:512
	s_or_b64 exec, exec, s[2:3]
                                        ; implicit-def: $vgpr23_vgpr24
	s_and_saveexec_b64 s[2:3], s[24:25]
	s_cbranch_execnz .LBB72_44
.LBB72_58:
	s_or_b64 exec, exec, s[2:3]
                                        ; implicit-def: $vgpr25_vgpr26
	s_and_saveexec_b64 s[2:3], s[20:21]
	s_cbranch_execz .LBB72_45
.LBB72_59:
	v_add_co_u32_e32 v25, vcc, 0x1000, v3
	v_addc_co_u32_e32 v26, vcc, 0, v4, vcc
	global_load_dwordx2 v[25:26], v[25:26], off offset:1536
	s_or_b64 exec, exec, s[2:3]
                                        ; implicit-def: $vgpr27_vgpr28
	s_and_saveexec_b64 s[2:3], s[16:17]
	s_cbranch_execnz .LBB72_46
.LBB72_60:
	s_or_b64 exec, exec, s[2:3]
                                        ; implicit-def: $vgpr29_vgpr30
	s_and_saveexec_b64 s[2:3], s[12:13]
	s_cbranch_execz .LBB72_62
.LBB72_61:
	v_add_co_u32_e32 v29, vcc, 0x1000, v3
	v_addc_co_u32_e32 v30, vcc, 0, v4, vcc
	global_load_dwordx2 v[29:30], v[29:30], off offset:2560
.LBB72_62:
	s_or_b64 exec, exec, s[2:3]
	v_mul_u32_u24_e32 v99, 15, v0
                                        ; implicit-def: $vgpr31_vgpr32
	s_and_saveexec_b64 s[2:3], s[34:35]
	s_cbranch_execz .LBB72_64
; %bb.63:
	v_add_co_u32_e32 v3, vcc, 0x1000, v3
	v_addc_co_u32_e32 v4, vcc, 0, v4, vcc
	global_load_dwordx2 v[31:32], v[3:4], off offset:3072
.LBB72_64:
	s_or_b64 exec, exec, s[2:3]
	v_lshl_add_u32 v102, v0, 2, v33
	s_waitcnt vmcnt(0)
	ds_write2st64_b64 v102, v[1:2], v[5:6] offset1:1
	ds_write2st64_b64 v102, v[7:8], v[9:10] offset0:2 offset1:3
	ds_write2st64_b64 v102, v[11:12], v[13:14] offset0:4 offset1:5
	;; [unrolled: 1-line block ×6, first 2 shown]
	ds_write_b64 v102, v[31:32] offset:7168
	v_mov_b32_e32 v1, 0
	v_mov_b32_e32 v5, 0
	;; [unrolled: 1-line block ×26, first 2 shown]
	v_cmp_gt_u32_e32 vcc, s7, v99
	v_mov_b32_e32 v87, 0
	s_mov_b64 s[28:29], 0
	v_mov_b32_e32 v2, 0
	s_mov_b64 s[8:9], 0
	v_mov_b32_e32 v88, 0
	v_mov_b32_e32 v93, 0
	;; [unrolled: 1-line block ×51, first 2 shown]
	s_waitcnt lgkmcnt(0)
	; wave barrier
                                        ; implicit-def: $sgpr26_sgpr27
                                        ; implicit-def: $vgpr35_vgpr36
	s_and_saveexec_b64 s[30:31], vcc
	s_cbranch_execz .LBB72_92
; %bb.65:
	s_movk_i32 s2, 0x70
	v_mad_u32_u24 v1, v0, s2, v102
	ds_read_b64 v[1:2], v1
	v_add_u32_e32 v3, 1, v99
	v_cmp_gt_u32_e64 s[2:3], s7, v3
	v_mov_b32_e32 v5, 0
	v_mov_b32_e32 v33, 0
	v_mov_b32_e32 v31, 0
	v_mov_b32_e32 v39, 0
	v_mov_b32_e32 v37, 0
	v_mov_b32_e32 v43, 0
	v_mov_b32_e32 v41, 0
	v_mov_b32_e32 v47, 0
	v_mov_b32_e32 v45, 0
	v_mov_b32_e32 v51, 0
	v_mov_b32_e32 v49, 0
	v_mov_b32_e32 v3, 0
	v_mov_b32_e32 v7, 0
	v_mov_b32_e32 v53, 0
	v_mov_b32_e32 v29, 0
	v_mov_b32_e32 v55, 0
	v_mov_b32_e32 v25, 0
	v_mov_b32_e32 v27, 0
	v_mov_b32_e32 v21, 0
	v_mov_b32_e32 v23, 0
	v_mov_b32_e32 v17, 0
	v_mov_b32_e32 v19, 0
	v_mov_b32_e32 v13, 0
	v_mov_b32_e32 v15, 0
	v_mov_b32_e32 v9, 0
	v_cmp_ne_u32_e32 vcc, v101, v69
	v_mov_b32_e32 v87, 0
	v_mov_b32_e32 v6, 0
	;; [unrolled: 1-line block ×50, first 2 shown]
                                        ; implicit-def: $sgpr26_sgpr27
                                        ; implicit-def: $vgpr35_vgpr36
	s_and_saveexec_b64 s[34:35], s[2:3]
	s_cbranch_execz .LBB72_91
; %bb.66:
	v_mul_u32_u24_e32 v3, 0x70, v0
	v_add_u32_e32 v4, v102, v3
	ds_read2_b64 v[9:12], v4 offset0:1 offset1:2
	v_add_u32_e32 v3, 2, v99
	v_mov_b32_e32 v5, 0
	v_mov_b32_e32 v33, 0
	;; [unrolled: 1-line block ×23, first 2 shown]
	v_cmp_ne_u32_e64 s[2:3], v69, v70
	v_cmp_gt_u32_e64 s[8:9], s7, v3
	v_mov_b32_e32 v87, 0
	s_mov_b64 s[10:11], 0
	v_mov_b32_e32 v6, 0
	v_mov_b32_e32 v88, 0
	;; [unrolled: 1-line block ×45, first 2 shown]
                                        ; implicit-def: $sgpr26_sgpr27
                                        ; implicit-def: $vgpr35_vgpr36
	s_and_saveexec_b64 s[36:37], s[8:9]
	s_cbranch_execz .LBB72_90
; %bb.67:
	v_add_u32_e32 v3, 3, v99
	v_mov_b32_e32 v5, 0
	v_mov_b32_e32 v33, 0
	;; [unrolled: 1-line block ×21, first 2 shown]
	v_cmp_ne_u32_e64 s[22:23], v70, v67
	v_cmp_gt_u32_e64 s[8:9], s7, v3
	v_mov_b32_e32 v87, 0
	v_mov_b32_e32 v6, 0
	;; [unrolled: 1-line block ×42, first 2 shown]
                                        ; implicit-def: $sgpr26_sgpr27
                                        ; implicit-def: $vgpr35_vgpr36
	s_and_saveexec_b64 s[42:43], s[8:9]
	s_cbranch_execz .LBB72_89
; %bb.68:
	v_cmp_ne_u32_e64 s[8:9], v67, v68
	v_cndmask_b32_e64 v3, 0, 1, s[8:9]
	v_cmp_ne_u32_e64 s[8:9], v65, v66
	ds_read2_b64 v[13:16], v4 offset0:3 offset1:4
	v_lshlrev_b16_e32 v3, 8, v3
	v_cndmask_b32_e64 v5, 0, 1, s[8:9]
	v_or_b32_e32 v3, v5, v3
	v_lshlrev_b32_e32 v49, 16, v3
	v_add_u32_e32 v5, 4, v99
	v_lshrrev_b32_e32 v86, 24, v49
	v_cmp_gt_u32_e64 s[8:9], s7, v5
	v_mov_b32_e32 v5, 0
	v_mov_b32_e32 v33, 0
	;; [unrolled: 1-line block ×19, first 2 shown]
	v_cmp_ne_u32_e64 s[14:15], v59, v60
	v_cmp_ne_u32_e64 s[18:19], v61, v62
	v_mov_b32_e32 v87, 0
	v_mov_b32_e32 v6, 0
	;; [unrolled: 1-line block ×39, first 2 shown]
                                        ; implicit-def: $sgpr26_sgpr27
                                        ; implicit-def: $vgpr35_vgpr36
	s_and_saveexec_b64 s[58:59], s[8:9]
	s_cbranch_execz .LBB72_88
; %bb.69:
	v_add_u32_e32 v5, 5, v99
	v_cmp_gt_u32_e64 s[10:11], s7, v5
	v_mov_b32_e32 v5, 0
	v_mov_b32_e32 v33, 0
	;; [unrolled: 1-line block ×17, first 2 shown]
	v_cmp_ne_u32_e64 s[8:9], v68, v63
	s_mov_b64 s[12:13], 0
	v_mov_b32_e32 v89, 0
	v_mov_b32_e32 v6, 0
	;; [unrolled: 1-line block ×34, first 2 shown]
                                        ; implicit-def: $sgpr26_sgpr27
                                        ; implicit-def: $vgpr35_vgpr36
	s_and_saveexec_b64 s[60:61], s[10:11]
	s_cbranch_execz .LBB72_87
; %bb.70:
	ds_read2_b64 v[17:20], v4 offset0:5 offset1:6
	v_add_u32_e32 v5, 6, v99
	v_cmp_gt_u32_e64 s[12:13], s7, v5
	v_mov_b32_e32 v5, 0
	v_mov_b32_e32 v33, 0
	;; [unrolled: 1-line block ×15, first 2 shown]
	v_cmp_ne_u32_e64 s[10:11], v63, v65
	s_mov_b64 s[16:17], 0
	v_mov_b32_e32 v89, 0
	v_mov_b32_e32 v6, 0
	;; [unrolled: 1-line block ×30, first 2 shown]
                                        ; implicit-def: $sgpr26_sgpr27
                                        ; implicit-def: $vgpr35_vgpr36
	s_and_saveexec_b64 s[62:63], s[12:13]
	s_cbranch_execz .LBB72_86
; %bb.71:
	v_add_u32_e32 v5, 7, v99
	v_cmp_gt_u32_e64 s[12:13], s7, v5
	v_mov_b32_e32 v5, 0
	v_mov_b32_e32 v33, 0
	;; [unrolled: 1-line block ×40, first 2 shown]
                                        ; implicit-def: $sgpr26_sgpr27
                                        ; implicit-def: $vgpr35_vgpr36
	s_and_saveexec_b64 s[64:65], s[12:13]
	s_cbranch_execz .LBB72_85
; %bb.72:
	ds_read2_b64 v[21:24], v4 offset0:7 offset1:8
	v_add_u32_e32 v5, 8, v99
	v_cmp_gt_u32_e64 s[16:17], s7, v5
	v_mov_b32_e32 v5, 0
	v_mov_b32_e32 v33, 0
	;; [unrolled: 1-line block ×11, first 2 shown]
	v_cmp_ne_u32_e64 s[12:13], v66, v64
	s_mov_b64 s[20:21], 0
	v_mov_b32_e32 v89, 0
	v_mov_b32_e32 v6, 0
	;; [unrolled: 1-line block ×22, first 2 shown]
                                        ; implicit-def: $sgpr26_sgpr27
                                        ; implicit-def: $vgpr35_vgpr36
	s_and_saveexec_b64 s[66:67], s[16:17]
	s_cbranch_execz .LBB72_84
; %bb.73:
	v_add_u32_e32 v5, 9, v99
	v_cmp_gt_u32_e64 s[20:21], s7, v5
	v_mov_b32_e32 v5, 0
	v_mov_b32_e32 v33, 0
	;; [unrolled: 1-line block ×9, first 2 shown]
	v_cmp_ne_u32_e64 s[16:17], v64, v61
	s_mov_b64 s[24:25], 0
	v_mov_b32_e32 v89, 0
	v_mov_b32_e32 v6, 0
	;; [unrolled: 1-line block ×18, first 2 shown]
                                        ; implicit-def: $sgpr26_sgpr27
                                        ; implicit-def: $vgpr35_vgpr36
	s_and_saveexec_b64 s[68:69], s[20:21]
	s_cbranch_execz .LBB72_83
; %bb.74:
	v_cndmask_b32_e64 v5, 0, 1, s[18:19]
	v_lshlrev_b16_e32 v37, 8, v5
	ds_read2_b64 v[25:28], v4 offset0:9 offset1:10
	v_or_b32_e32 v5, v37, v49
	v_lshrrev_b32_e32 v88, 8, v5
	v_add_u32_e32 v5, 10, v99
	v_cmp_gt_u32_e64 s[18:19], s7, v5
	v_mov_b32_e32 v5, 0
	v_mov_b32_e32 v33, 0
	;; [unrolled: 1-line block ×8, first 2 shown]
	s_mov_b64 s[20:21], 0
	v_mov_b32_e32 v6, 0
	v_mov_b32_e32 v89, 0
	v_mov_b32_e32 v34, 0
	v_mov_b32_e32 v90, 0
	v_mov_b32_e32 v32, 0
	v_mov_b32_e32 v72, 0
	v_mov_b32_e32 v73, v88
	v_mov_b32_e32 v75, v86
	v_mov_b32_e32 v71, 0
	v_mov_b32_e32 v8, 0
	v_mov_b32_e32 v54, 0
	v_mov_b32_e32 v74, 0
	v_mov_b32_e32 v30, 0
	v_mov_b32_e32 v56, 0
	v_mov_b32_e32 v76, 0
                                        ; implicit-def: $sgpr26_sgpr27
                                        ; implicit-def: $vgpr35_vgpr36
	s_and_saveexec_b64 s[70:71], s[18:19]
	s_cbranch_execz .LBB72_82
; %bb.75:
	v_add_u32_e32 v5, 11, v99
	v_cmp_gt_u32_e64 s[20:21], s7, v5
	v_mov_b32_e32 v5, 0
	v_mov_b32_e32 v33, 0
	;; [unrolled: 1-line block ×5, first 2 shown]
	v_cmp_ne_u32_e64 s[18:19], v62, v97
	v_mov_b32_e32 v89, 0
	v_mov_b32_e32 v6, 0
	;; [unrolled: 1-line block ×8, first 2 shown]
                                        ; implicit-def: $sgpr26_sgpr27
                                        ; implicit-def: $vgpr35_vgpr36
	s_and_saveexec_b64 s[72:73], s[20:21]
	s_cbranch_execz .LBB72_81
; %bb.76:
	ds_read2_b64 v[29:32], v4 offset0:11 offset1:12
	v_add_u32_e32 v5, 12, v99
	v_cmp_gt_u32_e64 s[24:25], s7, v5
	v_mov_b32_e32 v5, 0
	v_mov_b32_e32 v7, 0
	;; [unrolled: 1-line block ×3, first 2 shown]
	v_cmp_ne_u32_e64 s[20:21], v97, v59
	s_mov_b64 s[76:77], 0
	v_mov_b32_e32 v6, 0
	v_mov_b32_e32 v8, 0
	;; [unrolled: 1-line block ×4, first 2 shown]
                                        ; implicit-def: $sgpr26_sgpr27
                                        ; implicit-def: $vgpr35_vgpr36
	s_and_saveexec_b64 s[74:75], s[24:25]
	s_cbranch_execz .LBB72_80
; %bb.77:
	v_add_u32_e32 v6, 13, v99
	v_mov_b32_e32 v7, 0
	v_cndmask_b32_e64 v5, 0, 1, s[14:15]
	v_cmp_gt_u32_e64 s[14:15], s7, v6
	s_mov_b64 s[24:25], 0
	v_mov_b32_e32 v8, 0
	v_mov_b32_e32 v71, 0
                                        ; implicit-def: $sgpr26_sgpr27
                                        ; implicit-def: $vgpr35_vgpr36
	s_and_saveexec_b64 s[76:77], s[14:15]
	s_xor_b64 s[76:77], exec, s[76:77]
	s_cbranch_execz .LBB72_79
; %bb.78:
	ds_read2_b64 v[33:36], v4 offset0:13 offset1:14
	v_cmp_ne_u32_e64 s[14:15], v60, v57
	v_add_u32_e32 v4, 14, v99
	v_cndmask_b32_e64 v71, 0, 1, s[14:15]
	v_cmp_gt_u32_e64 s[14:15], s7, v4
	s_waitcnt lgkmcnt(0)
	v_mov_b32_e32 v7, v33
	v_cmp_ne_u32_e64 s[26:27], v57, v58
	s_and_b64 s[24:25], s[14:15], exec
	v_mov_b32_e32 v8, v34
.LBB72_79:
	s_or_b64 exec, exec, s[76:77]
	v_or_b32_e32 v87, v5, v37
	s_waitcnt lgkmcnt(0)
	v_mov_b32_e32 v5, v31
	v_mov_b32_e32 v54, v32
	s_and_b64 s[76:77], s[24:25], exec
	v_mov_b32_e32 v6, v32
	v_mov_b32_e32 v53, v31
.LBB72_80:
	s_or_b64 exec, exec, s[74:75]
	s_waitcnt lgkmcnt(0)
	v_mov_b32_e32 v34, v30
	v_cndmask_b32_e64 v89, 0, 1, s[20:21]
	s_and_b64 s[24:25], s[76:77], exec
	v_mov_b32_e32 v33, v29
	v_mov_b32_e32 v72, v87
.LBB72_81:
	s_or_b64 exec, exec, s[72:73]
	v_cndmask_b32_e64 v90, 0, 1, s[18:19]
	s_waitcnt lgkmcnt(0)
	v_mov_b32_e32 v32, v28
	v_mov_b32_e32 v56, v28
	s_and_b64 s[20:21], s[24:25], exec
	v_mov_b32_e32 v31, v27
	v_mov_b32_e32 v73, v88
	;; [unrolled: 1-line block ×6, first 2 shown]
.LBB72_82:
	s_or_b64 exec, exec, s[70:71]
	s_waitcnt lgkmcnt(0)
	v_mov_b32_e32 v40, v26
	s_and_b64 s[24:25], s[20:21], exec
	v_mov_b32_e32 v39, v25
.LBB72_83:
	s_or_b64 exec, exec, s[68:69]
	v_cndmask_b32_e64 v91, 0, 1, s[16:17]
	s_waitcnt lgkmcnt(0)
	v_mov_b32_e32 v38, v24
	v_mov_b32_e32 v28, v24
	s_and_b64 s[20:21], s[24:25], exec
	v_mov_b32_e32 v37, v23
	v_mov_b32_e32 v77, v91
	;; [unrolled: 1-line block ×3, first 2 shown]
.LBB72_84:
	s_or_b64 exec, exec, s[66:67]
	v_cndmask_b32_e64 v92, 0, 1, s[12:13]
	s_waitcnt lgkmcnt(0)
	v_mov_b32_e32 v44, v22
	s_and_b64 s[16:17], s[20:21], exec
	v_mov_b32_e32 v43, v21
	v_mov_b32_e32 v78, v92
.LBB72_85:
	s_or_b64 exec, exec, s[64:65]
	s_waitcnt lgkmcnt(0)
	v_mov_b32_e32 v42, v20
	v_mov_b32_e32 v24, v20
	s_and_b64 s[16:17], s[16:17], exec
	v_mov_b32_e32 v93, v3
	v_mov_b32_e32 v41, v19
	;; [unrolled: 1-line block ×4, first 2 shown]
.LBB72_86:
	s_or_b64 exec, exec, s[62:63]
	v_cndmask_b32_e64 v94, 0, 1, s[10:11]
	s_waitcnt lgkmcnt(0)
	v_mov_b32_e32 v48, v18
	s_and_b64 s[12:13], s[16:17], exec
	v_mov_b32_e32 v47, v17
	v_mov_b32_e32 v80, v94
.LBB72_87:
	s_or_b64 exec, exec, s[60:61]
	v_cndmask_b32_e64 v95, 0, 1, s[8:9]
	s_waitcnt lgkmcnt(0)
	v_mov_b32_e32 v46, v16
	v_mov_b32_e32 v20, v16
	s_and_b64 s[10:11], s[12:13], exec
	v_mov_b32_e32 v45, v15
	v_mov_b32_e32 v81, v95
	;; [unrolled: 1-line block ×3, first 2 shown]
.LBB72_88:
	s_or_b64 exec, exec, s[58:59]
	s_waitcnt lgkmcnt(0)
	v_mov_b32_e32 v52, v14
	s_and_b64 s[10:11], s[10:11], exec
	v_mov_b32_e32 v51, v13
.LBB72_89:
	s_or_b64 exec, exec, s[42:43]
	v_cndmask_b32_e64 v96, 0, 1, s[22:23]
	s_waitcnt lgkmcnt(0)
	v_mov_b32_e32 v50, v12
	v_mov_b32_e32 v16, v12
	s_and_b64 s[10:11], s[10:11], exec
	v_mov_b32_e32 v49, v11
	v_mov_b32_e32 v84, v96
	;; [unrolled: 1-line block ×3, first 2 shown]
.LBB72_90:
	s_or_b64 exec, exec, s[36:37]
	v_cndmask_b32_e64 v98, 0, 1, s[2:3]
	s_waitcnt lgkmcnt(0)
	v_mov_b32_e32 v3, v9
	s_and_b64 s[8:9], s[10:11], exec
	v_mov_b32_e32 v4, v10
	v_mov_b32_e32 v85, v98
.LBB72_91:
	s_or_b64 exec, exec, s[34:35]
	v_cndmask_b32_e64 v100, 0, 1, vcc
	s_and_b64 s[8:9], s[8:9], exec
	v_mov_b32_e32 v83, v100
.LBB72_92:
	s_or_b64 exec, exec, s[30:31]
	s_and_b64 vcc, exec, s[28:29]
	v_cmp_ne_u32_e64 s[2:3], 0, v0
	s_cbranch_vccz .LBB72_96
.LBB72_93:
	s_waitcnt lgkmcnt(0)
	global_load_dword v1, v82, s[56:57]
	global_load_dword v2, v82, s[56:57] offset:256
	global_load_dword v3, v82, s[56:57] offset:512
	;; [unrolled: 1-line block ×14, first 2 shown]
	s_sub_u32 s8, 0, s6
	s_subb_u32 s9, 0, 0
	s_cmp_eq_u64 s[40:41], s[8:9]
	v_mad_u32_u24 v18, v0, 56, v82
	s_movk_i32 s7, 0xffc8
	s_cselect_b32 s8, 0, -4
	v_mad_i32_i24 v15, v0, s7, v18
	s_cselect_b32 s7, 0, -1
	s_add_u32 s8, s56, s8
	s_addc_u32 s9, s57, s7
	s_waitcnt vmcnt(13)
	ds_write2st64_b32 v82, v1, v2 offset1:1
	s_waitcnt vmcnt(11)
	ds_write2st64_b32 v82, v3, v4 offset0:2 offset1:3
	s_waitcnt vmcnt(9)
	ds_write2st64_b32 v82, v5, v6 offset0:4 offset1:5
	;; [unrolled: 2-line block ×6, first 2 shown]
	s_waitcnt vmcnt(0)
	ds_write_b32 v82, v16 offset:3584
	s_waitcnt lgkmcnt(0)
	; wave barrier
	ds_read2_b32 v[7:8], v18 offset0:4 offset1:7
	ds_read2_b32 v[13:14], v18 offset0:13 offset1:14
	s_load_dword s7, s[8:9], 0x0
	ds_read2_b32 v[1:2], v18 offset1:1
	ds_read2_b32 v[3:4], v18 offset0:2 offset1:3
	ds_read2_b32 v[5:6], v18 offset0:5 offset1:6
	ds_read2_b32 v[9:10], v18 offset0:8 offset1:9
	ds_read_b32 v17, v18 offset:40
	ds_read2_b32 v[11:12], v18 offset0:11 offset1:12
	s_waitcnt lgkmcnt(0)
	ds_write_b32 v15, v14 offset:3840
	v_mov_b32_e32 v16, s7
	s_waitcnt lgkmcnt(0)
	; wave barrier
	s_and_saveexec_b64 s[8:9], s[2:3]
; %bb.94:
	ds_read_b32 v16, v15 offset:3836
; %bb.95:
	s_or_b64 exec, exec, s[8:9]
	v_lshlrev_b32_e32 v34, 3, v0
	v_mov_b32_e32 v18, s39
	v_add_co_u32_e32 v35, vcc, s38, v34
	v_addc_co_u32_e32 v36, vcc, 0, v18, vcc
	s_movk_i32 s2, 0x1000
	s_waitcnt lgkmcnt(0)
	; wave barrier
	global_load_dwordx2 v[18:19], v34, s[38:39]
	global_load_dwordx2 v[20:21], v34, s[38:39] offset:512
	global_load_dwordx2 v[22:23], v34, s[38:39] offset:1024
	global_load_dwordx2 v[24:25], v34, s[38:39] offset:1536
	global_load_dwordx2 v[26:27], v34, s[38:39] offset:2048
	global_load_dwordx2 v[28:29], v34, s[38:39] offset:2560
	global_load_dwordx2 v[30:31], v34, s[38:39] offset:3072
	global_load_dwordx2 v[32:33], v34, s[38:39] offset:3584
	v_add_co_u32_e32 v34, vcc, s2, v35
	v_addc_co_u32_e32 v35, vcc, 0, v36, vcc
	global_load_dwordx2 v[36:37], v[34:35], off
	global_load_dwordx2 v[38:39], v[34:35], off offset:512
	global_load_dwordx2 v[40:41], v[34:35], off offset:1024
	;; [unrolled: 1-line block ×6, first 2 shown]
	v_cmp_ne_u32_e32 vcc, v12, v13
	v_cndmask_b32_e64 v71, 0, 1, vcc
	v_cmp_ne_u32_e32 vcc, v17, v11
	v_cndmask_b32_e64 v89, 0, 1, vcc
	;; [unrolled: 2-line block ×11, first 2 shown]
	v_cmp_ne_u32_e32 vcc, v2, v3
	v_lshlrev_b16_e32 v3, 8, v4
	v_cndmask_b32_e64 v96, 0, 1, vcc
	v_cmp_ne_u32_e32 vcc, v1, v2
	v_or_b32_e32 v93, v5, v3
	v_cndmask_b32_e64 v98, 0, 1, vcc
	v_cmp_ne_u32_e32 vcc, v16, v1
	v_lshl_add_u32 v1, v0, 2, v15
	s_movk_i32 s2, 0x70
	v_lshlrev_b16_e32 v2, 8, v7
	v_lshlrev_b32_e32 v3, 16, v93
	v_mad_u32_u24 v9, v0, s2, v1
	v_or_b32_e32 v87, v8, v2
	v_or_b32_e32 v2, v2, v3
	v_lshrrev_b32_e32 v86, 24, v3
	v_lshrrev_b32_e32 v88, 8, v2
	v_cmp_ne_u32_e64 s[26:27], v13, v14
	v_cndmask_b32_e64 v100, 0, 1, vcc
	s_mov_b64 s[8:9], -1
	v_mov_b32_e32 v72, v87
	v_mov_b32_e32 v73, v88
	;; [unrolled: 1-line block ×13, first 2 shown]
	s_waitcnt vmcnt(13)
	ds_write2st64_b64 v1, v[18:19], v[20:21] offset1:1
	s_waitcnt vmcnt(11)
	ds_write2st64_b64 v1, v[22:23], v[24:25] offset0:2 offset1:3
	s_waitcnt vmcnt(9)
	ds_write2st64_b64 v1, v[26:27], v[28:29] offset0:4 offset1:5
	;; [unrolled: 2-line block ×6, first 2 shown]
	s_waitcnt vmcnt(0)
	ds_write_b64 v1, v[48:49] offset:7168
	s_waitcnt lgkmcnt(0)
	; wave barrier
	ds_read2_b64 v[1:4], v9 offset1:1
	ds_read2_b64 v[49:52], v9 offset0:2 offset1:3
	ds_read2_b64 v[45:48], v9 offset0:4 offset1:5
	;; [unrolled: 1-line block ×6, first 2 shown]
	ds_read_b64 v[35:36], v9 offset:112
	s_waitcnt lgkmcnt(4)
	v_mov_b32_e32 v21, v43
	s_waitcnt lgkmcnt(3)
	v_mov_b32_e32 v25, v39
	;; [unrolled: 2-line block ×4, first 2 shown]
	v_mov_b32_e32 v56, v32
	v_mov_b32_e32 v27, v37
	;; [unrolled: 1-line block ×20, first 2 shown]
.LBB72_96:
	v_mov_b32_e32 v11, 0
	v_mov_b32_e32 v12, 0
	v_mov_b32_e32 v65, 0
	s_and_saveexec_b64 s[2:3], s[8:9]
	s_cbranch_execz .LBB72_98
; %bb.97:
	v_mov_b32_e32 v10, v4
	v_mov_b32_e32 v15, v49
	;; [unrolled: 1-line block ×12, first 2 shown]
	s_waitcnt lgkmcnt(0)
	v_mov_b32_e32 v11, v35
	v_cndmask_b32_e64 v65, 0, 1, s[26:27]
	v_mov_b32_e32 v83, v100
	v_mov_b32_e32 v9, v3
	;; [unrolled: 1-line block ×26, first 2 shown]
.LBB72_98:
	s_or_b64 exec, exec, s[2:3]
	s_cmp_lg_u32 s6, 0
	v_or_b32_e32 v67, v74, v76
	v_cmp_eq_u16_e64 s[2:3], 0, v65
	v_mbcnt_lo_u32_b32 v66, -1, 0
	s_waitcnt lgkmcnt(0)
	; wave barrier
	s_cbranch_scc0 .LBB72_152
; %bb.99:
	v_mov_b32_e32 v5, 0
	v_cmp_lt_u64_e32 vcc, v[1:2], v[9:10]
	v_and_b32_e32 v3, 1, v83
	v_cmp_eq_u16_sdwa s[38:39], v85, v5 src0_sel:BYTE_0 src1_sel:DWORD
	v_cmp_eq_u32_e64 s[22:23], 1, v3
	v_cndmask_b32_e32 v3, v10, v2, vcc
	s_and_b64 vcc, s[38:39], vcc
	v_cndmask_b32_e64 v4, v10, v3, s[38:39]
	v_cndmask_b32_e32 v3, v9, v1, vcc
	v_cmp_lt_u64_e32 vcc, v[3:4], v[15:16]
	v_cmp_eq_u16_sdwa s[8:9], v84, v5 src0_sel:BYTE_0 src1_sel:DWORD
	v_cndmask_b32_e32 v4, v16, v4, vcc
	s_and_b64 vcc, s[8:9], vcc
	v_cndmask_b32_e64 v4, v16, v4, s[8:9]
	v_cndmask_b32_e32 v3, v15, v3, vcc
	v_cmp_lt_u64_e32 vcc, v[3:4], v[13:14]
	v_or_b32_e32 v6, v84, v85
	v_cmp_ne_u16_sdwa s[12:13], v6, v5 src0_sel:BYTE_0 src1_sel:DWORD
	v_cndmask_b32_e32 v3, v13, v3, vcc
	v_cndmask_b32_e32 v4, v14, v4, vcc
	v_cmp_eq_u16_sdwa s[10:11], v75, v5 src0_sel:BYTE_0 src1_sel:DWORD
	v_and_b32_e32 v6, 1, v75
	v_cndmask_b32_e64 v4, v14, v4, s[10:11]
	v_cndmask_b32_e64 v3, v13, v3, s[10:11]
	v_cmp_eq_u32_e32 vcc, 1, v6
	s_or_b64 s[40:41], s[12:13], vcc
	v_cmp_lt_u64_e32 vcc, v[3:4], v[19:20]
	v_cmp_eq_u16_sdwa s[12:13], v81, v5 src0_sel:BYTE_0 src1_sel:DWORD
	v_cndmask_b32_e32 v4, v20, v4, vcc
	s_and_b64 vcc, s[12:13], vcc
	v_cndmask_b32_e64 v4, v20, v4, s[12:13]
	v_cndmask_b32_e32 v3, v19, v3, vcc
	v_cmp_lt_u64_e32 vcc, v[3:4], v[17:18]
	v_cmp_eq_u16_sdwa s[14:15], v80, v5 src0_sel:BYTE_0 src1_sel:DWORD
	v_cndmask_b32_e32 v3, v17, v3, vcc
	v_cndmask_b32_e32 v4, v18, v4, vcc
	v_cndmask_b32_e64 v4, v18, v4, s[14:15]
	v_cndmask_b32_e64 v3, v17, v3, s[14:15]
	v_cmp_lt_u64_e32 vcc, v[3:4], v[23:24]
	v_or_b32_e32 v6, v80, v81
	v_cmp_eq_u16_sdwa s[16:17], v79, v5 src0_sel:BYTE_0 src1_sel:DWORD
	v_cmp_ne_u16_sdwa s[18:19], v6, v5 src0_sel:BYTE_0 src1_sel:DWORD
	v_cndmask_b32_e32 v4, v24, v4, vcc
	s_and_b64 vcc, s[16:17], vcc
	v_and_b32_e32 v6, 1, v79
	v_cndmask_b32_e64 v4, v24, v4, s[16:17]
	v_cndmask_b32_e32 v3, v23, v3, vcc
	v_cmp_eq_u32_e32 vcc, 1, v6
	s_or_b64 s[42:43], s[18:19], vcc
	v_cmp_lt_u64_e32 vcc, v[3:4], v[21:22]
	v_cmp_eq_u16_sdwa s[18:19], v78, v5 src0_sel:BYTE_0 src1_sel:DWORD
	v_cndmask_b32_e32 v3, v21, v3, vcc
	v_cndmask_b32_e32 v4, v22, v4, vcc
	v_cndmask_b32_e64 v4, v22, v4, s[18:19]
	v_cndmask_b32_e64 v3, v21, v3, s[18:19]
	v_cmp_lt_u64_e32 vcc, v[3:4], v[27:28]
	v_cmp_eq_u16_sdwa s[20:21], v77, v5 src0_sel:BYTE_0 src1_sel:DWORD
	v_cndmask_b32_e32 v4, v28, v4, vcc
	s_and_b64 vcc, s[20:21], vcc
	v_cndmask_b32_e64 v4, v28, v4, s[20:21]
	v_cndmask_b32_e32 v3, v27, v3, vcc
	v_cmp_lt_u64_e32 vcc, v[3:4], v[25:26]
	v_or_b32_e32 v6, v77, v78
	v_cmp_ne_u16_sdwa s[26:27], v6, v5 src0_sel:BYTE_0 src1_sel:DWORD
	v_cndmask_b32_e32 v3, v25, v3, vcc
	v_cndmask_b32_e32 v4, v26, v4, vcc
	v_cmp_eq_u16_sdwa s[24:25], v73, v5 src0_sel:BYTE_0 src1_sel:DWORD
	v_and_b32_e32 v6, 1, v73
	v_cndmask_b32_e64 v4, v26, v4, s[24:25]
	v_cndmask_b32_e64 v3, v25, v3, s[24:25]
	v_cmp_eq_u32_e32 vcc, 1, v6
	s_or_b64 s[56:57], s[26:27], vcc
	v_cmp_lt_u64_e32 vcc, v[3:4], v[55:56]
	v_cmp_eq_u16_sdwa s[26:27], v76, v5 src0_sel:BYTE_0 src1_sel:DWORD
	v_cndmask_b32_e32 v4, v56, v4, vcc
	s_and_b64 vcc, s[26:27], vcc
	v_cndmask_b32_e64 v4, v56, v4, s[26:27]
	v_cndmask_b32_e32 v3, v55, v3, vcc
	v_cmp_lt_u64_e32 vcc, v[3:4], v[29:30]
	v_cmp_eq_u16_sdwa s[28:29], v74, v5 src0_sel:BYTE_0 src1_sel:DWORD
	v_cndmask_b32_e32 v3, v29, v3, vcc
	v_cndmask_b32_e32 v4, v30, v4, vcc
	v_cndmask_b32_e64 v4, v30, v4, s[28:29]
	v_cndmask_b32_e64 v3, v29, v3, s[28:29]
	v_cmp_lt_u64_e32 vcc, v[3:4], v[53:54]
	v_cmp_eq_u16_sdwa s[30:31], v72, v5 src0_sel:BYTE_0 src1_sel:DWORD
	v_cndmask_b32_e32 v4, v54, v4, vcc
	s_and_b64 vcc, s[30:31], vcc
	v_cndmask_b32_e64 v4, v54, v4, s[30:31]
	v_cndmask_b32_e32 v3, v53, v3, vcc
	v_cmp_lt_u64_e64 s[34:35], v[3:4], v[7:8]
	v_and_b32_e32 v6, 1, v72
	v_cndmask_b32_e64 v3, v7, v3, s[34:35]
	v_cndmask_b32_e64 v4, v8, v4, s[34:35]
	v_cmp_eq_u16_sdwa s[34:35], v71, v5 src0_sel:BYTE_0 src1_sel:DWORD
	v_cndmask_b32_e64 v4, v8, v4, s[34:35]
	v_cndmask_b32_e64 v3, v7, v3, s[34:35]
	v_cmp_lt_u64_e64 s[36:37], v[3:4], v[11:12]
	v_cmp_ne_u16_sdwa s[58:59], v67, v5 src0_sel:BYTE_0 src1_sel:DWORD
	v_cmp_eq_u32_e32 vcc, 1, v6
	v_or_b32_e32 v6, v65, v71
	s_or_b64 s[58:59], s[58:59], vcc
	s_and_b64 vcc, s[2:3], s[36:37]
	v_cmp_ne_u16_sdwa s[36:37], v6, v5 src0_sel:BYTE_0 src1_sel:DWORD
	s_or_b64 s[36:37], s[36:37], s[58:59]
	s_or_b64 s[36:37], s[36:37], s[56:57]
	;; [unrolled: 1-line block ×4, first 2 shown]
	v_cndmask_b32_e32 v4, v12, v4, vcc
	v_cndmask_b32_e32 v3, v11, v3, vcc
	s_or_b64 vcc, s[36:37], s[22:23]
	v_mbcnt_hi_u32_b32 v39, -1, v66
	v_and_b32_e32 v32, 15, v39
	v_cndmask_b32_e64 v6, 0, 1, vcc
	v_cndmask_b32_e64 v31, 0, 1, vcc
	v_mov_b32_dpp v5, v3 row_shr:1 row_mask:0xf bank_mask:0xf
	v_mov_b32_dpp v33, v4 row_shr:1 row_mask:0xf bank_mask:0xf
	;; [unrolled: 1-line block ×3, first 2 shown]
	v_cmp_ne_u32_e64 s[36:37], 0, v32
	s_and_saveexec_b64 s[40:41], s[36:37]
	s_cbranch_execz .LBB72_101
; %bb.100:
	v_and_b32_e32 v6, 1, v34
	v_or_b32_e32 v31, v6, v31
	v_mov_b32_e32 v6, v33
	v_cmp_lt_u64_e64 s[36:37], v[5:6], v[3:4]
	v_cndmask_b32_e64 v6, v4, v33, s[36:37]
	v_cndmask_b32_e64 v5, v3, v5, s[36:37]
	v_cndmask_b32_e32 v4, v6, v4, vcc
	v_cndmask_b32_e32 v3, v5, v3, vcc
	v_and_b32_e32 v6, 0xffff, v31
.LBB72_101:
	s_or_b64 exec, exec, s[40:41]
	v_mov_b32_dpp v5, v3 row_shr:2 row_mask:0xf bank_mask:0xf
	v_mov_b32_dpp v33, v4 row_shr:2 row_mask:0xf bank_mask:0xf
	v_mov_b32_dpp v34, v6 row_shr:2 row_mask:0xf bank_mask:0xf
	v_cmp_lt_u32_e32 vcc, 1, v32
	s_and_saveexec_b64 s[40:41], vcc
	s_cbranch_execz .LBB72_103
; %bb.102:
	v_and_b32_e32 v6, 1, v31
	v_cmp_eq_u32_e32 vcc, 1, v6
	v_and_b32_e32 v6, 1, v34
	v_cmp_eq_u32_e64 s[36:37], 1, v6
	v_mov_b32_e32 v6, v33
	s_or_b64 s[42:43], vcc, s[36:37]
	v_cmp_lt_u64_e32 vcc, v[5:6], v[3:4]
	v_cmp_eq_u16_e64 s[36:37], 0, v31
	v_cndmask_b32_e64 v34, 0, 1, s[42:43]
	s_and_b64 vcc, s[36:37], vcc
	v_cndmask_b32_e32 v4, v4, v33, vcc
	v_cndmask_b32_e32 v3, v3, v5, vcc
	v_cndmask_b32_e64 v6, 0, 1, s[42:43]
	v_mov_b32_e32 v31, v34
.LBB72_103:
	s_or_b64 exec, exec, s[40:41]
	v_mov_b32_dpp v5, v3 row_shr:4 row_mask:0xf bank_mask:0xf
	v_mov_b32_dpp v33, v4 row_shr:4 row_mask:0xf bank_mask:0xf
	v_mov_b32_dpp v34, v6 row_shr:4 row_mask:0xf bank_mask:0xf
	v_cmp_lt_u32_e32 vcc, 3, v32
	s_and_saveexec_b64 s[40:41], vcc
	s_cbranch_execz .LBB72_105
; %bb.104:
	v_and_b32_e32 v6, 1, v31
	v_cmp_eq_u32_e32 vcc, 1, v6
	v_and_b32_e32 v6, 1, v34
	v_cmp_eq_u32_e64 s[36:37], 1, v6
	v_mov_b32_e32 v6, v33
	s_or_b64 s[42:43], vcc, s[36:37]
	v_cmp_lt_u64_e32 vcc, v[5:6], v[3:4]
	v_cmp_eq_u16_e64 s[36:37], 0, v31
	v_cndmask_b32_e64 v34, 0, 1, s[42:43]
	s_and_b64 vcc, s[36:37], vcc
	v_cndmask_b32_e32 v4, v4, v33, vcc
	v_cndmask_b32_e32 v3, v3, v5, vcc
	v_cndmask_b32_e64 v6, 0, 1, s[42:43]
	v_mov_b32_e32 v31, v34
.LBB72_105:
	;; [unrolled: 23-line block ×3, first 2 shown]
	s_or_b64 exec, exec, s[40:41]
	v_and_b32_e32 v34, 16, v39
	v_mov_b32_dpp v5, v3 row_bcast:15 row_mask:0xf bank_mask:0xf
	v_mov_b32_dpp v32, v4 row_bcast:15 row_mask:0xf bank_mask:0xf
	;; [unrolled: 1-line block ×3, first 2 shown]
	v_cmp_ne_u32_e32 vcc, 0, v34
	s_and_saveexec_b64 s[40:41], vcc
	s_cbranch_execz .LBB72_109
; %bb.108:
	v_and_b32_e32 v6, 1, v31
	v_cmp_eq_u32_e32 vcc, 1, v6
	v_and_b32_e32 v6, 1, v33
	v_cmp_eq_u32_e64 s[36:37], 1, v6
	v_mov_b32_e32 v6, v32
	s_or_b64 s[42:43], vcc, s[36:37]
	v_cmp_lt_u64_e32 vcc, v[5:6], v[3:4]
	v_cmp_eq_u16_e64 s[36:37], 0, v31
	v_cndmask_b32_e64 v33, 0, 1, s[42:43]
	s_and_b64 vcc, s[36:37], vcc
	v_cndmask_b32_e32 v4, v4, v32, vcc
	v_cndmask_b32_e32 v3, v3, v5, vcc
	v_cndmask_b32_e64 v6, 0, 1, s[42:43]
	v_mov_b32_e32 v31, v33
.LBB72_109:
	s_or_b64 exec, exec, s[40:41]
	v_mov_b32_dpp v5, v3 row_bcast:31 row_mask:0xf bank_mask:0xf
	v_mov_b32_dpp v32, v4 row_bcast:31 row_mask:0xf bank_mask:0xf
	v_mov_b32_dpp v6, v6 row_bcast:31 row_mask:0xf bank_mask:0xf
	v_cmp_lt_u32_e32 vcc, 31, v39
	s_and_saveexec_b64 s[40:41], vcc
	s_cbranch_execz .LBB72_111
; %bb.110:
	v_and_b32_e32 v33, 1, v31
	v_and_b32_e32 v6, 1, v6
	v_cmp_eq_u32_e32 vcc, 1, v33
	v_cmp_eq_u32_e64 s[36:37], 1, v6
	v_mov_b32_e32 v6, v32
	s_or_b64 s[36:37], vcc, s[36:37]
	v_cmp_lt_u64_e32 vcc, v[5:6], v[3:4]
	v_cndmask_b32_e64 v33, 0, 1, s[36:37]
	v_cmp_eq_u16_e64 s[36:37], 0, v31
	s_and_b64 vcc, s[36:37], vcc
	v_cndmask_b32_e32 v4, v4, v32, vcc
	v_cndmask_b32_e32 v3, v3, v5, vcc
	v_mov_b32_e32 v31, v33
.LBB72_111:
	s_or_b64 exec, exec, s[40:41]
	v_cmp_eq_u32_e32 vcc, 63, v0
	s_and_saveexec_b64 s[36:37], vcc
	s_cbranch_execz .LBB72_113
; %bb.112:
	v_mov_b32_e32 v5, 0
	ds_write_b64 v5, v[3:4]
	ds_write_b8 v5, v31 offset:8
.LBB72_113:
	s_or_b64 exec, exec, s[36:37]
	v_add_u32_e32 v5, -1, v39
	v_and_b32_e32 v6, 64, v39
	v_cmp_lt_i32_e32 vcc, v5, v6
	v_cndmask_b32_e32 v5, v5, v39, vcc
	v_lshlrev_b32_e32 v5, 2, v5
	ds_bpermute_b32 v6, v5, v4
	v_and_b32_e32 v4, 0xffff, v31
	ds_bpermute_b32 v3, v5, v3
	ds_bpermute_b32 v41, v5, v4
	v_cmp_gt_u32_e32 vcc, 64, v0
	s_waitcnt lgkmcnt(0)
	; wave barrier
	s_and_saveexec_b64 s[42:43], vcc
	s_cbranch_execz .LBB72_157
; %bb.114:
	v_mov_b32_e32 v33, 0
	ds_read_b64 v[4:5], v33
	ds_read_u8 v42, v33 offset:8
	s_mov_b32 s57, 0
	v_cmp_eq_u32_e64 s[36:37], 0, v39
	s_and_saveexec_b64 s[40:41], s[36:37]
	s_cbranch_execz .LBB72_116
; %bb.115:
	s_add_i32 s56, s6, 64
	s_lshl_b64 s[58:59], s[56:57], 4
	s_add_u32 s58, s44, s58
	s_addc_u32 s59, s45, s59
	v_mov_b32_e32 v31, 1
	v_mov_b32_e32 v32, s56
	s_waitcnt lgkmcnt(1)
	global_store_dwordx2 v33, v[4:5], s[58:59]
	s_waitcnt lgkmcnt(0)
	global_store_byte v33, v42, s[58:59] offset:8
	s_waitcnt vmcnt(0)
	buffer_wbinvl1_vol
	global_store_byte v32, v31, s[48:49]
.LBB72_116:
	s_or_b64 exec, exec, s[40:41]
	v_xad_u32 v31, v39, -1, s6
	v_add_u32_e32 v32, 64, v31
	global_load_ubyte v43, v32, s[48:49] glc
	s_waitcnt vmcnt(0)
	v_cmp_eq_u16_e32 vcc, 0, v43
	s_and_saveexec_b64 s[40:41], vcc
	s_cbranch_execz .LBB72_120
; %bb.117:
	v_mov_b32_e32 v35, s49
	v_add_co_u32_e32 v34, vcc, s48, v32
	v_addc_co_u32_e32 v35, vcc, 0, v35, vcc
	s_mov_b64 s[56:57], 0
.LBB72_118:                             ; =>This Inner Loop Header: Depth=1
	global_load_ubyte v43, v[34:35], off glc
	s_waitcnt vmcnt(0)
	v_cmp_ne_u16_e32 vcc, 0, v43
	s_or_b64 s[56:57], vcc, s[56:57]
	s_andn2_b64 exec, exec, s[56:57]
	s_cbranch_execnz .LBB72_118
; %bb.119:
	s_or_b64 exec, exec, s[56:57]
.LBB72_120:
	s_or_b64 exec, exec, s[40:41]
	v_mov_b32_e32 v34, s47
	v_mov_b32_e32 v35, s45
	v_cmp_eq_u16_e32 vcc, 1, v43
	v_cndmask_b32_e32 v34, v34, v35, vcc
	v_mov_b32_e32 v35, s46
	v_mov_b32_e32 v36, s44
	v_lshlrev_b64 v[32:33], 4, v[32:33]
	v_cndmask_b32_e32 v35, v35, v36, vcc
	v_add_co_u32_e32 v32, vcc, v35, v32
	v_addc_co_u32_e32 v33, vcc, v34, v33, vcc
	s_waitcnt lgkmcnt(0)
	buffer_wbinvl1_vol
	global_load_dwordx2 v[37:38], v[32:33], off
	global_load_ubyte v40, v[32:33], off offset:8
	v_and_b32_e32 v52, 63, v39
	v_lshlrev_b64 v[33:34], v39, -1
	v_cmp_ne_u32_e64 s[40:41], 63, v52
	v_cmp_eq_u16_e32 vcc, 2, v43
	v_addc_co_u32_e64 v32, s[40:41], 0, v39, s[40:41]
	v_and_b32_e32 v35, vcc_hi, v34
	v_lshlrev_b32_e32 v44, 2, v32
	v_or_b32_e32 v32, 0x80000000, v35
	v_and_b32_e32 v45, vcc_lo, v33
	v_ffbl_b32_e32 v32, v32
	v_add_u32_e32 v32, 32, v32
	v_ffbl_b32_e32 v45, v45
	v_min_u32_e32 v32, v45, v32
	v_add_u32_e32 v45, 1, v39
	v_cmp_le_u32_e32 vcc, v45, v32
	s_waitcnt vmcnt(1)
	ds_bpermute_b32 v35, v44, v37
	s_waitcnt vmcnt(0)
	v_and_b32_e32 v36, 1, v40
	ds_bpermute_b32 v47, v44, v38
	ds_bpermute_b32 v46, v44, v36
	s_and_saveexec_b64 s[40:41], vcc
	s_cbranch_execz .LBB72_122
; %bb.121:
	s_waitcnt lgkmcnt(1)
	v_mov_b32_e32 v36, v47
	v_mov_b32_e32 v48, 0
	v_cmp_lt_u64_e32 vcc, v[35:36], v[37:38]
	v_cmp_eq_u16_sdwa s[56:57], v40, v48 src0_sel:BYTE_0 src1_sel:DWORD
	s_and_b64 vcc, s[56:57], vcc
	v_cndmask_b32_e32 v37, v37, v35, vcc
	s_waitcnt lgkmcnt(0)
	v_and_b32_e32 v35, 1, v46
	v_or_b32_e32 v40, v35, v40
	v_cndmask_b32_e32 v38, v38, v47, vcc
	v_and_b32_e32 v36, 0xff, v40
.LBB72_122:
	s_or_b64 exec, exec, s[40:41]
	v_cmp_gt_u32_e32 vcc, 62, v52
	s_waitcnt lgkmcnt(2)
	v_cndmask_b32_e64 v35, 0, 2, vcc
	s_waitcnt lgkmcnt(0)
	v_add_lshl_u32 v46, v35, v39, 2
	ds_bpermute_b32 v35, v46, v37
	ds_bpermute_b32 v49, v46, v38
	ds_bpermute_b32 v48, v46, v36
	v_add_u32_e32 v47, 2, v39
	v_cmp_le_u32_e32 vcc, v47, v32
	s_and_saveexec_b64 s[56:57], vcc
	s_cbranch_execz .LBB72_124
; %bb.123:
	s_waitcnt lgkmcnt(1)
	v_mov_b32_e32 v36, v49
	v_mov_b32_e32 v50, 0
	v_cmp_lt_u64_e32 vcc, v[35:36], v[37:38]
	v_cmp_eq_u16_sdwa s[40:41], v40, v50 src0_sel:BYTE_0 src1_sel:DWORD
	s_and_b64 vcc, s[40:41], vcc
	v_cndmask_b32_e32 v37, v37, v35, vcc
	v_and_b32_e32 v35, 1, v40
	v_cndmask_b32_e32 v38, v38, v49, vcc
	v_cmp_eq_u32_e32 vcc, 1, v35
	s_waitcnt lgkmcnt(0)
	v_and_b32_e32 v35, 1, v48
	v_cmp_eq_u32_e64 s[40:41], 1, v35
	s_or_b64 s[40:41], vcc, s[40:41]
	v_cndmask_b32_e64 v40, 0, 1, s[40:41]
	v_cndmask_b32_e64 v36, 0, 1, s[40:41]
.LBB72_124:
	s_or_b64 exec, exec, s[56:57]
	v_cmp_gt_u32_e32 vcc, 60, v52
	s_waitcnt lgkmcnt(2)
	v_cndmask_b32_e64 v35, 0, 4, vcc
	s_waitcnt lgkmcnt(0)
	v_add_lshl_u32 v48, v35, v39, 2
	ds_bpermute_b32 v35, v48, v37
	ds_bpermute_b32 v51, v48, v38
	ds_bpermute_b32 v50, v48, v36
	v_add_u32_e32 v49, 4, v39
	v_cmp_le_u32_e32 vcc, v49, v32
	s_and_saveexec_b64 s[56:57], vcc
	s_cbranch_execz .LBB72_126
; %bb.125:
	s_waitcnt lgkmcnt(1)
	v_mov_b32_e32 v36, v51
	v_mov_b32_e32 v57, 0
	v_cmp_lt_u64_e32 vcc, v[35:36], v[37:38]
	v_cmp_eq_u16_sdwa s[40:41], v40, v57 src0_sel:BYTE_0 src1_sel:DWORD
	s_and_b64 vcc, s[40:41], vcc
	v_cndmask_b32_e32 v37, v37, v35, vcc
	v_and_b32_e32 v35, 1, v40
	v_cndmask_b32_e32 v38, v38, v51, vcc
	v_cmp_eq_u32_e32 vcc, 1, v35
	s_waitcnt lgkmcnt(0)
	v_and_b32_e32 v35, 1, v50
	v_cmp_eq_u32_e64 s[40:41], 1, v35
	s_or_b64 s[40:41], vcc, s[40:41]
	v_cndmask_b32_e64 v40, 0, 1, s[40:41]
	v_cndmask_b32_e64 v36, 0, 1, s[40:41]
.LBB72_126:
	;; [unrolled: 31-line block ×3, first 2 shown]
	s_or_b64 exec, exec, s[56:57]
	v_cmp_gt_u32_e32 vcc, 48, v52
	s_waitcnt lgkmcnt(2)
	v_cndmask_b32_e64 v35, 0, 16, vcc
	v_add_lshl_u32 v52, v35, v39, 2
	ds_bpermute_b32 v35, v52, v37
	ds_bpermute_b32 v59, v52, v38
	s_waitcnt lgkmcnt(3)
	ds_bpermute_b32 v58, v52, v36
	s_waitcnt lgkmcnt(3)
	v_add_u32_e32 v57, 16, v39
	v_cmp_le_u32_e32 vcc, v57, v32
	s_and_saveexec_b64 s[56:57], vcc
	s_cbranch_execz .LBB72_130
; %bb.129:
	s_waitcnt lgkmcnt(1)
	v_mov_b32_e32 v36, v59
	v_mov_b32_e32 v60, 0
	v_cmp_lt_u64_e32 vcc, v[35:36], v[37:38]
	v_cmp_eq_u16_sdwa s[40:41], v40, v60 src0_sel:BYTE_0 src1_sel:DWORD
	s_and_b64 vcc, s[40:41], vcc
	v_cndmask_b32_e32 v37, v37, v35, vcc
	v_and_b32_e32 v35, 1, v40
	v_cndmask_b32_e32 v38, v38, v59, vcc
	v_cmp_eq_u32_e32 vcc, 1, v35
	s_waitcnt lgkmcnt(0)
	v_and_b32_e32 v35, 1, v58
	v_cmp_eq_u32_e64 s[40:41], 1, v35
	s_or_b64 s[40:41], vcc, s[40:41]
	v_cndmask_b32_e64 v40, 0, 1, s[40:41]
	v_cndmask_b32_e64 v36, 0, 1, s[40:41]
.LBB72_130:
	s_or_b64 exec, exec, s[56:57]
	s_waitcnt lgkmcnt(2)
	v_mov_b32_e32 v35, 0x80
	s_waitcnt lgkmcnt(0)
	v_lshl_or_b32 v58, v39, 2, v35
	ds_bpermute_b32 v35, v58, v37
	ds_bpermute_b32 v61, v58, v38
	;; [unrolled: 1-line block ×3, first 2 shown]
	v_add_u32_e32 v60, 32, v39
	v_cmp_le_u32_e32 vcc, v60, v32
	s_and_saveexec_b64 s[56:57], vcc
	s_cbranch_execz .LBB72_132
; %bb.131:
	s_waitcnt lgkmcnt(1)
	v_mov_b32_e32 v36, v61
	v_mov_b32_e32 v32, 0
	v_cmp_lt_u64_e32 vcc, v[35:36], v[37:38]
	v_cmp_eq_u16_sdwa s[40:41], v40, v32 src0_sel:BYTE_0 src1_sel:DWORD
	v_cndmask_b32_e32 v36, v38, v61, vcc
	s_and_b64 vcc, s[40:41], vcc
	v_and_b32_e32 v32, 1, v40
	v_cndmask_b32_e32 v37, v37, v35, vcc
	v_cmp_eq_u32_e32 vcc, 1, v32
	s_waitcnt lgkmcnt(0)
	v_and_b32_e32 v32, 1, v59
	v_cndmask_b32_e64 v38, v38, v36, s[40:41]
	v_cmp_eq_u32_e64 s[40:41], 1, v32
	s_or_b64 s[40:41], vcc, s[40:41]
	v_cndmask_b32_e64 v40, 0, 1, s[40:41]
.LBB72_132:
	s_or_b64 exec, exec, s[56:57]
	v_mov_b32_e32 v32, 0
	s_waitcnt lgkmcnt(1)
	v_mov_b32_e32 v61, 2
	s_branch .LBB72_135
.LBB72_133:                             ;   in Loop: Header=BB72_135 Depth=1
	s_or_b64 exec, exec, s[58:59]
	v_cmp_lt_u64_e32 vcc, v[37:38], v[35:36]
	v_cmp_eq_u16_sdwa s[40:41], v59, v32 src0_sel:BYTE_0 src1_sel:DWORD
	v_cndmask_b32_e32 v38, v36, v38, vcc
	s_and_b64 vcc, s[40:41], vcc
	s_waitcnt lgkmcnt(2)
	v_and_b32_e32 v39, 1, v59
	v_cndmask_b32_e32 v37, v35, v37, vcc
	v_cmp_eq_u32_e32 vcc, 1, v39
	v_cndmask_b32_e64 v38, v36, v38, s[40:41]
	s_or_b64 s[40:41], vcc, s[56:57]
	v_subrev_u32_e32 v31, 64, v31
	v_cndmask_b32_e64 v40, 0, 1, s[40:41]
	s_mov_b64 s[40:41], 0
.LBB72_134:                             ;   in Loop: Header=BB72_135 Depth=1
	s_and_b64 vcc, exec, s[40:41]
	s_cbranch_vccnz .LBB72_153
.LBB72_135:                             ; =>This Loop Header: Depth=1
                                        ;     Child Loop BB72_138 Depth 2
	v_mov_b32_e32 v35, v37
	v_cmp_ne_u16_sdwa s[40:41], v43, v61 src0_sel:BYTE_0 src1_sel:DWORD
	s_waitcnt lgkmcnt(0)
	v_mov_b32_e32 v59, v40
	v_mov_b32_e32 v36, v38
	s_cmp_lg_u64 s[40:41], exec
	s_mov_b64 s[40:41], -1
                                        ; implicit-def: $vgpr40
                                        ; implicit-def: $vgpr37_vgpr38
                                        ; implicit-def: $vgpr43
	s_cbranch_scc1 .LBB72_134
; %bb.136:                              ;   in Loop: Header=BB72_135 Depth=1
	global_load_ubyte v43, v31, s[48:49] glc
	s_waitcnt vmcnt(0)
	v_cmp_eq_u16_e32 vcc, 0, v43
	s_and_saveexec_b64 s[40:41], vcc
	s_cbranch_execz .LBB72_140
; %bb.137:                              ;   in Loop: Header=BB72_135 Depth=1
	v_mov_b32_e32 v38, s49
	v_add_co_u32_e32 v37, vcc, s48, v31
	v_addc_co_u32_e32 v38, vcc, 0, v38, vcc
	s_mov_b64 s[56:57], 0
.LBB72_138:                             ;   Parent Loop BB72_135 Depth=1
                                        ; =>  This Inner Loop Header: Depth=2
	global_load_ubyte v43, v[37:38], off glc
	s_waitcnt vmcnt(0)
	v_cmp_ne_u16_e32 vcc, 0, v43
	s_or_b64 s[56:57], vcc, s[56:57]
	s_andn2_b64 exec, exec, s[56:57]
	s_cbranch_execnz .LBB72_138
; %bb.139:                              ;   in Loop: Header=BB72_135 Depth=1
	s_or_b64 exec, exec, s[56:57]
.LBB72_140:                             ;   in Loop: Header=BB72_135 Depth=1
	s_or_b64 exec, exec, s[40:41]
	v_mov_b32_e32 v37, s47
	v_mov_b32_e32 v38, s45
	v_cmp_eq_u16_e32 vcc, 1, v43
	v_cndmask_b32_e32 v40, v37, v38, vcc
	v_mov_b32_e32 v37, s46
	v_mov_b32_e32 v38, s44
	v_cndmask_b32_e32 v39, v37, v38, vcc
	v_lshlrev_b64 v[37:38], 4, v[31:32]
	buffer_wbinvl1_vol
	v_add_co_u32_e32 v39, vcc, v39, v37
	v_addc_co_u32_e32 v40, vcc, v40, v38, vcc
	global_load_dwordx2 v[37:38], v[39:40], off
	global_load_ubyte v62, v[39:40], off offset:8
	v_cmp_eq_u16_e32 vcc, 2, v43
	v_and_b32_e32 v39, vcc_hi, v34
	v_or_b32_e32 v39, 0x80000000, v39
	v_ffbl_b32_e32 v39, v39
	v_add_u32_e32 v69, 32, v39
	v_and_b32_e32 v63, vcc_lo, v33
	v_ffbl_b32_e32 v63, v63
	v_min_u32_e32 v63, v63, v69
	v_cmp_le_u32_e32 vcc, v45, v63
	s_waitcnt vmcnt(1)
	ds_bpermute_b32 v39, v44, v37
	s_waitcnt vmcnt(0)
	v_and_b32_e32 v40, 1, v62
	ds_bpermute_b32 v68, v44, v38
	ds_bpermute_b32 v64, v44, v40
	v_cmp_eq_u32_e64 s[56:57], 1, v40
	s_and_saveexec_b64 s[40:41], vcc
	s_cbranch_execz .LBB72_142
; %bb.141:                              ;   in Loop: Header=BB72_135 Depth=1
	s_waitcnt lgkmcnt(1)
	v_mov_b32_e32 v40, v68
	v_cmp_lt_u64_e32 vcc, v[39:40], v[37:38]
	v_cmp_eq_u16_sdwa s[58:59], v62, v32 src0_sel:BYTE_0 src1_sel:DWORD
	s_and_b64 vcc, s[58:59], vcc
	v_cndmask_b32_e32 v37, v37, v39, vcc
	s_waitcnt lgkmcnt(0)
	v_and_b32_e32 v39, 1, v64
	v_or_b32_e32 v62, v39, v62
	v_and_b32_e32 v39, 1, v62
	v_cndmask_b32_e32 v38, v38, v68, vcc
	v_cmp_eq_u32_e32 vcc, 1, v39
	s_andn2_b64 s[56:57], s[56:57], exec
	s_and_b64 s[58:59], vcc, exec
	v_and_b32_e32 v40, 0xff, v62
	s_or_b64 s[56:57], s[56:57], s[58:59]
.LBB72_142:                             ;   in Loop: Header=BB72_135 Depth=1
	s_or_b64 exec, exec, s[40:41]
	s_waitcnt lgkmcnt(2)
	ds_bpermute_b32 v39, v46, v37
	s_waitcnt lgkmcnt(2)
	ds_bpermute_b32 v68, v46, v38
	s_waitcnt lgkmcnt(2)
	ds_bpermute_b32 v64, v46, v40
	v_cmp_le_u32_e32 vcc, v47, v63
	s_and_saveexec_b64 s[58:59], vcc
	s_cbranch_execz .LBB72_144
; %bb.143:                              ;   in Loop: Header=BB72_135 Depth=1
	s_waitcnt lgkmcnt(1)
	v_mov_b32_e32 v40, v68
	v_cmp_lt_u64_e32 vcc, v[39:40], v[37:38]
	v_cmp_eq_u16_sdwa s[40:41], v62, v32 src0_sel:BYTE_0 src1_sel:DWORD
	s_and_b64 vcc, s[40:41], vcc
	v_cndmask_b32_e32 v37, v37, v39, vcc
	v_and_b32_e32 v39, 1, v62
	v_cndmask_b32_e32 v38, v38, v68, vcc
	v_cmp_eq_u32_e32 vcc, 1, v39
	s_waitcnt lgkmcnt(0)
	v_and_b32_e32 v39, 1, v64
	v_cmp_eq_u32_e64 s[40:41], 1, v39
	s_or_b64 s[40:41], vcc, s[40:41]
	v_cndmask_b32_e64 v62, 0, 1, s[40:41]
	v_cndmask_b32_e64 v40, 0, 1, s[40:41]
	s_andn2_b64 s[56:57], s[56:57], exec
	s_and_b64 s[40:41], s[40:41], exec
	s_or_b64 s[56:57], s[56:57], s[40:41]
.LBB72_144:                             ;   in Loop: Header=BB72_135 Depth=1
	s_or_b64 exec, exec, s[58:59]
	s_waitcnt lgkmcnt(2)
	ds_bpermute_b32 v39, v48, v37
	s_waitcnt lgkmcnt(2)
	ds_bpermute_b32 v68, v48, v38
	s_waitcnt lgkmcnt(2)
	ds_bpermute_b32 v64, v48, v40
	v_cmp_le_u32_e32 vcc, v49, v63
	s_and_saveexec_b64 s[58:59], vcc
	s_cbranch_execz .LBB72_146
; %bb.145:                              ;   in Loop: Header=BB72_135 Depth=1
	s_waitcnt lgkmcnt(1)
	v_mov_b32_e32 v40, v68
	v_cmp_lt_u64_e32 vcc, v[39:40], v[37:38]
	v_cmp_eq_u16_sdwa s[40:41], v62, v32 src0_sel:BYTE_0 src1_sel:DWORD
	s_and_b64 vcc, s[40:41], vcc
	v_cndmask_b32_e32 v37, v37, v39, vcc
	v_and_b32_e32 v39, 1, v62
	v_cndmask_b32_e32 v38, v38, v68, vcc
	v_cmp_eq_u32_e32 vcc, 1, v39
	s_waitcnt lgkmcnt(0)
	v_and_b32_e32 v39, 1, v64
	v_cmp_eq_u32_e64 s[40:41], 1, v39
	s_or_b64 s[40:41], vcc, s[40:41]
	v_cndmask_b32_e64 v62, 0, 1, s[40:41]
	v_cndmask_b32_e64 v40, 0, 1, s[40:41]
	s_andn2_b64 s[56:57], s[56:57], exec
	s_and_b64 s[40:41], s[40:41], exec
	s_or_b64 s[56:57], s[56:57], s[40:41]
.LBB72_146:                             ;   in Loop: Header=BB72_135 Depth=1
	;; [unrolled: 30-line block ×4, first 2 shown]
	s_or_b64 exec, exec, s[58:59]
	s_waitcnt lgkmcnt(2)
	ds_bpermute_b32 v39, v58, v37
	s_waitcnt lgkmcnt(2)
	ds_bpermute_b32 v68, v58, v38
	;; [unrolled: 2-line block ×3, first 2 shown]
	v_cmp_le_u32_e32 vcc, v60, v63
	s_and_saveexec_b64 s[58:59], vcc
	s_cbranch_execz .LBB72_133
; %bb.151:                              ;   in Loop: Header=BB72_135 Depth=1
	s_waitcnt lgkmcnt(1)
	v_mov_b32_e32 v40, v68
	v_cmp_lt_u64_e32 vcc, v[39:40], v[37:38]
	v_cmp_eq_u16_sdwa s[40:41], v62, v32 src0_sel:BYTE_0 src1_sel:DWORD
	v_cndmask_b32_e32 v40, v38, v68, vcc
	s_and_b64 vcc, s[40:41], vcc
	v_cndmask_b32_e32 v37, v37, v39, vcc
	v_and_b32_e32 v39, 1, v62
	v_cmp_eq_u32_e32 vcc, 1, v39
	s_waitcnt lgkmcnt(0)
	v_and_b32_e32 v39, 1, v64
	v_cndmask_b32_e64 v38, v38, v40, s[40:41]
	v_cmp_eq_u32_e64 s[40:41], 1, v39
	s_or_b64 s[40:41], vcc, s[40:41]
	s_andn2_b64 s[56:57], s[56:57], exec
	s_and_b64 s[40:41], s[40:41], exec
	s_or_b64 s[56:57], s[56:57], s[40:41]
	s_branch .LBB72_133
.LBB72_152:
                                        ; implicit-def: $vgpr63_vgpr64
                                        ; implicit-def: $vgpr61_vgpr62
                                        ; implicit-def: $vgpr59_vgpr60
                                        ; implicit-def: $vgpr51_vgpr52
                                        ; implicit-def: $vgpr47_vgpr48
                                        ; implicit-def: $vgpr43_vgpr44
                                        ; implicit-def: $vgpr39_vgpr40
                                        ; implicit-def: $vgpr35_vgpr36
                                        ; implicit-def: $vgpr57_vgpr58
                                        ; implicit-def: $vgpr49_vgpr50
                                        ; implicit-def: $vgpr45_vgpr46
                                        ; implicit-def: $vgpr41_vgpr42
                                        ; implicit-def: $vgpr37_vgpr38
                                        ; implicit-def: $vgpr33_vgpr34
                                        ; implicit-def: $vgpr31_vgpr32
	s_cbranch_execnz .LBB72_158
	s_branch .LBB72_179
.LBB72_153:
	s_and_saveexec_b64 s[40:41], s[36:37]
	s_cbranch_execz .LBB72_155
; %bb.154:
	v_mov_b32_e32 v31, 0
	v_cmp_lt_u64_e32 vcc, v[35:36], v[4:5]
	s_mov_b32 s7, 0
	v_cmp_eq_u32_sdwa s[36:37], v42, v31 src0_sel:BYTE_0 src1_sel:DWORD
	s_add_i32 s6, s6, 64
	s_and_b64 vcc, s[36:37], vcc
	s_lshl_b64 s[36:37], s[6:7], 4
	s_add_u32 s36, s46, s36
	v_cndmask_b32_e32 v5, v5, v36, vcc
	v_cndmask_b32_e32 v4, v4, v35, vcc
	v_or_b32_e32 v32, v42, v59
	s_addc_u32 s37, s47, s37
	v_and_b32_e32 v32, 1, v32
	global_store_dwordx2 v31, v[4:5], s[36:37]
	global_store_byte v31, v32, s[36:37] offset:8
	v_mov_b32_e32 v4, 2
	v_mov_b32_e32 v5, s6
	s_waitcnt vmcnt(0) lgkmcnt(0)
	buffer_wbinvl1_vol
	global_store_byte v5, v4, s[48:49]
.LBB72_155:
	s_or_b64 exec, exec, s[40:41]
	v_cmp_eq_u32_e32 vcc, 0, v0
	s_and_b64 exec, exec, vcc
	s_cbranch_execz .LBB72_157
; %bb.156:
	v_mov_b32_e32 v4, 0
	ds_write_b64 v4, v[35:36]
	ds_write_b8 v4, v59 offset:8
.LBB72_157:
	s_or_b64 exec, exec, s[42:43]
	v_mov_b32_e32 v5, 0
	v_mov_b32_e32 v4, v6
	s_waitcnt lgkmcnt(0)
	; wave barrier
	ds_read_b64 v[31:32], v5
	v_and_b32_e32 v33, 1, v41
	v_cmp_lt_u64_e64 s[6:7], v[3:4], v[1:2]
	v_cmp_eq_u16_sdwa s[36:37], v83, v5 src0_sel:BYTE_0 src1_sel:DWORD
	v_cmp_eq_u32_e32 vcc, 1, v33
	s_or_b64 s[22:23], s[22:23], vcc
	s_and_b64 vcc, s[36:37], s[6:7]
	v_cndmask_b32_e64 v4, 0, 1, s[22:23]
	v_cndmask_b32_e32 v3, v1, v3, vcc
	v_cndmask_b32_e32 v6, v2, v6, vcc
	v_cmp_eq_u32_e32 vcc, 0, v0
	v_cndmask_b32_e32 v33, v4, v83, vcc
	v_cndmask_b32_e32 v4, v6, v2, vcc
	;; [unrolled: 1-line block ×3, first 2 shown]
	s_waitcnt lgkmcnt(0)
	v_cmp_lt_u64_e32 vcc, v[31:32], v[3:4]
	v_cmp_eq_u16_sdwa s[6:7], v33, v5 src0_sel:BYTE_0 src1_sel:DWORD
	s_and_b64 vcc, s[6:7], vcc
	v_cndmask_b32_e32 v64, v4, v32, vcc
	v_cndmask_b32_e32 v63, v3, v31, vcc
	v_cmp_lt_u64_e32 vcc, v[63:64], v[9:10]
	v_cndmask_b32_e32 v3, v10, v64, vcc
	s_and_b64 vcc, s[38:39], vcc
	v_cndmask_b32_e64 v32, v10, v3, s[38:39]
	v_cndmask_b32_e32 v31, v9, v63, vcc
	v_cmp_lt_u64_e32 vcc, v[31:32], v[15:16]
	v_cndmask_b32_e32 v3, v16, v32, vcc
	s_and_b64 vcc, s[8:9], vcc
	v_cndmask_b32_e64 v34, v16, v3, s[8:9]
	v_cndmask_b32_e32 v33, v15, v31, vcc
	v_cmp_lt_u64_e32 vcc, v[33:34], v[13:14]
	v_cndmask_b32_e32 v3, v13, v33, vcc
	v_cndmask_b32_e32 v4, v14, v34, vcc
	v_cndmask_b32_e64 v36, v14, v4, s[10:11]
	v_cndmask_b32_e64 v35, v13, v3, s[10:11]
	v_cmp_lt_u64_e32 vcc, v[35:36], v[19:20]
	v_cndmask_b32_e32 v3, v20, v36, vcc
	s_and_b64 vcc, s[12:13], vcc
	v_cndmask_b32_e64 v38, v20, v3, s[12:13]
	v_cndmask_b32_e32 v37, v19, v35, vcc
	v_cmp_lt_u64_e32 vcc, v[37:38], v[17:18]
	v_cndmask_b32_e32 v3, v17, v37, vcc
	v_cndmask_b32_e32 v4, v18, v38, vcc
	v_cndmask_b32_e64 v40, v18, v4, s[14:15]
	v_cndmask_b32_e64 v39, v17, v3, s[14:15]
	;; [unrolled: 10-line block ×6, first 2 shown]
	v_cmp_lt_u64_e32 vcc, v[59:60], v[11:12]
	v_cndmask_b32_e32 v3, v12, v60, vcc
	s_and_b64 vcc, s[2:3], vcc
	v_cndmask_b32_e64 v62, v12, v3, s[2:3]
	v_cndmask_b32_e32 v61, v11, v59, vcc
	s_branch .LBB72_179
.LBB72_158:
	s_cmp_lg_u64 s[54:55], 0
	s_cselect_b64 s[6:7], -1, 0
	v_cmp_eq_u32_e32 vcc, 0, v0
	v_cmp_ne_u32_e64 s[2:3], 0, v0
	s_and_b64 s[6:7], vcc, s[6:7]
	s_and_saveexec_b64 s[10:11], s[6:7]
	s_cbranch_execz .LBB72_160
; %bb.159:
	v_mov_b32_e32 v5, 0
	global_load_dwordx2 v[3:4], v5, s[54:55]
	global_load_ubyte v6, v5, s[54:55] offset:8
	v_cmp_eq_u16_sdwa s[8:9], v83, v5 src0_sel:BYTE_0 src1_sel:DWORD
	s_waitcnt vmcnt(1)
	v_cmp_lt_u64_e64 s[6:7], v[3:4], v[1:2]
	s_waitcnt vmcnt(0)
	v_or_b32_e32 v6, v83, v6
	v_cndmask_b32_e64 v4, v2, v4, s[6:7]
	s_and_b64 s[6:7], s[8:9], s[6:7]
	v_cndmask_b32_e64 v2, v2, v4, s[8:9]
	v_cndmask_b32_e64 v1, v1, v3, s[6:7]
	v_and_b32_e32 v83, 1, v6
.LBB72_160:
	s_or_b64 exec, exec, s[10:11]
	v_and_b32_e32 v3, 1, v83
	v_cmp_eq_u32_e64 s[36:37], 1, v3
	v_mov_b32_e32 v3, 0
	v_cmp_lt_u64_e64 s[8:9], v[1:2], v[9:10]
	v_cmp_eq_u16_sdwa s[6:7], v85, v3 src0_sel:BYTE_0 src1_sel:DWORD
	v_cndmask_b32_e64 v4, v10, v2, s[8:9]
	s_and_b64 s[8:9], s[6:7], s[8:9]
	v_cndmask_b32_e64 v32, v10, v4, s[6:7]
	v_cndmask_b32_e64 v31, v9, v1, s[8:9]
	v_cmp_lt_u64_e64 s[10:11], v[31:32], v[15:16]
	v_cmp_eq_u16_sdwa s[8:9], v84, v3 src0_sel:BYTE_0 src1_sel:DWORD
	v_cndmask_b32_e64 v4, v16, v32, s[10:11]
	s_and_b64 s[10:11], s[8:9], s[10:11]
	v_cndmask_b32_e64 v34, v16, v4, s[8:9]
	v_cndmask_b32_e64 v33, v15, v31, s[10:11]
	v_cmp_lt_u64_e64 s[10:11], v[33:34], v[13:14]
	v_lshlrev_b16_e32 v6, 3, v75
	v_cndmask_b32_e64 v4, v13, v33, s[10:11]
	v_cndmask_b32_e64 v5, v14, v34, s[10:11]
	v_cmp_eq_u16_sdwa s[10:11], v75, v3 src0_sel:BYTE_0 src1_sel:DWORD
	v_cndmask_b32_e64 v36, v14, v5, s[10:11]
	v_cndmask_b32_e64 v35, v13, v4, s[10:11]
	v_and_b32_e32 v4, 1, v72
	v_lshlrev_b16_e32 v5, 1, v73
	v_or_b32_e32 v4, v4, v5
	v_and_b32_e32 v5, 1, v79
	v_lshlrev_b16_e32 v5, 2, v5
	v_cmp_lt_u64_e64 s[14:15], v[35:36], v[19:20]
	v_and_b32_e32 v4, 3, v4
	v_or_b32_e32 v5, v6, v5
	v_cmp_eq_u16_sdwa s[12:13], v81, v3 src0_sel:BYTE_0 src1_sel:DWORD
	v_or_b32_e32 v4, v4, v5
	v_cndmask_b32_e64 v5, v20, v36, s[14:15]
	s_and_b64 s[14:15], s[12:13], s[14:15]
	v_cndmask_b32_e64 v38, v20, v5, s[12:13]
	v_cndmask_b32_e64 v37, v19, v35, s[14:15]
	v_cmp_lt_u64_e64 s[14:15], v[37:38], v[17:18]
	v_cmp_eq_u16_sdwa s[16:17], v80, v3 src0_sel:BYTE_0 src1_sel:DWORD
	v_cndmask_b32_e64 v5, v17, v37, s[14:15]
	v_cndmask_b32_e64 v6, v18, v38, s[14:15]
	v_cndmask_b32_e64 v40, v18, v6, s[16:17]
	v_cndmask_b32_e64 v39, v17, v5, s[16:17]
	v_cmp_lt_u64_e64 s[18:19], v[39:40], v[23:24]
	v_cmp_eq_u16_sdwa s[14:15], v79, v3 src0_sel:BYTE_0 src1_sel:DWORD
	v_cndmask_b32_e64 v5, v24, v40, s[18:19]
	s_and_b64 s[18:19], s[14:15], s[18:19]
	v_cndmask_b32_e64 v42, v24, v5, s[14:15]
	v_cndmask_b32_e64 v41, v23, v39, s[18:19]
	v_cmp_lt_u64_e64 s[18:19], v[41:42], v[21:22]
	v_cmp_eq_u16_sdwa s[20:21], v78, v3 src0_sel:BYTE_0 src1_sel:DWORD
	v_cndmask_b32_e64 v5, v21, v41, s[18:19]
	v_cndmask_b32_e64 v6, v22, v42, s[18:19]
	v_cndmask_b32_e64 v44, v22, v6, s[20:21]
	v_cndmask_b32_e64 v43, v21, v5, s[20:21]
	v_cmp_lt_u64_e64 s[22:23], v[43:44], v[27:28]
	v_cmp_eq_u16_sdwa s[18:19], v77, v3 src0_sel:BYTE_0 src1_sel:DWORD
	;; [unrolled: 12-line block ×4, first 2 shown]
	v_cndmask_b32_e64 v5, v54, v52, s[30:31]
	s_and_b64 s[30:31], s[26:27], s[30:31]
	v_cmp_eq_u16_sdwa s[34:35], v71, v3 src0_sel:BYTE_0 src1_sel:DWORD
	v_and_b32_e32 v3, 15, v4
	v_or_b32_e32 v4, v71, v67
	v_cndmask_b32_e64 v58, v54, v5, s[26:27]
	v_cndmask_b32_e64 v57, v53, v51, s[30:31]
	v_or_b32_e32 v4, v4, v65
	v_cmp_lt_u64_e64 s[30:31], v[57:58], v[7:8]
	v_or_b32_e32 v4, v4, v78
	v_or_b32_e32 v4, v4, v77
	v_cndmask_b32_e64 v5, v7, v57, s[30:31]
	v_cndmask_b32_e64 v6, v8, v58, s[30:31]
	v_or_b32_e32 v4, v85, v4
	v_cndmask_b32_e64 v60, v8, v6, s[34:35]
	v_cndmask_b32_e64 v59, v7, v5, s[34:35]
	v_or_b32_e32 v4, v4, v84
	v_cmp_lt_u64_e64 s[38:39], v[59:60], v[11:12]
	v_or_b32_e32 v4, v4, v81
	v_cmp_eq_u16_e64 s[30:31], 0, v65
	v_or_b32_e32 v4, v4, v80
	s_and_b64 s[38:39], s[30:31], s[38:39]
	v_or_b32_sdwa v3, v3, v4 dst_sel:DWORD dst_unused:UNUSED_PAD src0_sel:DWORD src1_sel:BYTE_0
	v_cndmask_b32_e64 v62, v12, v60, s[38:39]
	v_cndmask_b32_e64 v61, v11, v59, s[38:39]
	v_cmp_ne_u16_e64 s[38:39], 0, v3
	s_or_b64 s[36:37], s[38:39], s[36:37]
	v_mbcnt_hi_u32_b32 v65, -1, v66
	v_and_b32_e32 v66, 15, v65
	v_cndmask_b32_e64 v64, 0, 1, s[36:37]
	v_mov_b32_e32 v5, v61
	v_cndmask_b32_e64 v67, 0, 1, s[36:37]
	v_mov_b32_dpp v63, v61 row_shr:1 row_mask:0xf bank_mask:0xf
	v_mov_b32_dpp v68, v62 row_shr:1 row_mask:0xf bank_mask:0xf
	;; [unrolled: 1-line block ×3, first 2 shown]
	v_cmp_ne_u32_e64 s[38:39], 0, v66
	v_mov_b32_e32 v3, v61
	v_mov_b32_e32 v4, v62
	v_mov_b32_e32 v6, v62
	s_and_saveexec_b64 s[40:41], s[38:39]
	s_cbranch_execz .LBB72_162
; %bb.161:
	v_mov_b32_e32 v64, v68
	v_cmp_lt_u64_e64 s[38:39], v[63:64], v[61:62]
	v_and_b32_e32 v3, 1, v69
	v_or_b32_e32 v67, v3, v67
	v_cndmask_b32_e64 v3, v62, v68, s[38:39]
	v_cndmask_b32_e64 v5, v61, v63, s[38:39]
	;; [unrolled: 1-line block ×4, first 2 shown]
	v_mov_b32_e32 v6, v4
	v_and_b32_e32 v64, 0xffff, v67
	v_mov_b32_e32 v5, v3
.LBB72_162:
	s_or_b64 exec, exec, s[40:41]
	v_mov_b32_dpp v63, v3 row_shr:2 row_mask:0xf bank_mask:0xf
	v_mov_b32_dpp v68, v4 row_shr:2 row_mask:0xf bank_mask:0xf
	v_mov_b32_dpp v69, v64 row_shr:2 row_mask:0xf bank_mask:0xf
	v_cmp_lt_u32_e64 s[36:37], 1, v66
	s_and_saveexec_b64 s[40:41], s[36:37]
	s_cbranch_execz .LBB72_164
; %bb.163:
	v_and_b32_e32 v3, 1, v67
	v_cmp_eq_u32_e64 s[36:37], 1, v3
	v_and_b32_e32 v3, 1, v69
	v_cmp_eq_u32_e64 s[38:39], 1, v3
	v_mov_b32_e32 v64, v68
	s_or_b64 s[42:43], s[36:37], s[38:39]
	v_cmp_lt_u64_e64 s[36:37], v[63:64], v[5:6]
	v_cmp_eq_u16_e64 s[38:39], 0, v67
	s_and_b64 s[36:37], s[38:39], s[36:37]
	v_cndmask_b32_e64 v4, v6, v68, s[36:37]
	v_cndmask_b32_e64 v69, 0, 1, s[42:43]
	v_cndmask_b32_e64 v3, v5, v63, s[36:37]
	v_mov_b32_e32 v6, v4
	v_cndmask_b32_e64 v64, 0, 1, s[42:43]
	v_mov_b32_e32 v67, v69
	v_mov_b32_e32 v5, v3
.LBB72_164:
	s_or_b64 exec, exec, s[40:41]
	v_mov_b32_dpp v63, v3 row_shr:4 row_mask:0xf bank_mask:0xf
	v_mov_b32_dpp v68, v4 row_shr:4 row_mask:0xf bank_mask:0xf
	v_mov_b32_dpp v69, v64 row_shr:4 row_mask:0xf bank_mask:0xf
	v_cmp_lt_u32_e64 s[36:37], 3, v66
	s_and_saveexec_b64 s[40:41], s[36:37]
	s_cbranch_execz .LBB72_166
; %bb.165:
	v_and_b32_e32 v3, 1, v67
	v_cmp_eq_u32_e64 s[36:37], 1, v3
	v_and_b32_e32 v3, 1, v69
	v_cmp_eq_u32_e64 s[38:39], 1, v3
	v_mov_b32_e32 v64, v68
	s_or_b64 s[42:43], s[36:37], s[38:39]
	v_cmp_lt_u64_e64 s[36:37], v[63:64], v[5:6]
	v_cmp_eq_u16_e64 s[38:39], 0, v67
	s_and_b64 s[36:37], s[38:39], s[36:37]
	v_cndmask_b32_e64 v4, v6, v68, s[36:37]
	v_cndmask_b32_e64 v69, 0, 1, s[42:43]
	v_cndmask_b32_e64 v3, v5, v63, s[36:37]
	v_mov_b32_e32 v6, v4
	v_cndmask_b32_e64 v64, 0, 1, s[42:43]
	v_mov_b32_e32 v67, v69
	v_mov_b32_e32 v5, v3
.LBB72_166:
	;; [unrolled: 25-line block ×3, first 2 shown]
	s_or_b64 exec, exec, s[40:41]
	v_and_b32_e32 v69, 16, v65
	v_mov_b32_dpp v63, v3 row_bcast:15 row_mask:0xf bank_mask:0xf
	v_mov_b32_dpp v66, v4 row_bcast:15 row_mask:0xf bank_mask:0xf
	v_mov_b32_dpp v68, v64 row_bcast:15 row_mask:0xf bank_mask:0xf
	v_cmp_ne_u32_e64 s[36:37], 0, v69
	s_and_saveexec_b64 s[40:41], s[36:37]
	s_cbranch_execz .LBB72_170
; %bb.169:
	v_and_b32_e32 v3, 1, v67
	v_cmp_eq_u32_e64 s[36:37], 1, v3
	v_and_b32_e32 v3, 1, v68
	v_cmp_eq_u32_e64 s[38:39], 1, v3
	v_mov_b32_e32 v64, v66
	s_or_b64 s[42:43], s[36:37], s[38:39]
	v_cmp_lt_u64_e64 s[36:37], v[63:64], v[5:6]
	v_cmp_eq_u16_e64 s[38:39], 0, v67
	s_and_b64 s[36:37], s[38:39], s[36:37]
	v_cndmask_b32_e64 v4, v6, v66, s[36:37]
	v_cndmask_b32_e64 v68, 0, 1, s[42:43]
	;; [unrolled: 1-line block ×3, first 2 shown]
	v_mov_b32_e32 v6, v4
	v_cndmask_b32_e64 v64, 0, 1, s[42:43]
	v_mov_b32_e32 v67, v68
	v_mov_b32_e32 v5, v3
.LBB72_170:
	s_or_b64 exec, exec, s[40:41]
	v_mov_b32_dpp v63, v3 row_bcast:31 row_mask:0xf bank_mask:0xf
	v_mov_b32_dpp v66, v4 row_bcast:31 row_mask:0xf bank_mask:0xf
	;; [unrolled: 1-line block ×3, first 2 shown]
	v_cmp_lt_u32_e64 s[36:37], 31, v65
	s_and_saveexec_b64 s[40:41], s[36:37]
	s_cbranch_execz .LBB72_172
; %bb.171:
	v_and_b32_e32 v3, 1, v67
	v_cmp_eq_u32_e64 s[36:37], 1, v3
	v_and_b32_e32 v3, 1, v64
	v_cmp_eq_u32_e64 s[38:39], 1, v3
	s_or_b64 s[36:37], s[36:37], s[38:39]
	v_mov_b32_e32 v64, v66
	v_cndmask_b32_e64 v68, 0, 1, s[36:37]
	v_cmp_lt_u64_e64 s[36:37], v[63:64], v[5:6]
	v_cmp_eq_u16_e64 s[38:39], 0, v67
	s_and_b64 s[36:37], s[38:39], s[36:37]
	v_cndmask_b32_e64 v4, v6, v66, s[36:37]
	v_cndmask_b32_e64 v3, v5, v63, s[36:37]
	v_mov_b32_e32 v6, v4
	v_mov_b32_e32 v67, v68
	;; [unrolled: 1-line block ×3, first 2 shown]
.LBB72_172:
	s_or_b64 exec, exec, s[40:41]
	v_cmp_eq_u32_e64 s[36:37], 63, v0
	s_and_saveexec_b64 s[38:39], s[36:37]
	s_cbranch_execz .LBB72_174
; %bb.173:
	v_mov_b32_e32 v63, 0
	ds_write_b64 v63, v[5:6]
	ds_write_b8 v63, v67 offset:8
.LBB72_174:
	s_or_b64 exec, exec, s[38:39]
	v_add_u32_e32 v5, -1, v65
	v_and_b32_e32 v6, 64, v65
	v_cmp_lt_i32_e64 s[36:37], v5, v6
	v_cndmask_b32_e64 v5, v5, v65, s[36:37]
	v_lshlrev_b32_e32 v5, 2, v5
	ds_bpermute_b32 v3, v5, v3
	ds_bpermute_b32 v5, v5, v4
	s_waitcnt lgkmcnt(0)
	; wave barrier
	s_and_saveexec_b64 s[36:37], s[2:3]
	s_cbranch_execz .LBB72_176
; %bb.175:
	v_mov_b32_e32 v4, v5
	v_mov_b32_e32 v6, 0
	v_cmp_lt_u64_e64 s[2:3], v[3:4], v[1:2]
	v_cmp_eq_u16_sdwa s[38:39], v83, v6 src0_sel:BYTE_0 src1_sel:DWORD
	s_and_b64 s[2:3], s[38:39], s[2:3]
	v_cndmask_b32_e64 v2, v2, v5, s[2:3]
	v_cndmask_b32_e64 v1, v1, v3, s[2:3]
	v_cmp_lt_u64_e64 s[2:3], v[1:2], v[9:10]
	v_cndmask_b32_e64 v3, v10, v2, s[2:3]
	s_and_b64 s[2:3], s[6:7], s[2:3]
	v_cndmask_b32_e64 v32, v10, v3, s[6:7]
	v_cndmask_b32_e64 v31, v9, v1, s[2:3]
	v_cmp_lt_u64_e64 s[2:3], v[31:32], v[15:16]
	v_cndmask_b32_e64 v3, v15, v31, s[2:3]
	v_cndmask_b32_e64 v4, v16, v32, s[2:3]
	v_cndmask_b32_e64 v34, v16, v4, s[8:9]
	v_cndmask_b32_e64 v33, v15, v3, s[8:9]
	v_cmp_lt_u64_e64 s[2:3], v[33:34], v[13:14]
	v_cndmask_b32_e64 v3, v14, v34, s[2:3]
	s_and_b64 s[2:3], s[10:11], s[2:3]
	v_cndmask_b32_e64 v36, v14, v3, s[10:11]
	v_cndmask_b32_e64 v35, v13, v33, s[2:3]
	v_cmp_lt_u64_e64 s[2:3], v[35:36], v[19:20]
	v_cndmask_b32_e64 v3, v19, v35, s[2:3]
	v_cndmask_b32_e64 v4, v20, v36, s[2:3]
	;; [unrolled: 10-line block ×6, first 2 shown]
	v_cndmask_b32_e64 v58, v54, v4, s[26:27]
	v_cndmask_b32_e64 v57, v53, v3, s[26:27]
	v_cmp_lt_u64_e64 s[2:3], v[57:58], v[7:8]
	v_cndmask_b32_e64 v3, v8, v58, s[2:3]
	s_and_b64 s[2:3], s[34:35], s[2:3]
	v_cndmask_b32_e64 v60, v8, v3, s[34:35]
	v_cndmask_b32_e64 v59, v7, v57, s[2:3]
	v_cmp_lt_u64_e64 s[2:3], v[59:60], v[11:12]
	v_cndmask_b32_e64 v3, v12, v60, s[2:3]
	s_and_b64 s[2:3], s[30:31], s[2:3]
	v_cndmask_b32_e64 v62, v12, v3, s[30:31]
	v_cndmask_b32_e64 v61, v11, v59, s[2:3]
.LBB72_176:
	s_or_b64 exec, exec, s[36:37]
	s_and_saveexec_b64 s[2:3], vcc
	s_cbranch_execz .LBB72_178
; %bb.177:
	v_mov_b32_e32 v5, 0
	ds_read_b64 v[3:4], v5
	ds_read_u8 v6, v5 offset:8
	v_mov_b32_e32 v7, 2
	s_waitcnt lgkmcnt(1)
	global_store_dwordx2 v5, v[3:4], s[46:47] offset:1024
	s_waitcnt lgkmcnt(0)
	global_store_byte v5, v6, s[46:47] offset:1032
	s_waitcnt vmcnt(0)
	buffer_wbinvl1_vol
	global_store_byte v5, v7, s[48:49] offset:64
.LBB72_178:
	s_or_b64 exec, exec, s[2:3]
	v_mov_b32_e32 v64, v2
	v_mov_b32_e32 v63, v1
.LBB72_179:
	s_load_dwordx2 s[2:3], s[4:5], 0x18
	s_waitcnt lgkmcnt(0)
	s_add_u32 s2, s2, s52
	s_addc_u32 s3, s3, s53
	s_and_b64 vcc, exec, s[0:1]
	s_cbranch_vccz .LBB72_233
; %bb.180:
	s_add_i32 s33, s33, s50
	v_mul_u32_u24_e32 v1, 15, v0
	v_cmp_gt_u32_e32 vcc, s33, v1
	s_and_saveexec_b64 s[0:1], vcc
	s_cbranch_execz .LBB72_204
; %bb.181:
	v_add_u32_e32 v2, 1, v1
	v_cmp_gt_u32_e32 vcc, s33, v2
	s_and_saveexec_b64 s[4:5], vcc
	s_cbranch_execz .LBB72_203
; %bb.182:
	v_add_u32_e32 v2, 2, v1
	;; [unrolled: 5-line block ×11, first 2 shown]
	v_cmp_gt_u32_e32 vcc, s33, v2
	s_and_saveexec_b64 s[24:25], vcc
; %bb.192:
	v_add_u32_e32 v2, 12, v1
	v_cmp_gt_u32_e32 vcc, s33, v2
	s_and_saveexec_b64 s[26:27], vcc
	s_or_b64 exec, exec, s[26:27]
; %bb.193:
	s_or_b64 exec, exec, s[24:25]
.LBB72_194:
	s_or_b64 exec, exec, s[22:23]
.LBB72_195:
	s_or_b64 exec, exec, s[20:21]
.LBB72_196:
	s_or_b64 exec, exec, s[18:19]
.LBB72_197:
	s_or_b64 exec, exec, s[16:17]
.LBB72_198:
	s_or_b64 exec, exec, s[14:15]
.LBB72_199:
	s_or_b64 exec, exec, s[12:13]
.LBB72_200:
	s_or_b64 exec, exec, s[10:11]
.LBB72_201:
	s_or_b64 exec, exec, s[8:9]
.LBB72_202:
	s_or_b64 exec, exec, s[6:7]
.LBB72_203:
	s_or_b64 exec, exec, s[4:5]
.LBB72_204:
	s_or_b64 exec, exec, s[0:1]
	v_lshlrev_b32_e32 v53, 3, v1
	s_movk_i32 s0, 0xff90
	v_mad_i32_i24 v1, v0, s0, v53
	; wave barrier
	ds_write2_b64 v53, v[63:64], v[31:32] offset1:1
	ds_write2_b64 v53, v[33:34], v[35:36] offset0:2 offset1:3
	ds_write2_b64 v53, v[37:38], v[39:40] offset0:4 offset1:5
	;; [unrolled: 1-line block ×6, first 2 shown]
	ds_write_b64 v53, v[61:62] offset:112
	s_waitcnt lgkmcnt(0)
	; wave barrier
	ds_read2st64_b64 v[25:28], v1 offset0:1 offset1:2
	ds_read2st64_b64 v[21:24], v1 offset0:3 offset1:4
	;; [unrolled: 1-line block ×7, first 2 shown]
	v_lshlrev_b32_e32 v29, 3, v0
	v_mov_b32_e32 v30, s3
	v_add_co_u32_e32 v29, vcc, s2, v29
	v_addc_co_u32_e32 v30, vcc, 0, v30, vcc
	v_cmp_gt_u32_e32 vcc, s33, v0
	s_and_saveexec_b64 s[0:1], vcc
	s_cbranch_execz .LBB72_206
; %bb.205:
	v_mul_i32_i24_e32 v54, 0xffffff90, v0
	v_add_u32_e32 v53, v53, v54
	ds_read_b64 v[53:54], v53
	s_waitcnt lgkmcnt(0)
	global_store_dwordx2 v[29:30], v[53:54], off
.LBB72_206:
	s_or_b64 exec, exec, s[0:1]
	v_or_b32_e32 v53, 64, v0
	v_cmp_gt_u32_e32 vcc, s33, v53
	s_and_saveexec_b64 s[0:1], vcc
	s_cbranch_execz .LBB72_208
; %bb.207:
	s_waitcnt lgkmcnt(6)
	global_store_dwordx2 v[29:30], v[25:26], off offset:512
.LBB72_208:
	s_or_b64 exec, exec, s[0:1]
	s_waitcnt lgkmcnt(6)
	v_or_b32_e32 v25, 0x80, v0
	v_cmp_gt_u32_e32 vcc, s33, v25
	s_and_saveexec_b64 s[0:1], vcc
	s_cbranch_execz .LBB72_210
; %bb.209:
	global_store_dwordx2 v[29:30], v[27:28], off offset:1024
.LBB72_210:
	s_or_b64 exec, exec, s[0:1]
	v_or_b32_e32 v25, 0xc0, v0
	v_cmp_gt_u32_e32 vcc, s33, v25
	s_and_saveexec_b64 s[0:1], vcc
	s_cbranch_execz .LBB72_212
; %bb.211:
	s_waitcnt lgkmcnt(5)
	global_store_dwordx2 v[29:30], v[21:22], off offset:1536
.LBB72_212:
	s_or_b64 exec, exec, s[0:1]
	s_waitcnt lgkmcnt(5)
	v_or_b32_e32 v21, 0x100, v0
	v_cmp_gt_u32_e32 vcc, s33, v21
	s_and_saveexec_b64 s[0:1], vcc
	s_cbranch_execz .LBB72_214
; %bb.213:
	global_store_dwordx2 v[29:30], v[23:24], off offset:2048
.LBB72_214:
	;; [unrolled: 18-line block ×3, first 2 shown]
	s_or_b64 exec, exec, s[0:1]
	v_or_b32_e32 v17, 0x1c0, v0
	v_cmp_gt_u32_e32 vcc, s33, v17
	s_and_saveexec_b64 s[0:1], vcc
	s_cbranch_execz .LBB72_220
; %bb.219:
	s_waitcnt lgkmcnt(3)
	global_store_dwordx2 v[29:30], v[13:14], off offset:3584
.LBB72_220:
	s_or_b64 exec, exec, s[0:1]
	s_waitcnt lgkmcnt(3)
	v_or_b32_e32 v13, 0x200, v0
	v_cmp_gt_u32_e32 vcc, s33, v13
	s_and_saveexec_b64 s[0:1], vcc
	s_cbranch_execz .LBB72_222
; %bb.221:
	v_add_co_u32_e32 v13, vcc, 0x1000, v29
	v_addc_co_u32_e32 v14, vcc, 0, v30, vcc
	global_store_dwordx2 v[13:14], v[15:16], off
.LBB72_222:
	s_or_b64 exec, exec, s[0:1]
	v_or_b32_e32 v13, 0x240, v0
	v_cmp_gt_u32_e32 vcc, s33, v13
	s_and_saveexec_b64 s[0:1], vcc
	s_cbranch_execz .LBB72_224
; %bb.223:
	v_add_co_u32_e32 v13, vcc, 0x1000, v29
	v_addc_co_u32_e32 v14, vcc, 0, v30, vcc
	s_waitcnt lgkmcnt(2)
	global_store_dwordx2 v[13:14], v[9:10], off offset:512
.LBB72_224:
	s_or_b64 exec, exec, s[0:1]
	s_waitcnt lgkmcnt(2)
	v_or_b32_e32 v9, 0x280, v0
	v_cmp_gt_u32_e32 vcc, s33, v9
	s_and_saveexec_b64 s[0:1], vcc
	s_cbranch_execz .LBB72_226
; %bb.225:
	v_add_co_u32_e32 v9, vcc, 0x1000, v29
	v_addc_co_u32_e32 v10, vcc, 0, v30, vcc
	global_store_dwordx2 v[9:10], v[11:12], off offset:1024
.LBB72_226:
	s_or_b64 exec, exec, s[0:1]
	v_or_b32_e32 v9, 0x2c0, v0
	v_cmp_gt_u32_e32 vcc, s33, v9
	s_and_saveexec_b64 s[0:1], vcc
	s_cbranch_execz .LBB72_228
; %bb.227:
	v_add_co_u32_e32 v9, vcc, 0x1000, v29
	v_addc_co_u32_e32 v10, vcc, 0, v30, vcc
	s_waitcnt lgkmcnt(1)
	global_store_dwordx2 v[9:10], v[5:6], off offset:1536
.LBB72_228:
	s_or_b64 exec, exec, s[0:1]
	s_waitcnt lgkmcnt(1)
	v_or_b32_e32 v5, 0x300, v0
	v_cmp_gt_u32_e32 vcc, s33, v5
	s_and_saveexec_b64 s[0:1], vcc
	s_cbranch_execz .LBB72_230
; %bb.229:
	v_add_co_u32_e32 v5, vcc, 0x1000, v29
	v_addc_co_u32_e32 v6, vcc, 0, v30, vcc
	global_store_dwordx2 v[5:6], v[7:8], off offset:2048
.LBB72_230:
	s_or_b64 exec, exec, s[0:1]
	v_or_b32_e32 v5, 0x340, v0
	v_cmp_gt_u32_e32 vcc, s33, v5
	s_and_saveexec_b64 s[0:1], vcc
	s_cbranch_execz .LBB72_232
; %bb.231:
	v_add_co_u32_e32 v5, vcc, 0x1000, v29
	v_addc_co_u32_e32 v6, vcc, 0, v30, vcc
	s_waitcnt lgkmcnt(0)
	global_store_dwordx2 v[5:6], v[1:2], off offset:2560
.LBB72_232:
	s_or_b64 exec, exec, s[0:1]
	s_waitcnt lgkmcnt(0)
	v_or_b32_e32 v1, 0x380, v0
	v_cmp_gt_u32_e64 s[0:1], s33, v1
	s_branch .LBB72_235
.LBB72_233:
	s_mov_b64 s[0:1], 0
                                        ; implicit-def: $vgpr3_vgpr4
	s_cbranch_execz .LBB72_235
; %bb.234:
	v_mul_u32_u24_e32 v1, 0x78, v0
	; wave barrier
	s_movk_i32 s4, 0x78
	ds_write2_b64 v1, v[63:64], v[31:32] offset1:1
	ds_write2_b64 v1, v[33:34], v[35:36] offset0:2 offset1:3
	ds_write2_b64 v1, v[37:38], v[39:40] offset0:4 offset1:5
	;; [unrolled: 1-line block ×6, first 2 shown]
	ds_write_b64 v1, v[61:62] offset:112
	v_mul_i32_i24_e32 v1, 0xffffff90, v0
	v_mad_u32_u24 v1, v0, s4, v1
	s_waitcnt lgkmcnt(0)
	; wave barrier
	ds_read2st64_b64 v[5:8], v1 offset1:1
	ds_read2st64_b64 v[9:12], v1 offset0:2 offset1:3
	ds_read2st64_b64 v[13:16], v1 offset0:4 offset1:5
	;; [unrolled: 1-line block ×6, first 2 shown]
	ds_read_b64 v[3:4], v1 offset:7168
	v_lshlrev_b32_e32 v1, 3, v0
	v_mov_b32_e32 v2, s3
	v_add_co_u32_e32 v33, vcc, s2, v1
	v_addc_co_u32_e32 v2, vcc, 0, v2, vcc
	s_waitcnt lgkmcnt(7)
	global_store_dwordx2 v1, v[5:6], s[2:3]
	global_store_dwordx2 v1, v[7:8], s[2:3] offset:512
	s_waitcnt lgkmcnt(6)
	global_store_dwordx2 v1, v[9:10], s[2:3] offset:1024
	global_store_dwordx2 v1, v[11:12], s[2:3] offset:1536
	s_waitcnt lgkmcnt(5)
	global_store_dwordx2 v1, v[13:14], s[2:3] offset:2048
	;; [unrolled: 3-line block ×3, first 2 shown]
	global_store_dwordx2 v1, v[19:20], s[2:3] offset:3584
	v_add_co_u32_e32 v1, vcc, 0x1000, v33
	v_addc_co_u32_e32 v2, vcc, 0, v2, vcc
	s_or_b64 s[0:1], s[0:1], exec
	s_waitcnt lgkmcnt(3)
	global_store_dwordx2 v[1:2], v[21:22], off
	global_store_dwordx2 v[1:2], v[23:24], off offset:512
	s_waitcnt lgkmcnt(2)
	global_store_dwordx2 v[1:2], v[25:26], off offset:1024
	global_store_dwordx2 v[1:2], v[27:28], off offset:1536
	s_waitcnt lgkmcnt(1)
	global_store_dwordx2 v[1:2], v[29:30], off offset:2048
	global_store_dwordx2 v[1:2], v[31:32], off offset:2560
.LBB72_235:
	s_and_saveexec_b64 s[4:5], s[0:1]
	s_cbranch_execz .LBB72_237
; %bb.236:
	v_lshlrev_b32_e32 v0, 3, v0
	v_mov_b32_e32 v1, s3
	v_add_co_u32_e32 v0, vcc, s2, v0
	v_addc_co_u32_e32 v1, vcc, 0, v1, vcc
	v_add_co_u32_e32 v0, vcc, 0x1000, v0
	v_addc_co_u32_e32 v1, vcc, 0, v1, vcc
	s_waitcnt lgkmcnt(0)
	global_store_dwordx2 v[0:1], v[3:4], off offset:3072
	s_endpgm
.LBB72_237:
	s_endpgm
	.section	.rodata,"a",@progbits
	.p2align	6, 0x0
	.amdhsa_kernel _ZN7rocprim6detail25device_scan_by_key_kernelILNS0_25lookback_scan_determinismE0ELb0ENS0_26wrapped_scan_by_key_configINS_14default_configEiyEEPiN6hipcub22TransformInputIteratorIyNS7_6CastOpIyEEPylEESB_yNS7_8EqualityENS7_3MinENS0_19lookback_scan_stateINS_5tupleIJybEEELb0ELb0EEEyEEvT2_T3_T4_T5_T6_T7_T8_mmmPKNSG_IJT9_bEEE
		.amdhsa_group_segment_fixed_size 7680
		.amdhsa_private_segment_fixed_size 0
		.amdhsa_kernarg_size 104
		.amdhsa_user_sgpr_count 6
		.amdhsa_user_sgpr_private_segment_buffer 1
		.amdhsa_user_sgpr_dispatch_ptr 0
		.amdhsa_user_sgpr_queue_ptr 0
		.amdhsa_user_sgpr_kernarg_segment_ptr 1
		.amdhsa_user_sgpr_dispatch_id 0
		.amdhsa_user_sgpr_flat_scratch_init 0
		.amdhsa_user_sgpr_private_segment_size 0
		.amdhsa_uses_dynamic_stack 0
		.amdhsa_system_sgpr_private_segment_wavefront_offset 0
		.amdhsa_system_sgpr_workgroup_id_x 1
		.amdhsa_system_sgpr_workgroup_id_y 0
		.amdhsa_system_sgpr_workgroup_id_z 0
		.amdhsa_system_sgpr_workgroup_info 0
		.amdhsa_system_vgpr_workitem_id 0
		.amdhsa_next_free_vgpr 103
		.amdhsa_next_free_sgpr 98
		.amdhsa_reserve_vcc 1
		.amdhsa_reserve_flat_scratch 0
		.amdhsa_float_round_mode_32 0
		.amdhsa_float_round_mode_16_64 0
		.amdhsa_float_denorm_mode_32 3
		.amdhsa_float_denorm_mode_16_64 3
		.amdhsa_dx10_clamp 1
		.amdhsa_ieee_mode 1
		.amdhsa_fp16_overflow 0
		.amdhsa_exception_fp_ieee_invalid_op 0
		.amdhsa_exception_fp_denorm_src 0
		.amdhsa_exception_fp_ieee_div_zero 0
		.amdhsa_exception_fp_ieee_overflow 0
		.amdhsa_exception_fp_ieee_underflow 0
		.amdhsa_exception_fp_ieee_inexact 0
		.amdhsa_exception_int_div_zero 0
	.end_amdhsa_kernel
	.section	.text._ZN7rocprim6detail25device_scan_by_key_kernelILNS0_25lookback_scan_determinismE0ELb0ENS0_26wrapped_scan_by_key_configINS_14default_configEiyEEPiN6hipcub22TransformInputIteratorIyNS7_6CastOpIyEEPylEESB_yNS7_8EqualityENS7_3MinENS0_19lookback_scan_stateINS_5tupleIJybEEELb0ELb0EEEyEEvT2_T3_T4_T5_T6_T7_T8_mmmPKNSG_IJT9_bEEE,"axG",@progbits,_ZN7rocprim6detail25device_scan_by_key_kernelILNS0_25lookback_scan_determinismE0ELb0ENS0_26wrapped_scan_by_key_configINS_14default_configEiyEEPiN6hipcub22TransformInputIteratorIyNS7_6CastOpIyEEPylEESB_yNS7_8EqualityENS7_3MinENS0_19lookback_scan_stateINS_5tupleIJybEEELb0ELb0EEEyEEvT2_T3_T4_T5_T6_T7_T8_mmmPKNSG_IJT9_bEEE,comdat
.Lfunc_end72:
	.size	_ZN7rocprim6detail25device_scan_by_key_kernelILNS0_25lookback_scan_determinismE0ELb0ENS0_26wrapped_scan_by_key_configINS_14default_configEiyEEPiN6hipcub22TransformInputIteratorIyNS7_6CastOpIyEEPylEESB_yNS7_8EqualityENS7_3MinENS0_19lookback_scan_stateINS_5tupleIJybEEELb0ELb0EEEyEEvT2_T3_T4_T5_T6_T7_T8_mmmPKNSG_IJT9_bEEE, .Lfunc_end72-_ZN7rocprim6detail25device_scan_by_key_kernelILNS0_25lookback_scan_determinismE0ELb0ENS0_26wrapped_scan_by_key_configINS_14default_configEiyEEPiN6hipcub22TransformInputIteratorIyNS7_6CastOpIyEEPylEESB_yNS7_8EqualityENS7_3MinENS0_19lookback_scan_stateINS_5tupleIJybEEELb0ELb0EEEyEEvT2_T3_T4_T5_T6_T7_T8_mmmPKNSG_IJT9_bEEE
                                        ; -- End function
	.set _ZN7rocprim6detail25device_scan_by_key_kernelILNS0_25lookback_scan_determinismE0ELb0ENS0_26wrapped_scan_by_key_configINS_14default_configEiyEEPiN6hipcub22TransformInputIteratorIyNS7_6CastOpIyEEPylEESB_yNS7_8EqualityENS7_3MinENS0_19lookback_scan_stateINS_5tupleIJybEEELb0ELb0EEEyEEvT2_T3_T4_T5_T6_T7_T8_mmmPKNSG_IJT9_bEEE.num_vgpr, 103
	.set _ZN7rocprim6detail25device_scan_by_key_kernelILNS0_25lookback_scan_determinismE0ELb0ENS0_26wrapped_scan_by_key_configINS_14default_configEiyEEPiN6hipcub22TransformInputIteratorIyNS7_6CastOpIyEEPylEESB_yNS7_8EqualityENS7_3MinENS0_19lookback_scan_stateINS_5tupleIJybEEELb0ELb0EEEyEEvT2_T3_T4_T5_T6_T7_T8_mmmPKNSG_IJT9_bEEE.num_agpr, 0
	.set _ZN7rocprim6detail25device_scan_by_key_kernelILNS0_25lookback_scan_determinismE0ELb0ENS0_26wrapped_scan_by_key_configINS_14default_configEiyEEPiN6hipcub22TransformInputIteratorIyNS7_6CastOpIyEEPylEESB_yNS7_8EqualityENS7_3MinENS0_19lookback_scan_stateINS_5tupleIJybEEELb0ELb0EEEyEEvT2_T3_T4_T5_T6_T7_T8_mmmPKNSG_IJT9_bEEE.numbered_sgpr, 78
	.set _ZN7rocprim6detail25device_scan_by_key_kernelILNS0_25lookback_scan_determinismE0ELb0ENS0_26wrapped_scan_by_key_configINS_14default_configEiyEEPiN6hipcub22TransformInputIteratorIyNS7_6CastOpIyEEPylEESB_yNS7_8EqualityENS7_3MinENS0_19lookback_scan_stateINS_5tupleIJybEEELb0ELb0EEEyEEvT2_T3_T4_T5_T6_T7_T8_mmmPKNSG_IJT9_bEEE.num_named_barrier, 0
	.set _ZN7rocprim6detail25device_scan_by_key_kernelILNS0_25lookback_scan_determinismE0ELb0ENS0_26wrapped_scan_by_key_configINS_14default_configEiyEEPiN6hipcub22TransformInputIteratorIyNS7_6CastOpIyEEPylEESB_yNS7_8EqualityENS7_3MinENS0_19lookback_scan_stateINS_5tupleIJybEEELb0ELb0EEEyEEvT2_T3_T4_T5_T6_T7_T8_mmmPKNSG_IJT9_bEEE.private_seg_size, 0
	.set _ZN7rocprim6detail25device_scan_by_key_kernelILNS0_25lookback_scan_determinismE0ELb0ENS0_26wrapped_scan_by_key_configINS_14default_configEiyEEPiN6hipcub22TransformInputIteratorIyNS7_6CastOpIyEEPylEESB_yNS7_8EqualityENS7_3MinENS0_19lookback_scan_stateINS_5tupleIJybEEELb0ELb0EEEyEEvT2_T3_T4_T5_T6_T7_T8_mmmPKNSG_IJT9_bEEE.uses_vcc, 1
	.set _ZN7rocprim6detail25device_scan_by_key_kernelILNS0_25lookback_scan_determinismE0ELb0ENS0_26wrapped_scan_by_key_configINS_14default_configEiyEEPiN6hipcub22TransformInputIteratorIyNS7_6CastOpIyEEPylEESB_yNS7_8EqualityENS7_3MinENS0_19lookback_scan_stateINS_5tupleIJybEEELb0ELb0EEEyEEvT2_T3_T4_T5_T6_T7_T8_mmmPKNSG_IJT9_bEEE.uses_flat_scratch, 0
	.set _ZN7rocprim6detail25device_scan_by_key_kernelILNS0_25lookback_scan_determinismE0ELb0ENS0_26wrapped_scan_by_key_configINS_14default_configEiyEEPiN6hipcub22TransformInputIteratorIyNS7_6CastOpIyEEPylEESB_yNS7_8EqualityENS7_3MinENS0_19lookback_scan_stateINS_5tupleIJybEEELb0ELb0EEEyEEvT2_T3_T4_T5_T6_T7_T8_mmmPKNSG_IJT9_bEEE.has_dyn_sized_stack, 0
	.set _ZN7rocprim6detail25device_scan_by_key_kernelILNS0_25lookback_scan_determinismE0ELb0ENS0_26wrapped_scan_by_key_configINS_14default_configEiyEEPiN6hipcub22TransformInputIteratorIyNS7_6CastOpIyEEPylEESB_yNS7_8EqualityENS7_3MinENS0_19lookback_scan_stateINS_5tupleIJybEEELb0ELb0EEEyEEvT2_T3_T4_T5_T6_T7_T8_mmmPKNSG_IJT9_bEEE.has_recursion, 0
	.set _ZN7rocprim6detail25device_scan_by_key_kernelILNS0_25lookback_scan_determinismE0ELb0ENS0_26wrapped_scan_by_key_configINS_14default_configEiyEEPiN6hipcub22TransformInputIteratorIyNS7_6CastOpIyEEPylEESB_yNS7_8EqualityENS7_3MinENS0_19lookback_scan_stateINS_5tupleIJybEEELb0ELb0EEEyEEvT2_T3_T4_T5_T6_T7_T8_mmmPKNSG_IJT9_bEEE.has_indirect_call, 0
	.section	.AMDGPU.csdata,"",@progbits
; Kernel info:
; codeLenInByte = 14664
; TotalNumSgprs: 82
; NumVgprs: 103
; ScratchSize: 0
; MemoryBound: 0
; FloatMode: 240
; IeeeMode: 1
; LDSByteSize: 7680 bytes/workgroup (compile time only)
; SGPRBlocks: 12
; VGPRBlocks: 25
; NumSGPRsForWavesPerEU: 102
; NumVGPRsForWavesPerEU: 103
; Occupancy: 2
; WaveLimiterHint : 1
; COMPUTE_PGM_RSRC2:SCRATCH_EN: 0
; COMPUTE_PGM_RSRC2:USER_SGPR: 6
; COMPUTE_PGM_RSRC2:TRAP_HANDLER: 0
; COMPUTE_PGM_RSRC2:TGID_X_EN: 1
; COMPUTE_PGM_RSRC2:TGID_Y_EN: 0
; COMPUTE_PGM_RSRC2:TGID_Z_EN: 0
; COMPUTE_PGM_RSRC2:TIDIG_COMP_CNT: 0
	.section	.text._ZN7rocprim6detail20lookback_scan_kernelILNS0_25lookback_scan_determinismE0ELb1ENS0_19wrapped_scan_configINS_14default_configEiEEN6hipcub22TransformInputIteratorIiNS6_6CastOpIiEEPilEEPlNS6_3SumEiiNS0_19lookback_scan_stateIiLb1ELb1EEEEEvT2_T3_mT5_T4_T7_jPT6_SM_bb,"axG",@progbits,_ZN7rocprim6detail20lookback_scan_kernelILNS0_25lookback_scan_determinismE0ELb1ENS0_19wrapped_scan_configINS_14default_configEiEEN6hipcub22TransformInputIteratorIiNS6_6CastOpIiEEPilEEPlNS6_3SumEiiNS0_19lookback_scan_stateIiLb1ELb1EEEEEvT2_T3_mT5_T4_T7_jPT6_SM_bb,comdat
	.protected	_ZN7rocprim6detail20lookback_scan_kernelILNS0_25lookback_scan_determinismE0ELb1ENS0_19wrapped_scan_configINS_14default_configEiEEN6hipcub22TransformInputIteratorIiNS6_6CastOpIiEEPilEEPlNS6_3SumEiiNS0_19lookback_scan_stateIiLb1ELb1EEEEEvT2_T3_mT5_T4_T7_jPT6_SM_bb ; -- Begin function _ZN7rocprim6detail20lookback_scan_kernelILNS0_25lookback_scan_determinismE0ELb1ENS0_19wrapped_scan_configINS_14default_configEiEEN6hipcub22TransformInputIteratorIiNS6_6CastOpIiEEPilEEPlNS6_3SumEiiNS0_19lookback_scan_stateIiLb1ELb1EEEEEvT2_T3_mT5_T4_T7_jPT6_SM_bb
	.globl	_ZN7rocprim6detail20lookback_scan_kernelILNS0_25lookback_scan_determinismE0ELb1ENS0_19wrapped_scan_configINS_14default_configEiEEN6hipcub22TransformInputIteratorIiNS6_6CastOpIiEEPilEEPlNS6_3SumEiiNS0_19lookback_scan_stateIiLb1ELb1EEEEEvT2_T3_mT5_T4_T7_jPT6_SM_bb
	.p2align	8
	.type	_ZN7rocprim6detail20lookback_scan_kernelILNS0_25lookback_scan_determinismE0ELb1ENS0_19wrapped_scan_configINS_14default_configEiEEN6hipcub22TransformInputIteratorIiNS6_6CastOpIiEEPilEEPlNS6_3SumEiiNS0_19lookback_scan_stateIiLb1ELb1EEEEEvT2_T3_mT5_T4_T7_jPT6_SM_bb,@function
_ZN7rocprim6detail20lookback_scan_kernelILNS0_25lookback_scan_determinismE0ELb1ENS0_19wrapped_scan_configINS_14default_configEiEEN6hipcub22TransformInputIteratorIiNS6_6CastOpIiEEPilEEPlNS6_3SumEiiNS0_19lookback_scan_stateIiLb1ELb1EEEEEvT2_T3_mT5_T4_T7_jPT6_SM_bb: ; @_ZN7rocprim6detail20lookback_scan_kernelILNS0_25lookback_scan_determinismE0ELb1ENS0_19wrapped_scan_configINS_14default_configEiEEN6hipcub22TransformInputIteratorIiNS6_6CastOpIiEEPilEEPlNS6_3SumEiiNS0_19lookback_scan_stateIiLb1ELb1EEEEEvT2_T3_mT5_T4_T7_jPT6_SM_bb
; %bb.0:
	s_endpgm
	.section	.rodata,"a",@progbits
	.p2align	6, 0x0
	.amdhsa_kernel _ZN7rocprim6detail20lookback_scan_kernelILNS0_25lookback_scan_determinismE0ELb1ENS0_19wrapped_scan_configINS_14default_configEiEEN6hipcub22TransformInputIteratorIiNS6_6CastOpIiEEPilEEPlNS6_3SumEiiNS0_19lookback_scan_stateIiLb1ELb1EEEEEvT2_T3_mT5_T4_T7_jPT6_SM_bb
		.amdhsa_group_segment_fixed_size 0
		.amdhsa_private_segment_fixed_size 0
		.amdhsa_kernarg_size 76
		.amdhsa_user_sgpr_count 6
		.amdhsa_user_sgpr_private_segment_buffer 1
		.amdhsa_user_sgpr_dispatch_ptr 0
		.amdhsa_user_sgpr_queue_ptr 0
		.amdhsa_user_sgpr_kernarg_segment_ptr 1
		.amdhsa_user_sgpr_dispatch_id 0
		.amdhsa_user_sgpr_flat_scratch_init 0
		.amdhsa_user_sgpr_private_segment_size 0
		.amdhsa_uses_dynamic_stack 0
		.amdhsa_system_sgpr_private_segment_wavefront_offset 0
		.amdhsa_system_sgpr_workgroup_id_x 1
		.amdhsa_system_sgpr_workgroup_id_y 0
		.amdhsa_system_sgpr_workgroup_id_z 0
		.amdhsa_system_sgpr_workgroup_info 0
		.amdhsa_system_vgpr_workitem_id 0
		.amdhsa_next_free_vgpr 1
		.amdhsa_next_free_sgpr 0
		.amdhsa_reserve_vcc 0
		.amdhsa_reserve_flat_scratch 0
		.amdhsa_float_round_mode_32 0
		.amdhsa_float_round_mode_16_64 0
		.amdhsa_float_denorm_mode_32 3
		.amdhsa_float_denorm_mode_16_64 3
		.amdhsa_dx10_clamp 1
		.amdhsa_ieee_mode 1
		.amdhsa_fp16_overflow 0
		.amdhsa_exception_fp_ieee_invalid_op 0
		.amdhsa_exception_fp_denorm_src 0
		.amdhsa_exception_fp_ieee_div_zero 0
		.amdhsa_exception_fp_ieee_overflow 0
		.amdhsa_exception_fp_ieee_underflow 0
		.amdhsa_exception_fp_ieee_inexact 0
		.amdhsa_exception_int_div_zero 0
	.end_amdhsa_kernel
	.section	.text._ZN7rocprim6detail20lookback_scan_kernelILNS0_25lookback_scan_determinismE0ELb1ENS0_19wrapped_scan_configINS_14default_configEiEEN6hipcub22TransformInputIteratorIiNS6_6CastOpIiEEPilEEPlNS6_3SumEiiNS0_19lookback_scan_stateIiLb1ELb1EEEEEvT2_T3_mT5_T4_T7_jPT6_SM_bb,"axG",@progbits,_ZN7rocprim6detail20lookback_scan_kernelILNS0_25lookback_scan_determinismE0ELb1ENS0_19wrapped_scan_configINS_14default_configEiEEN6hipcub22TransformInputIteratorIiNS6_6CastOpIiEEPilEEPlNS6_3SumEiiNS0_19lookback_scan_stateIiLb1ELb1EEEEEvT2_T3_mT5_T4_T7_jPT6_SM_bb,comdat
.Lfunc_end73:
	.size	_ZN7rocprim6detail20lookback_scan_kernelILNS0_25lookback_scan_determinismE0ELb1ENS0_19wrapped_scan_configINS_14default_configEiEEN6hipcub22TransformInputIteratorIiNS6_6CastOpIiEEPilEEPlNS6_3SumEiiNS0_19lookback_scan_stateIiLb1ELb1EEEEEvT2_T3_mT5_T4_T7_jPT6_SM_bb, .Lfunc_end73-_ZN7rocprim6detail20lookback_scan_kernelILNS0_25lookback_scan_determinismE0ELb1ENS0_19wrapped_scan_configINS_14default_configEiEEN6hipcub22TransformInputIteratorIiNS6_6CastOpIiEEPilEEPlNS6_3SumEiiNS0_19lookback_scan_stateIiLb1ELb1EEEEEvT2_T3_mT5_T4_T7_jPT6_SM_bb
                                        ; -- End function
	.set _ZN7rocprim6detail20lookback_scan_kernelILNS0_25lookback_scan_determinismE0ELb1ENS0_19wrapped_scan_configINS_14default_configEiEEN6hipcub22TransformInputIteratorIiNS6_6CastOpIiEEPilEEPlNS6_3SumEiiNS0_19lookback_scan_stateIiLb1ELb1EEEEEvT2_T3_mT5_T4_T7_jPT6_SM_bb.num_vgpr, 0
	.set _ZN7rocprim6detail20lookback_scan_kernelILNS0_25lookback_scan_determinismE0ELb1ENS0_19wrapped_scan_configINS_14default_configEiEEN6hipcub22TransformInputIteratorIiNS6_6CastOpIiEEPilEEPlNS6_3SumEiiNS0_19lookback_scan_stateIiLb1ELb1EEEEEvT2_T3_mT5_T4_T7_jPT6_SM_bb.num_agpr, 0
	.set _ZN7rocprim6detail20lookback_scan_kernelILNS0_25lookback_scan_determinismE0ELb1ENS0_19wrapped_scan_configINS_14default_configEiEEN6hipcub22TransformInputIteratorIiNS6_6CastOpIiEEPilEEPlNS6_3SumEiiNS0_19lookback_scan_stateIiLb1ELb1EEEEEvT2_T3_mT5_T4_T7_jPT6_SM_bb.numbered_sgpr, 0
	.set _ZN7rocprim6detail20lookback_scan_kernelILNS0_25lookback_scan_determinismE0ELb1ENS0_19wrapped_scan_configINS_14default_configEiEEN6hipcub22TransformInputIteratorIiNS6_6CastOpIiEEPilEEPlNS6_3SumEiiNS0_19lookback_scan_stateIiLb1ELb1EEEEEvT2_T3_mT5_T4_T7_jPT6_SM_bb.num_named_barrier, 0
	.set _ZN7rocprim6detail20lookback_scan_kernelILNS0_25lookback_scan_determinismE0ELb1ENS0_19wrapped_scan_configINS_14default_configEiEEN6hipcub22TransformInputIteratorIiNS6_6CastOpIiEEPilEEPlNS6_3SumEiiNS0_19lookback_scan_stateIiLb1ELb1EEEEEvT2_T3_mT5_T4_T7_jPT6_SM_bb.private_seg_size, 0
	.set _ZN7rocprim6detail20lookback_scan_kernelILNS0_25lookback_scan_determinismE0ELb1ENS0_19wrapped_scan_configINS_14default_configEiEEN6hipcub22TransformInputIteratorIiNS6_6CastOpIiEEPilEEPlNS6_3SumEiiNS0_19lookback_scan_stateIiLb1ELb1EEEEEvT2_T3_mT5_T4_T7_jPT6_SM_bb.uses_vcc, 0
	.set _ZN7rocprim6detail20lookback_scan_kernelILNS0_25lookback_scan_determinismE0ELb1ENS0_19wrapped_scan_configINS_14default_configEiEEN6hipcub22TransformInputIteratorIiNS6_6CastOpIiEEPilEEPlNS6_3SumEiiNS0_19lookback_scan_stateIiLb1ELb1EEEEEvT2_T3_mT5_T4_T7_jPT6_SM_bb.uses_flat_scratch, 0
	.set _ZN7rocprim6detail20lookback_scan_kernelILNS0_25lookback_scan_determinismE0ELb1ENS0_19wrapped_scan_configINS_14default_configEiEEN6hipcub22TransformInputIteratorIiNS6_6CastOpIiEEPilEEPlNS6_3SumEiiNS0_19lookback_scan_stateIiLb1ELb1EEEEEvT2_T3_mT5_T4_T7_jPT6_SM_bb.has_dyn_sized_stack, 0
	.set _ZN7rocprim6detail20lookback_scan_kernelILNS0_25lookback_scan_determinismE0ELb1ENS0_19wrapped_scan_configINS_14default_configEiEEN6hipcub22TransformInputIteratorIiNS6_6CastOpIiEEPilEEPlNS6_3SumEiiNS0_19lookback_scan_stateIiLb1ELb1EEEEEvT2_T3_mT5_T4_T7_jPT6_SM_bb.has_recursion, 0
	.set _ZN7rocprim6detail20lookback_scan_kernelILNS0_25lookback_scan_determinismE0ELb1ENS0_19wrapped_scan_configINS_14default_configEiEEN6hipcub22TransformInputIteratorIiNS6_6CastOpIiEEPilEEPlNS6_3SumEiiNS0_19lookback_scan_stateIiLb1ELb1EEEEEvT2_T3_mT5_T4_T7_jPT6_SM_bb.has_indirect_call, 0
	.section	.AMDGPU.csdata,"",@progbits
; Kernel info:
; codeLenInByte = 4
; TotalNumSgprs: 4
; NumVgprs: 0
; ScratchSize: 0
; MemoryBound: 0
; FloatMode: 240
; IeeeMode: 1
; LDSByteSize: 0 bytes/workgroup (compile time only)
; SGPRBlocks: 0
; VGPRBlocks: 0
; NumSGPRsForWavesPerEU: 4
; NumVGPRsForWavesPerEU: 1
; Occupancy: 10
; WaveLimiterHint : 0
; COMPUTE_PGM_RSRC2:SCRATCH_EN: 0
; COMPUTE_PGM_RSRC2:USER_SGPR: 6
; COMPUTE_PGM_RSRC2:TRAP_HANDLER: 0
; COMPUTE_PGM_RSRC2:TGID_X_EN: 1
; COMPUTE_PGM_RSRC2:TGID_Y_EN: 0
; COMPUTE_PGM_RSRC2:TGID_Z_EN: 0
; COMPUTE_PGM_RSRC2:TIDIG_COMP_CNT: 0
	.section	.text._ZN7rocprim6detail20lookback_scan_kernelILNS0_25lookback_scan_determinismE0ELb1ENS0_19wrapped_scan_configINS_14default_configEiEEN6hipcub22TransformInputIteratorIiNS6_6CastOpIiEEPilEEPlNS6_3SumEiiNS0_19lookback_scan_stateIiLb0ELb1EEEEEvT2_T3_mT5_T4_T7_jPT6_SM_bb,"axG",@progbits,_ZN7rocprim6detail20lookback_scan_kernelILNS0_25lookback_scan_determinismE0ELb1ENS0_19wrapped_scan_configINS_14default_configEiEEN6hipcub22TransformInputIteratorIiNS6_6CastOpIiEEPilEEPlNS6_3SumEiiNS0_19lookback_scan_stateIiLb0ELb1EEEEEvT2_T3_mT5_T4_T7_jPT6_SM_bb,comdat
	.protected	_ZN7rocprim6detail20lookback_scan_kernelILNS0_25lookback_scan_determinismE0ELb1ENS0_19wrapped_scan_configINS_14default_configEiEEN6hipcub22TransformInputIteratorIiNS6_6CastOpIiEEPilEEPlNS6_3SumEiiNS0_19lookback_scan_stateIiLb0ELb1EEEEEvT2_T3_mT5_T4_T7_jPT6_SM_bb ; -- Begin function _ZN7rocprim6detail20lookback_scan_kernelILNS0_25lookback_scan_determinismE0ELb1ENS0_19wrapped_scan_configINS_14default_configEiEEN6hipcub22TransformInputIteratorIiNS6_6CastOpIiEEPilEEPlNS6_3SumEiiNS0_19lookback_scan_stateIiLb0ELb1EEEEEvT2_T3_mT5_T4_T7_jPT6_SM_bb
	.globl	_ZN7rocprim6detail20lookback_scan_kernelILNS0_25lookback_scan_determinismE0ELb1ENS0_19wrapped_scan_configINS_14default_configEiEEN6hipcub22TransformInputIteratorIiNS6_6CastOpIiEEPilEEPlNS6_3SumEiiNS0_19lookback_scan_stateIiLb0ELb1EEEEEvT2_T3_mT5_T4_T7_jPT6_SM_bb
	.p2align	8
	.type	_ZN7rocprim6detail20lookback_scan_kernelILNS0_25lookback_scan_determinismE0ELb1ENS0_19wrapped_scan_configINS_14default_configEiEEN6hipcub22TransformInputIteratorIiNS6_6CastOpIiEEPilEEPlNS6_3SumEiiNS0_19lookback_scan_stateIiLb0ELb1EEEEEvT2_T3_mT5_T4_T7_jPT6_SM_bb,@function
_ZN7rocprim6detail20lookback_scan_kernelILNS0_25lookback_scan_determinismE0ELb1ENS0_19wrapped_scan_configINS_14default_configEiEEN6hipcub22TransformInputIteratorIiNS6_6CastOpIiEEPilEEPlNS6_3SumEiiNS0_19lookback_scan_stateIiLb0ELb1EEEEEvT2_T3_mT5_T4_T7_jPT6_SM_bb: ; @_ZN7rocprim6detail20lookback_scan_kernelILNS0_25lookback_scan_determinismE0ELb1ENS0_19wrapped_scan_configINS_14default_configEiEEN6hipcub22TransformInputIteratorIiNS6_6CastOpIiEEPilEEPlNS6_3SumEiiNS0_19lookback_scan_stateIiLb0ELb1EEEEEvT2_T3_mT5_T4_T7_jPT6_SM_bb
; %bb.0:
	s_load_dword s0, s[4:5], 0x30
	s_load_dwordx2 s[30:31], s[4:5], 0x0
	s_load_dwordx4 s[24:27], s[4:5], 0x10
	s_mul_i32 s28, s6, 0xf00
	s_mov_b32 s29, 0
	s_waitcnt lgkmcnt(0)
	s_add_i32 s0, s0, -1
	s_mul_i32 s1, s0, 0xf00
	s_sub_u32 s23, s26, s1
	s_subb_u32 s33, s27, 0
	s_cmp_lg_u32 s6, s0
	s_cselect_b64 s[26:27], -1, 0
	s_lshl_b64 s[0:1], s[28:29], 2
	s_add_u32 s2, s30, s0
	s_addc_u32 s3, s31, s1
	s_mov_b64 s[0:1], -1
	s_and_b64 vcc, exec, s[26:27]
	v_lshlrev_b32_e32 v31, 2, v0
	s_cbranch_vccz .LBB74_2
; %bb.1:
	v_mov_b32_e32 v1, s3
	v_add_co_u32_e32 v5, vcc, s2, v31
	v_addc_co_u32_e32 v6, vcc, 0, v1, vcc
	v_add_co_u32_e32 v1, vcc, 0x1000, v5
	v_addc_co_u32_e32 v2, vcc, 0, v6, vcc
	;; [unrolled: 2-line block ×3, first 2 shown]
	global_load_dword v7, v31, s[2:3]
	global_load_dword v8, v31, s[2:3] offset:1024
	global_load_dword v9, v31, s[2:3] offset:2048
	;; [unrolled: 1-line block ×3, first 2 shown]
	global_load_dword v11, v[1:2], off
	global_load_dword v12, v[1:2], off offset:1024
	global_load_dword v13, v[1:2], off offset:2048
	;; [unrolled: 1-line block ×3, first 2 shown]
	global_load_dword v15, v[3:4], off
	global_load_dword v16, v[3:4], off offset:1024
	global_load_dword v17, v[3:4], off offset:2048
	;; [unrolled: 1-line block ×3, first 2 shown]
	v_add_co_u32_e32 v1, vcc, 0x3000, v5
	v_addc_co_u32_e32 v2, vcc, 0, v6, vcc
	global_load_dword v3, v[1:2], off
	global_load_dword v4, v[1:2], off offset:1024
	global_load_dword v5, v[1:2], off offset:2048
	s_mov_b64 s[0:1], 0
	s_waitcnt vmcnt(13)
	ds_write2st64_b32 v31, v7, v8 offset1:4
	s_waitcnt vmcnt(11)
	ds_write2st64_b32 v31, v9, v10 offset0:8 offset1:12
	s_waitcnt vmcnt(9)
	ds_write2st64_b32 v31, v11, v12 offset0:16 offset1:20
	;; [unrolled: 2-line block ×6, first 2 shown]
	s_waitcnt vmcnt(0)
	ds_write_b32 v31, v5 offset:14336
	s_waitcnt lgkmcnt(0)
	s_barrier
.LBB74_2:
	s_andn2_b64 vcc, exec, s[0:1]
	v_cmp_gt_u32_e64 s[0:1], s23, v0
	s_cbranch_vccnz .LBB74_34
; %bb.3:
	s_load_dword s8, s[2:3], 0x0
	v_mov_b32_e32 v1, s3
	v_add_co_u32_e32 v17, vcc, s2, v31
	v_addc_co_u32_e32 v18, vcc, 0, v1, vcc
	s_waitcnt lgkmcnt(0)
	s_mov_b32 s9, s8
	s_mov_b32 s10, s8
	s_mov_b32 s11, s8
	s_mov_b32 s12, s8
	s_mov_b32 s13, s8
	s_mov_b32 s14, s8
	s_mov_b32 s15, s8
	s_mov_b32 s16, s8
	s_mov_b32 s17, s8
	s_mov_b32 s18, s8
	s_mov_b32 s19, s8
	s_mov_b32 s20, s8
	s_mov_b32 s21, s8
	s_mov_b32 s22, s8
	v_mov_b32_e32 v1, s8
	v_mov_b32_e32 v2, s9
	;; [unrolled: 1-line block ×16, first 2 shown]
	s_and_saveexec_b64 s[2:3], s[0:1]
	s_cbranch_execz .LBB74_5
; %bb.4:
	global_load_dword v1, v[17:18], off
	v_mov_b32_e32 v2, s8
	v_mov_b32_e32 v3, s8
	;; [unrolled: 1-line block ×14, first 2 shown]
.LBB74_5:
	s_or_b64 exec, exec, s[2:3]
	v_or_b32_e32 v16, 0x100, v0
	v_cmp_gt_u32_e32 vcc, s23, v16
	s_and_saveexec_b64 s[0:1], vcc
	s_cbranch_execz .LBB74_7
; %bb.6:
	global_load_dword v2, v[17:18], off offset:1024
.LBB74_7:
	s_or_b64 exec, exec, s[0:1]
	v_or_b32_e32 v16, 0x200, v0
	v_cmp_gt_u32_e32 vcc, s23, v16
	s_and_saveexec_b64 s[0:1], vcc
	s_cbranch_execz .LBB74_9
; %bb.8:
	global_load_dword v3, v[17:18], off offset:2048
.LBB74_9:
	;; [unrolled: 8-line block ×3, first 2 shown]
	s_or_b64 exec, exec, s[0:1]
	v_or_b32_e32 v16, 0x400, v0
	v_cmp_gt_u32_e32 vcc, s23, v16
	s_and_saveexec_b64 s[0:1], vcc
	s_cbranch_execz .LBB74_13
; %bb.12:
	v_add_co_u32_e32 v19, vcc, 0x1000, v17
	v_addc_co_u32_e32 v20, vcc, 0, v18, vcc
	global_load_dword v5, v[19:20], off
.LBB74_13:
	s_or_b64 exec, exec, s[0:1]
	v_or_b32_e32 v16, 0x500, v0
	v_cmp_gt_u32_e32 vcc, s23, v16
	s_and_saveexec_b64 s[0:1], vcc
	s_cbranch_execz .LBB74_15
; %bb.14:
	v_add_co_u32_e32 v19, vcc, 0x1000, v17
	v_addc_co_u32_e32 v20, vcc, 0, v18, vcc
	global_load_dword v6, v[19:20], off offset:1024
.LBB74_15:
	s_or_b64 exec, exec, s[0:1]
	v_or_b32_e32 v16, 0x600, v0
	v_cmp_gt_u32_e32 vcc, s23, v16
	s_and_saveexec_b64 s[0:1], vcc
	s_cbranch_execz .LBB74_17
; %bb.16:
	v_add_co_u32_e32 v19, vcc, 0x1000, v17
	v_addc_co_u32_e32 v20, vcc, 0, v18, vcc
	global_load_dword v7, v[19:20], off offset:2048
.LBB74_17:
	;; [unrolled: 10-line block ×3, first 2 shown]
	s_or_b64 exec, exec, s[0:1]
	v_or_b32_e32 v16, 0x800, v0
	v_cmp_gt_u32_e32 vcc, s23, v16
	s_and_saveexec_b64 s[0:1], vcc
	s_cbranch_execz .LBB74_21
; %bb.20:
	v_add_co_u32_e32 v19, vcc, 0x2000, v17
	v_addc_co_u32_e32 v20, vcc, 0, v18, vcc
	global_load_dword v9, v[19:20], off
.LBB74_21:
	s_or_b64 exec, exec, s[0:1]
	v_or_b32_e32 v16, 0x900, v0
	v_cmp_gt_u32_e32 vcc, s23, v16
	s_and_saveexec_b64 s[0:1], vcc
	s_cbranch_execz .LBB74_23
; %bb.22:
	v_add_co_u32_e32 v19, vcc, 0x2000, v17
	v_addc_co_u32_e32 v20, vcc, 0, v18, vcc
	global_load_dword v10, v[19:20], off offset:1024
.LBB74_23:
	s_or_b64 exec, exec, s[0:1]
	v_or_b32_e32 v16, 0xa00, v0
	v_cmp_gt_u32_e32 vcc, s23, v16
	s_and_saveexec_b64 s[0:1], vcc
	s_cbranch_execz .LBB74_25
; %bb.24:
	v_add_co_u32_e32 v19, vcc, 0x2000, v17
	v_addc_co_u32_e32 v20, vcc, 0, v18, vcc
	global_load_dword v11, v[19:20], off offset:2048
.LBB74_25:
	;; [unrolled: 10-line block ×3, first 2 shown]
	s_or_b64 exec, exec, s[0:1]
	v_or_b32_e32 v16, 0xc00, v0
	v_cmp_gt_u32_e32 vcc, s23, v16
	s_and_saveexec_b64 s[0:1], vcc
	s_cbranch_execz .LBB74_29
; %bb.28:
	v_add_co_u32_e32 v19, vcc, 0x3000, v17
	v_addc_co_u32_e32 v20, vcc, 0, v18, vcc
	global_load_dword v13, v[19:20], off
.LBB74_29:
	s_or_b64 exec, exec, s[0:1]
	v_or_b32_e32 v16, 0xd00, v0
	v_cmp_gt_u32_e32 vcc, s23, v16
	s_and_saveexec_b64 s[0:1], vcc
	s_cbranch_execz .LBB74_31
; %bb.30:
	v_add_co_u32_e32 v19, vcc, 0x3000, v17
	v_addc_co_u32_e32 v20, vcc, 0, v18, vcc
	global_load_dword v14, v[19:20], off offset:1024
.LBB74_31:
	s_or_b64 exec, exec, s[0:1]
	v_or_b32_e32 v16, 0xe00, v0
	v_cmp_gt_u32_e32 vcc, s23, v16
	s_and_saveexec_b64 s[0:1], vcc
	s_cbranch_execz .LBB74_33
; %bb.32:
	v_add_co_u32_e32 v15, vcc, 0x3000, v17
	v_addc_co_u32_e32 v16, vcc, 0, v18, vcc
	global_load_dword v15, v[15:16], off offset:2048
.LBB74_33:
	s_or_b64 exec, exec, s[0:1]
	s_waitcnt vmcnt(0)
	ds_write2st64_b32 v31, v1, v2 offset1:4
	ds_write2st64_b32 v31, v3, v4 offset0:8 offset1:12
	ds_write2st64_b32 v31, v5, v6 offset0:16 offset1:20
	;; [unrolled: 1-line block ×6, first 2 shown]
	ds_write_b32 v31, v15 offset:14336
	s_waitcnt lgkmcnt(0)
	s_barrier
.LBB74_34:
	s_load_dwordx2 s[8:9], s[4:5], 0x28
	v_mul_u32_u24_e32 v32, 60, v0
	s_waitcnt lgkmcnt(0)
	ds_read2_b32 v[29:30], v32 offset1:1
	ds_read2_b32 v[27:28], v32 offset0:2 offset1:3
	ds_read2_b32 v[25:26], v32 offset0:4 offset1:5
	;; [unrolled: 1-line block ×6, first 2 shown]
	ds_read_b32 v33, v32 offset:56
	s_waitcnt lgkmcnt(6)
	v_add3_u32 v1, v30, v29, v27
	s_cmp_lg_u32 s6, 0
	s_waitcnt lgkmcnt(5)
	v_add3_u32 v35, v1, v28, v25
	v_lshrrev_b32_e32 v34, 3, v0
	v_cmp_gt_u32_e32 vcc, 64, v0
	s_waitcnt lgkmcnt(0)
	s_barrier
	s_cbranch_scc0 .LBB74_54
; %bb.35:
	v_add3_u32 v1, v35, v26, v23
	v_add3_u32 v1, v1, v24, v21
	;; [unrolled: 1-line block ×4, first 2 shown]
	v_and_b32_e32 v2, 28, v34
	v_add3_u32 v1, v1, v18, v33
	v_lshl_add_u32 v2, v0, 2, v2
	ds_write_b32 v2, v1
	s_waitcnt lgkmcnt(0)
	s_barrier
	s_and_saveexec_b64 s[2:3], vcc
	s_cbranch_execz .LBB74_37
; %bb.36:
	v_lshrrev_b32_e32 v2, 1, v0
	v_and_b32_e32 v2, 0x7c, v2
	v_lshl_add_u32 v6, v0, 4, v2
	ds_read2_b32 v[2:3], v6 offset1:1
	ds_read2_b32 v[4:5], v6 offset0:2 offset1:3
	v_mbcnt_lo_u32_b32 v7, -1, 0
	v_mbcnt_hi_u32_b32 v7, -1, v7
	v_and_b32_e32 v8, 15, v7
	s_waitcnt lgkmcnt(1)
	v_add_u32_e32 v9, v3, v2
	s_waitcnt lgkmcnt(0)
	v_add3_u32 v9, v9, v4, v5
	v_cmp_ne_u32_e64 s[0:1], 0, v8
	s_nop 0
	v_mov_b32_dpp v10, v9 row_shr:1 row_mask:0xf bank_mask:0xf
	v_cndmask_b32_e64 v10, 0, v10, s[0:1]
	v_add_u32_e32 v9, v10, v9
	v_cmp_lt_u32_e64 s[0:1], 1, v8
	s_nop 0
	v_mov_b32_dpp v10, v9 row_shr:2 row_mask:0xf bank_mask:0xf
	v_cndmask_b32_e64 v10, 0, v10, s[0:1]
	v_add_u32_e32 v9, v9, v10
	v_cmp_lt_u32_e64 s[0:1], 3, v8
	;; [unrolled: 5-line block ×3, first 2 shown]
	s_nop 0
	v_mov_b32_dpp v10, v9 row_shr:8 row_mask:0xf bank_mask:0xf
	v_cndmask_b32_e64 v8, 0, v10, s[0:1]
	v_add_u32_e32 v8, v9, v8
	v_bfe_i32 v10, v7, 4, 1
	v_cmp_lt_u32_e64 s[0:1], 31, v7
	v_mov_b32_dpp v9, v8 row_bcast:15 row_mask:0xf bank_mask:0xf
	v_and_b32_e32 v9, v10, v9
	v_add_u32_e32 v8, v8, v9
	v_and_b32_e32 v10, 64, v7
	s_nop 0
	v_mov_b32_dpp v9, v8 row_bcast:31 row_mask:0xf bank_mask:0xf
	v_cndmask_b32_e64 v9, 0, v9, s[0:1]
	v_add_u32_e32 v8, v8, v9
	v_add_u32_e32 v9, -1, v7
	v_cmp_lt_i32_e64 s[0:1], v9, v10
	v_cndmask_b32_e64 v7, v9, v7, s[0:1]
	v_lshlrev_b32_e32 v7, 2, v7
	ds_bpermute_b32 v7, v7, v8
	v_cmp_eq_u32_e64 s[0:1], 0, v0
	s_waitcnt lgkmcnt(0)
	v_add_u32_e32 v2, v7, v2
	v_cndmask_b32_e64 v1, v2, v1, s[0:1]
	v_add_u32_e32 v2, v1, v3
	ds_write2_b32 v6, v1, v2 offset1:1
	v_add_u32_e32 v1, v2, v4
	v_add_u32_e32 v2, v1, v5
	ds_write2_b32 v6, v1, v2 offset0:2 offset1:3
.LBB74_37:
	s_or_b64 exec, exec, s[2:3]
	v_mov_b32_e32 v10, 0
	v_cmp_eq_u32_e64 s[0:1], 0, v0
	v_cmp_ne_u32_e64 s[2:3], 0, v0
	s_waitcnt lgkmcnt(0)
	s_barrier
	s_and_saveexec_b64 s[10:11], s[2:3]
; %bb.38:
	v_add_u32_e32 v1, -1, v0
	v_lshrrev_b32_e32 v2, 3, v1
	v_and_b32_e32 v2, 0x1ffffffc, v2
	v_lshl_add_u32 v1, v1, 2, v2
	ds_read_b32 v10, v1
; %bb.39:
	s_or_b64 exec, exec, s[10:11]
	s_and_saveexec_b64 s[10:11], vcc
	s_cbranch_execz .LBB74_59
; %bb.40:
	v_mov_b32_e32 v6, 0
	ds_read_b32 v1, v6 offset:1048
	v_mbcnt_lo_u32_b32 v2, -1, 0
	v_mbcnt_hi_u32_b32 v3, -1, v2
	s_mov_b32 s15, 0
	v_cmp_eq_u32_e64 s[2:3], 0, v3
	s_and_saveexec_b64 s[12:13], s[2:3]
	s_cbranch_execz .LBB74_42
; %bb.41:
	s_add_i32 s14, s6, 64
	s_lshl_b64 s[14:15], s[14:15], 3
	s_add_u32 s14, s8, s14
	v_mov_b32_e32 v2, 1
	s_addc_u32 s15, s9, s15
	s_waitcnt lgkmcnt(0)
	global_store_dwordx2 v6, v[1:2], s[14:15]
.LBB74_42:
	s_or_b64 exec, exec, s[12:13]
	v_xad_u32 v2, v3, -1, s6
	v_add_u32_e32 v5, 64, v2
	v_lshlrev_b64 v[4:5], 3, v[5:6]
	v_mov_b32_e32 v8, s9
	v_add_co_u32_e32 v7, vcc, s8, v4
	v_addc_co_u32_e32 v8, vcc, v8, v5, vcc
	global_load_dwordx2 v[4:5], v[7:8], off glc
	s_waitcnt vmcnt(0)
	v_cmp_eq_u16_sdwa s[14:15], v5, v6 src0_sel:BYTE_0 src1_sel:DWORD
	s_and_saveexec_b64 s[12:13], s[14:15]
	s_cbranch_execz .LBB74_46
; %bb.43:
	s_mov_b64 s[14:15], 0
	v_mov_b32_e32 v6, 0
.LBB74_44:                              ; =>This Inner Loop Header: Depth=1
	global_load_dwordx2 v[4:5], v[7:8], off glc
	s_waitcnt vmcnt(0)
	v_cmp_ne_u16_sdwa s[16:17], v5, v6 src0_sel:BYTE_0 src1_sel:DWORD
	s_or_b64 s[14:15], s[16:17], s[14:15]
	s_andn2_b64 exec, exec, s[14:15]
	s_cbranch_execnz .LBB74_44
; %bb.45:
	s_or_b64 exec, exec, s[14:15]
.LBB74_46:
	s_or_b64 exec, exec, s[12:13]
	v_and_b32_e32 v37, 63, v3
	v_mov_b32_e32 v11, 2
	v_lshlrev_b64 v[6:7], v3, -1
	v_cmp_ne_u32_e32 vcc, 63, v37
	v_cmp_eq_u16_sdwa s[12:13], v5, v11 src0_sel:BYTE_0 src1_sel:DWORD
	v_addc_co_u32_e32 v12, vcc, 0, v3, vcc
	v_and_b32_e32 v8, s13, v7
	v_lshlrev_b32_e32 v12, 2, v12
	v_or_b32_e32 v8, 0x80000000, v8
	ds_bpermute_b32 v14, v12, v4
	v_and_b32_e32 v9, s12, v6
	v_ffbl_b32_e32 v8, v8
	v_add_u32_e32 v8, 32, v8
	v_ffbl_b32_e32 v9, v9
	v_min_u32_e32 v8, v9, v8
	v_add_u32_e32 v13, 1, v3
	v_cmp_le_u32_e32 vcc, v13, v8
	s_waitcnt lgkmcnt(0)
	v_cndmask_b32_e32 v9, 0, v14, vcc
	v_cmp_gt_u32_e32 vcc, 62, v37
	v_add_u32_e32 v4, v9, v4
	v_cndmask_b32_e64 v9, 0, 2, vcc
	v_add_lshl_u32 v14, v9, v3, 2
	ds_bpermute_b32 v9, v14, v4
	v_add_u32_e32 v15, 2, v3
	v_cmp_le_u32_e32 vcc, v15, v8
	v_add_u32_e32 v36, 4, v3
	v_add_u32_e32 v39, 8, v3
	s_waitcnt lgkmcnt(0)
	v_cndmask_b32_e32 v9, 0, v9, vcc
	v_cmp_gt_u32_e32 vcc, 60, v37
	v_add_u32_e32 v4, v4, v9
	v_cndmask_b32_e64 v9, 0, 4, vcc
	v_add_lshl_u32 v16, v9, v3, 2
	ds_bpermute_b32 v9, v16, v4
	v_cmp_le_u32_e32 vcc, v36, v8
	v_add_u32_e32 v41, 16, v3
	v_add_u32_e32 v43, 32, v3
	s_waitcnt lgkmcnt(0)
	v_cndmask_b32_e32 v9, 0, v9, vcc
	v_cmp_gt_u32_e32 vcc, 56, v37
	v_add_u32_e32 v4, v4, v9
	v_cndmask_b32_e64 v9, 0, 8, vcc
	v_add_lshl_u32 v38, v9, v3, 2
	ds_bpermute_b32 v9, v38, v4
	v_cmp_le_u32_e32 vcc, v39, v8
	s_waitcnt lgkmcnt(0)
	v_cndmask_b32_e32 v9, 0, v9, vcc
	v_cmp_gt_u32_e32 vcc, 48, v37
	v_add_u32_e32 v4, v4, v9
	v_cndmask_b32_e64 v9, 0, 16, vcc
	v_add_lshl_u32 v40, v9, v3, 2
	ds_bpermute_b32 v9, v40, v4
	v_cmp_le_u32_e32 vcc, v41, v8
	s_waitcnt lgkmcnt(0)
	v_cndmask_b32_e32 v9, 0, v9, vcc
	v_add_u32_e32 v4, v4, v9
	v_mov_b32_e32 v9, 0x80
	v_lshl_or_b32 v42, v3, 2, v9
	ds_bpermute_b32 v9, v42, v4
	v_cmp_le_u32_e32 vcc, v43, v8
	s_waitcnt lgkmcnt(0)
	v_cndmask_b32_e32 v3, 0, v9, vcc
	v_add_u32_e32 v4, v4, v3
	v_mov_b32_e32 v3, 0
	s_branch .LBB74_50
.LBB74_47:                              ;   in Loop: Header=BB74_50 Depth=1
	s_or_b64 exec, exec, s[14:15]
.LBB74_48:                              ;   in Loop: Header=BB74_50 Depth=1
	s_or_b64 exec, exec, s[12:13]
	v_cmp_eq_u16_sdwa s[12:13], v5, v11 src0_sel:BYTE_0 src1_sel:DWORD
	v_and_b32_e32 v8, s13, v7
	v_or_b32_e32 v8, 0x80000000, v8
	ds_bpermute_b32 v44, v12, v4
	v_and_b32_e32 v9, s12, v6
	v_ffbl_b32_e32 v8, v8
	v_add_u32_e32 v8, 32, v8
	v_ffbl_b32_e32 v9, v9
	v_min_u32_e32 v8, v9, v8
	v_cmp_le_u32_e32 vcc, v13, v8
	s_waitcnt lgkmcnt(0)
	v_cndmask_b32_e32 v9, 0, v44, vcc
	v_add_u32_e32 v4, v9, v4
	ds_bpermute_b32 v9, v14, v4
	v_cmp_le_u32_e32 vcc, v15, v8
	v_subrev_u32_e32 v2, 64, v2
	s_mov_b64 s[12:13], 0
	s_waitcnt lgkmcnt(0)
	v_cndmask_b32_e32 v9, 0, v9, vcc
	v_add_u32_e32 v4, v4, v9
	ds_bpermute_b32 v9, v16, v4
	v_cmp_le_u32_e32 vcc, v36, v8
	s_waitcnt lgkmcnt(0)
	v_cndmask_b32_e32 v9, 0, v9, vcc
	v_add_u32_e32 v4, v4, v9
	ds_bpermute_b32 v9, v38, v4
	v_cmp_le_u32_e32 vcc, v39, v8
	;; [unrolled: 5-line block ×4, first 2 shown]
	s_waitcnt lgkmcnt(0)
	v_cndmask_b32_e32 v8, 0, v9, vcc
	v_add3_u32 v4, v8, v37, v4
.LBB74_49:                              ;   in Loop: Header=BB74_50 Depth=1
	s_and_b64 vcc, exec, s[12:13]
	s_cbranch_vccnz .LBB74_55
.LBB74_50:                              ; =>This Loop Header: Depth=1
                                        ;     Child Loop BB74_53 Depth 2
	v_cmp_ne_u16_sdwa s[12:13], v5, v11 src0_sel:BYTE_0 src1_sel:DWORD
	v_mov_b32_e32 v37, v4
	s_cmp_lg_u64 s[12:13], exec
	s_mov_b64 s[12:13], -1
                                        ; implicit-def: $vgpr4
                                        ; implicit-def: $vgpr5
	s_cbranch_scc1 .LBB74_49
; %bb.51:                               ;   in Loop: Header=BB74_50 Depth=1
	v_lshlrev_b64 v[4:5], 3, v[2:3]
	v_mov_b32_e32 v9, s9
	v_add_co_u32_e32 v8, vcc, s8, v4
	v_addc_co_u32_e32 v9, vcc, v9, v5, vcc
	global_load_dwordx2 v[4:5], v[8:9], off glc
	s_waitcnt vmcnt(0)
	v_cmp_eq_u16_sdwa s[14:15], v5, v3 src0_sel:BYTE_0 src1_sel:DWORD
	s_and_saveexec_b64 s[12:13], s[14:15]
	s_cbranch_execz .LBB74_48
; %bb.52:                               ;   in Loop: Header=BB74_50 Depth=1
	s_mov_b64 s[14:15], 0
.LBB74_53:                              ;   Parent Loop BB74_50 Depth=1
                                        ; =>  This Inner Loop Header: Depth=2
	global_load_dwordx2 v[4:5], v[8:9], off glc
	s_waitcnt vmcnt(0)
	v_cmp_ne_u16_sdwa s[16:17], v5, v3 src0_sel:BYTE_0 src1_sel:DWORD
	s_or_b64 s[14:15], s[16:17], s[14:15]
	s_andn2_b64 exec, exec, s[14:15]
	s_cbranch_execnz .LBB74_53
	s_branch .LBB74_47
.LBB74_54:
                                        ; implicit-def: $vgpr1_vgpr2_vgpr3_vgpr4_vgpr5_vgpr6_vgpr7_vgpr8_vgpr9_vgpr10_vgpr11_vgpr12_vgpr13_vgpr14_vgpr15_vgpr16
	s_load_dwordx4 s[0:3], s[4:5], 0x38
	s_cbranch_execnz .LBB74_60
	s_branch .LBB74_69
.LBB74_55:
	s_and_saveexec_b64 s[12:13], s[2:3]
	s_cbranch_execz .LBB74_57
; %bb.56:
	s_add_i32 s2, s6, 64
	s_mov_b32 s3, 0
	s_lshl_b64 s[2:3], s[2:3], 3
	s_add_u32 s2, s8, s2
	v_add_u32_e32 v1, v37, v1
	v_mov_b32_e32 v2, 2
	s_addc_u32 s3, s9, s3
	v_mov_b32_e32 v3, 0
	global_store_dwordx2 v3, v[1:2], s[2:3]
.LBB74_57:
	s_or_b64 exec, exec, s[12:13]
	s_and_b64 exec, exec, s[0:1]
; %bb.58:
	v_mov_b32_e32 v1, 0
	ds_write_b32 v1, v37
.LBB74_59:
	s_or_b64 exec, exec, s[10:11]
	v_mov_b32_e32 v1, 0
	s_waitcnt vmcnt(0) lgkmcnt(0)
	s_barrier
	ds_read_b32 v1, v1
	s_waitcnt lgkmcnt(0)
	v_add_u32_e32 v1, v1, v10
	v_add_u32_e32 v2, v1, v29
	;; [unrolled: 1-line block ×15, first 2 shown]
	s_load_dwordx4 s[0:3], s[4:5], 0x38
	s_branch .LBB74_69
.LBB74_60:
	s_load_dword s6, s[4:5], 0x48
	s_load_dword s7, s[4:5], 0x20
	s_waitcnt lgkmcnt(0)
	s_bitcmp0_b32 s6, 0
	v_mov_b32_e32 v16, s7
	s_cbranch_scc1 .LBB74_62
; %bb.61:
	v_mov_b32_e32 v1, 0
	global_load_dword v2, v1, s[30:31] offset:-4
	global_load_dword v3, v1, s[0:1]
	s_waitcnt vmcnt(0)
	v_add_u32_e32 v16, v3, v2
.LBB74_62:
	v_add3_u32 v1, v35, v26, v23
	v_add3_u32 v1, v1, v24, v21
	;; [unrolled: 1-line block ×4, first 2 shown]
	v_and_b32_e32 v2, 28, v34
	v_add3_u32 v1, v1, v18, v33
	v_lshl_add_u32 v2, v0, 2, v2
	v_cmp_gt_u32_e32 vcc, 64, v0
	ds_write_b32 v2, v1
	s_waitcnt lgkmcnt(0)
	s_barrier
	s_and_saveexec_b64 s[0:1], vcc
	s_cbranch_execz .LBB74_64
; %bb.63:
	v_lshrrev_b32_e32 v2, 1, v0
	v_and_b32_e32 v2, 0x7c, v2
	v_lshl_add_u32 v6, v0, 4, v2
	ds_read2_b32 v[2:3], v6 offset1:1
	ds_read2_b32 v[4:5], v6 offset0:2 offset1:3
	v_mbcnt_lo_u32_b32 v7, -1, 0
	v_mbcnt_hi_u32_b32 v7, -1, v7
	v_and_b32_e32 v8, 15, v7
	s_waitcnt lgkmcnt(1)
	v_add_u32_e32 v9, v3, v2
	s_waitcnt lgkmcnt(0)
	v_add3_u32 v9, v9, v4, v5
	v_cmp_ne_u32_e32 vcc, 0, v8
	s_nop 0
	v_mov_b32_dpp v10, v9 row_shr:1 row_mask:0xf bank_mask:0xf
	v_cndmask_b32_e32 v10, 0, v10, vcc
	v_add_u32_e32 v9, v10, v9
	v_cmp_lt_u32_e32 vcc, 1, v8
	s_nop 0
	v_mov_b32_dpp v10, v9 row_shr:2 row_mask:0xf bank_mask:0xf
	v_cndmask_b32_e32 v10, 0, v10, vcc
	v_add_u32_e32 v9, v9, v10
	v_cmp_lt_u32_e32 vcc, 3, v8
	;; [unrolled: 5-line block ×3, first 2 shown]
	s_nop 0
	v_mov_b32_dpp v10, v9 row_shr:8 row_mask:0xf bank_mask:0xf
	v_cndmask_b32_e32 v8, 0, v10, vcc
	v_add_u32_e32 v8, v9, v8
	v_bfe_i32 v10, v7, 4, 1
	v_cmp_lt_u32_e32 vcc, 31, v7
	v_mov_b32_dpp v9, v8 row_bcast:15 row_mask:0xf bank_mask:0xf
	v_and_b32_e32 v9, v10, v9
	v_add_u32_e32 v8, v8, v9
	v_and_b32_e32 v10, 64, v7
	s_nop 0
	v_mov_b32_dpp v9, v8 row_bcast:31 row_mask:0xf bank_mask:0xf
	v_cndmask_b32_e32 v9, 0, v9, vcc
	v_add_u32_e32 v8, v8, v9
	v_add_u32_e32 v9, -1, v7
	v_cmp_lt_i32_e32 vcc, v9, v10
	v_cndmask_b32_e32 v7, v9, v7, vcc
	v_lshlrev_b32_e32 v7, 2, v7
	ds_bpermute_b32 v7, v7, v8
	v_cmp_eq_u32_e32 vcc, 0, v0
	s_waitcnt lgkmcnt(0)
	v_add_u32_e32 v2, v7, v2
	v_cndmask_b32_e32 v1, v2, v1, vcc
	v_add_u32_e32 v2, v1, v3
	ds_write2_b32 v6, v1, v2 offset1:1
	v_add_u32_e32 v1, v2, v4
	v_add_u32_e32 v2, v1, v5
	ds_write2_b32 v6, v1, v2 offset0:2 offset1:3
.LBB74_64:
	s_or_b64 exec, exec, s[0:1]
	v_cmp_eq_u32_e32 vcc, 0, v0
	v_cmp_ne_u32_e64 s[0:1], 0, v0
	v_mov_b32_e32 v1, v16
	s_waitcnt lgkmcnt(0)
	s_barrier
	s_and_saveexec_b64 s[6:7], s[0:1]
	s_cbranch_execz .LBB74_66
; %bb.65:
	v_add_u32_e32 v1, -1, v0
	v_lshrrev_b32_e32 v2, 3, v1
	v_and_b32_e32 v2, 0x1ffffffc, v2
	v_lshl_add_u32 v1, v1, 2, v2
	ds_read_b32 v1, v1
	s_waitcnt lgkmcnt(0)
	v_add_u32_e32 v1, v1, v16
.LBB74_66:
	s_or_b64 exec, exec, s[6:7]
	v_add_u32_e32 v2, v1, v29
	v_add_u32_e32 v3, v2, v30
	;; [unrolled: 1-line block ×14, first 2 shown]
	s_and_saveexec_b64 s[0:1], vcc
	s_cbranch_execz .LBB74_68
; %bb.67:
	v_mov_b32_e32 v18, 0
	ds_read_b32 v17, v18 offset:1048
	s_waitcnt lgkmcnt(0)
	v_add_u32_e32 v16, v17, v16
	v_mov_b32_e32 v17, 2
	global_store_dwordx2 v18, v[16:17], s[8:9] offset:512
.LBB74_68:
	s_or_b64 exec, exec, s[0:1]
.LBB74_69:
	s_waitcnt lgkmcnt(0)
	s_lshl_b64 s[0:1], s[28:29], 3
	s_add_u32 s0, s24, s0
	s_addc_u32 s1, s25, s1
	s_mov_b64 s[6:7], -1
	s_and_b64 vcc, exec, s[26:27]
	v_lshlrev_b32_e32 v17, 3, v0
	s_waitcnt vmcnt(0)
	s_barrier
	s_cbranch_vccz .LBB74_71
; %bb.70:
	ds_write2_b32 v32, v1, v2 offset1:1
	ds_write2_b32 v32, v3, v4 offset0:2 offset1:3
	ds_write2_b32 v32, v5, v6 offset0:4 offset1:5
	;; [unrolled: 1-line block ×6, first 2 shown]
	ds_write_b32 v32, v15 offset:56
	s_waitcnt lgkmcnt(0)
	s_barrier
	ds_read2st64_b32 v[18:19], v31 offset1:4
	ds_read2st64_b32 v[20:21], v31 offset0:8 offset1:12
	ds_read2st64_b32 v[26:27], v31 offset0:16 offset1:20
	;; [unrolled: 1-line block ×3, first 2 shown]
	v_mov_b32_e32 v16, s1
	s_waitcnt lgkmcnt(3)
	v_ashrrev_i32_e32 v23, 31, v18
	v_mov_b32_e32 v22, v18
	v_ashrrev_i32_e32 v25, 31, v19
	v_mov_b32_e32 v24, v19
	s_waitcnt lgkmcnt(2)
	v_ashrrev_i32_e32 v19, 31, v20
	v_mov_b32_e32 v18, v20
	v_ashrrev_i32_e32 v29, 31, v21
	v_mov_b32_e32 v28, v21
	ds_read2st64_b32 v[20:21], v31 offset0:24 offset1:28
	s_waitcnt lgkmcnt(2)
	v_ashrrev_i32_e32 v34, 31, v26
	v_mov_b32_e32 v33, v26
	v_ashrrev_i32_e32 v36, 31, v27
	v_mov_b32_e32 v35, v27
	s_waitcnt lgkmcnt(0)
	v_ashrrev_i32_e32 v27, 31, v20
	v_mov_b32_e32 v26, v20
	v_ashrrev_i32_e32 v40, 31, v21
	v_mov_b32_e32 v39, v21
	ds_read2st64_b32 v[20:21], v31 offset0:40 offset1:44
	v_add_co_u32_e32 v30, vcc, s0, v17
	v_addc_co_u32_e32 v16, vcc, 0, v16, vcc
	s_movk_i32 s6, 0x1000
	v_ashrrev_i32_e32 v42, 31, v37
	v_mov_b32_e32 v41, v37
	v_ashrrev_i32_e32 v44, 31, v38
	v_mov_b32_e32 v43, v38
	s_waitcnt lgkmcnt(0)
	v_ashrrev_i32_e32 v38, 31, v20
	ds_read2st64_b32 v[45:46], v31 offset0:48 offset1:52
	v_mov_b32_e32 v37, v20
	ds_read_b32 v20, v31 offset:14336
	global_store_dwordx2 v17, v[22:23], s[0:1]
	global_store_dwordx2 v17, v[24:25], s[0:1] offset:2048
	v_add_co_u32_e32 v22, vcc, s6, v30
	v_addc_co_u32_e32 v23, vcc, 0, v16, vcc
	s_movk_i32 s6, 0x2000
	v_add_co_u32_e32 v24, vcc, s6, v30
	v_addc_co_u32_e32 v25, vcc, 0, v16, vcc
	s_movk_i32 s6, 0x3000
	global_store_dwordx2 v[24:25], v[18:19], off offset:-4096
	global_store_dwordx2 v[22:23], v[28:29], off offset:2048
	global_store_dwordx2 v[24:25], v[33:34], off
	global_store_dwordx2 v[24:25], v[35:36], off offset:2048
	v_add_co_u32_e32 v18, vcc, s6, v30
	v_addc_co_u32_e32 v19, vcc, 0, v16, vcc
	s_movk_i32 s6, 0x4000
	v_add_co_u32_e32 v22, vcc, s6, v30
	v_addc_co_u32_e32 v23, vcc, 0, v16, vcc
	s_movk_i32 s6, 0x5000
	global_store_dwordx2 v[22:23], v[26:27], off offset:-4096
	global_store_dwordx2 v[18:19], v[39:40], off offset:2048
	global_store_dwordx2 v[22:23], v[41:42], off
	global_store_dwordx2 v[22:23], v[43:44], off offset:2048
	v_add_co_u32_e32 v18, vcc, s6, v30
	v_addc_co_u32_e32 v19, vcc, 0, v16, vcc
	v_ashrrev_i32_e32 v48, 31, v21
	v_mov_b32_e32 v47, v21
	global_store_dwordx2 v[18:19], v[37:38], off
	global_store_dwordx2 v[18:19], v[47:48], off offset:2048
	v_add_co_u32_e32 v18, vcc, 0x6000, v30
	s_waitcnt lgkmcnt(1)
	v_ashrrev_i32_e32 v50, 31, v45
	v_mov_b32_e32 v49, v45
	v_addc_co_u32_e32 v19, vcc, 0, v16, vcc
	v_ashrrev_i32_e32 v52, 31, v46
	v_mov_b32_e32 v51, v46
	global_store_dwordx2 v[18:19], v[49:50], off
	global_store_dwordx2 v[18:19], v[51:52], off offset:2048
	v_add_co_u32_e32 v18, vcc, 0x7000, v30
	s_waitcnt lgkmcnt(0)
	v_ashrrev_i32_e32 v21, 31, v20
	v_addc_co_u32_e32 v19, vcc, 0, v16, vcc
	global_store_dwordx2 v[18:19], v[20:21], off
	s_mov_b64 s[6:7], 0
.LBB74_71:
	s_andn2_b64 vcc, exec, s[6:7]
	s_cbranch_vccnz .LBB74_157
; %bb.72:
	ds_write2_b32 v32, v1, v2 offset1:1
	ds_write2_b32 v32, v3, v4 offset0:2 offset1:3
	ds_write2_b32 v32, v5, v6 offset0:4 offset1:5
	;; [unrolled: 1-line block ×6, first 2 shown]
	ds_write_b32 v32, v15 offset:56
	s_waitcnt vmcnt(0) lgkmcnt(0)
	s_barrier
	ds_read2st64_b32 v[2:3], v31 offset1:4
	ds_read2st64_b32 v[6:7], v31 offset0:8 offset1:12
	ds_read2st64_b32 v[8:9], v31 offset0:16 offset1:20
	;; [unrolled: 1-line block ×6, first 2 shown]
	ds_read_b32 v16, v31 offset:14336
	v_mov_b32_e32 v19, s1
	v_add_co_u32_e32 v18, vcc, s0, v17
	v_addc_co_u32_e32 v19, vcc, 0, v19, vcc
	v_mov_b32_e32 v1, 0
	v_cmp_gt_u32_e32 vcc, s23, v0
	s_and_saveexec_b64 s[0:1], vcc
	s_cbranch_execz .LBB74_74
; %bb.73:
	s_waitcnt lgkmcnt(7)
	v_ashrrev_i32_e32 v21, 31, v2
	v_mov_b32_e32 v20, v2
	global_store_dwordx2 v[18:19], v[20:21], off
.LBB74_74:
	s_or_b64 exec, exec, s[0:1]
	v_or_b32_e32 v17, 0x100, v0
	v_cmp_gt_u32_e32 vcc, s23, v17
	s_and_saveexec_b64 s[0:1], vcc
	s_cbranch_execz .LBB74_76
; %bb.75:
	s_waitcnt lgkmcnt(7)
	v_ashrrev_i32_e32 v21, 31, v3
	v_mov_b32_e32 v20, v3
	global_store_dwordx2 v[18:19], v[20:21], off offset:2048
.LBB74_76:
	s_or_b64 exec, exec, s[0:1]
	v_or_b32_e32 v17, 0x200, v0
	v_cmp_gt_u32_e32 vcc, s23, v17
	s_and_saveexec_b64 s[0:1], vcc
	s_cbranch_execz .LBB74_78
; %bb.77:
	v_add_co_u32_e32 v22, vcc, 0x1000, v18
	s_waitcnt lgkmcnt(6)
	v_ashrrev_i32_e32 v21, 31, v6
	v_mov_b32_e32 v20, v6
	v_addc_co_u32_e32 v23, vcc, 0, v19, vcc
	global_store_dwordx2 v[22:23], v[20:21], off
.LBB74_78:
	s_or_b64 exec, exec, s[0:1]
	v_or_b32_e32 v17, 0x300, v0
	v_cmp_gt_u32_e32 vcc, s23, v17
	s_and_saveexec_b64 s[0:1], vcc
	s_cbranch_execz .LBB74_80
; %bb.79:
	v_add_co_u32_e32 v22, vcc, 0x1000, v18
	s_waitcnt lgkmcnt(6)
	v_ashrrev_i32_e32 v21, 31, v7
	v_mov_b32_e32 v20, v7
	v_addc_co_u32_e32 v23, vcc, 0, v19, vcc
	global_store_dwordx2 v[22:23], v[20:21], off offset:2048
.LBB74_80:
	s_or_b64 exec, exec, s[0:1]
	v_or_b32_e32 v17, 0x400, v0
	v_cmp_gt_u32_e32 vcc, s23, v17
	s_and_saveexec_b64 s[0:1], vcc
	s_cbranch_execz .LBB74_82
; %bb.81:
	v_add_co_u32_e32 v22, vcc, 0x2000, v18
	s_waitcnt lgkmcnt(5)
	v_ashrrev_i32_e32 v21, 31, v8
	v_mov_b32_e32 v20, v8
	v_addc_co_u32_e32 v23, vcc, 0, v19, vcc
	global_store_dwordx2 v[22:23], v[20:21], off
.LBB74_82:
	s_or_b64 exec, exec, s[0:1]
	v_or_b32_e32 v17, 0x500, v0
	v_cmp_gt_u32_e32 vcc, s23, v17
	s_and_saveexec_b64 s[0:1], vcc
	s_cbranch_execz .LBB74_84
; %bb.83:
	v_add_co_u32_e32 v22, vcc, 0x2000, v18
	s_waitcnt lgkmcnt(5)
	v_ashrrev_i32_e32 v21, 31, v9
	v_mov_b32_e32 v20, v9
	v_addc_co_u32_e32 v23, vcc, 0, v19, vcc
	global_store_dwordx2 v[22:23], v[20:21], off offset:2048
.LBB74_84:
	;; [unrolled: 26-line block ×6, first 2 shown]
	s_or_b64 exec, exec, s[0:1]
	v_or_b32_e32 v17, 0xe00, v0
	v_cmp_gt_u32_e32 vcc, s23, v17
	s_and_saveexec_b64 s[0:1], vcc
	s_cbranch_execz .LBB74_102
; %bb.101:
	v_add_co_u32_e32 v18, vcc, 0x7000, v18
	s_waitcnt lgkmcnt(0)
	v_ashrrev_i32_e32 v17, 31, v16
	v_addc_co_u32_e32 v19, vcc, 0, v19, vcc
	global_store_dwordx2 v[18:19], v[16:17], off
.LBB74_102:
	s_or_b64 exec, exec, s[0:1]
	s_load_dword s0, s[4:5], 0x48
	s_waitcnt lgkmcnt(0)
	s_bfe_u32 s0, s0, 0x10008
	s_cmp_eq_u32 s0, 0
	s_cbranch_scc1 .LBB74_157
; %bb.103:
	s_add_u32 s0, s23, -1
	s_addc_u32 s1, s33, -1
	s_mul_i32 s7, s1, 0x88888889
	s_mul_hi_u32 s8, s0, 0x88888889
	s_mul_hi_u32 s6, s1, 0x88888889
	s_add_u32 s7, s7, s8
	s_mul_i32 s5, s0, 0x88888888
	s_addc_u32 s6, s6, 0
	s_mul_hi_u32 s4, s0, 0x88888888
	s_add_u32 s5, s5, s7
	s_addc_u32 s4, s4, 0
	s_add_u32 s4, s6, s4
	s_addc_u32 s5, 0, 0
	s_mul_i32 s7, s1, 0x88888888
	s_mul_hi_u32 s6, s1, 0x88888888
	s_add_u32 s4, s7, s4
	s_addc_u32 s5, s6, s5
	s_lshr_b64 s[4:5], s[4:5], 3
	v_cmp_eq_u64_e32 vcc, s[4:5], v[0:1]
	s_and_saveexec_b64 s[4:5], vcc
	s_cbranch_execz .LBB74_157
; %bb.104:
	v_mul_hi_u32_u24_e32 v1, 15, v0
	v_mul_u32_u24_e32 v0, 15, v0
	v_mov_b32_e32 v17, s1
	v_sub_co_u32_e32 v0, vcc, s0, v0
	v_subb_co_u32_e32 v1, vcc, v17, v1, vcc
	v_cmp_lt_i64_e32 vcc, 7, v[0:1]
	s_and_saveexec_b64 s[0:1], vcc
	s_xor_b64 s[0:1], exec, s[0:1]
	s_cbranch_execz .LBB74_130
; %bb.105:
	v_cmp_lt_i64_e32 vcc, 10, v[0:1]
	s_and_saveexec_b64 s[4:5], vcc
	s_xor_b64 s[4:5], exec, s[4:5]
	s_cbranch_execz .LBB74_119
; %bb.106:
	v_cmp_lt_i64_e32 vcc, 12, v[0:1]
	s_and_saveexec_b64 s[6:7], vcc
	s_xor_b64 s[6:7], exec, s[6:7]
	s_cbranch_execz .LBB74_112
; %bb.107:
	v_cmp_lt_i64_e32 vcc, 13, v[0:1]
	s_and_saveexec_b64 s[8:9], vcc
	s_xor_b64 s[8:9], exec, s[8:9]
	s_cbranch_execz .LBB74_109
; %bb.108:
	v_mov_b32_e32 v0, 0
	global_store_dword v0, v16, s[2:3]
                                        ; implicit-def: $vgpr14_vgpr15
.LBB74_109:
	s_andn2_saveexec_b64 s[8:9], s[8:9]
	s_cbranch_execz .LBB74_111
; %bb.110:
	v_mov_b32_e32 v0, 0
	global_store_dword v0, v15, s[2:3]
.LBB74_111:
	s_or_b64 exec, exec, s[8:9]
                                        ; implicit-def: $vgpr4_vgpr5
                                        ; implicit-def: $vgpr0_vgpr1
                                        ; implicit-def: $vgpr14_vgpr15
.LBB74_112:
	s_andn2_saveexec_b64 s[6:7], s[6:7]
	s_cbranch_execz .LBB74_118
; %bb.113:
	v_cmp_lt_i64_e32 vcc, 11, v[0:1]
	s_and_saveexec_b64 s[8:9], vcc
	s_xor_b64 s[8:9], exec, s[8:9]
	s_cbranch_execz .LBB74_115
; %bb.114:
	v_mov_b32_e32 v0, 0
	global_store_dword v0, v14, s[2:3]
                                        ; implicit-def: $vgpr4_vgpr5
.LBB74_115:
	s_andn2_saveexec_b64 s[8:9], s[8:9]
	s_cbranch_execz .LBB74_117
; %bb.116:
	v_mov_b32_e32 v0, 0
	global_store_dword v0, v5, s[2:3]
.LBB74_117:
	s_or_b64 exec, exec, s[8:9]
.LBB74_118:
	s_or_b64 exec, exec, s[6:7]
                                        ; implicit-def: $vgpr10_vgpr11
                                        ; implicit-def: $vgpr0_vgpr1
                                        ; implicit-def: $vgpr4_vgpr5
.LBB74_119:
	s_andn2_saveexec_b64 s[4:5], s[4:5]
	s_cbranch_execz .LBB74_129
; %bb.120:
	v_cmp_lt_i64_e32 vcc, 8, v[0:1]
	s_and_saveexec_b64 s[6:7], vcc
	s_xor_b64 s[6:7], exec, s[6:7]
	s_cbranch_execz .LBB74_126
; %bb.121:
	v_cmp_lt_i64_e32 vcc, 9, v[0:1]
	s_and_saveexec_b64 s[8:9], vcc
	s_xor_b64 s[8:9], exec, s[8:9]
	s_cbranch_execz .LBB74_123
; %bb.122:
	v_mov_b32_e32 v0, 0
	global_store_dword v0, v4, s[2:3]
                                        ; implicit-def: $vgpr10_vgpr11
.LBB74_123:
	s_andn2_saveexec_b64 s[8:9], s[8:9]
	s_cbranch_execz .LBB74_125
; %bb.124:
	v_mov_b32_e32 v0, 0
	global_store_dword v0, v11, s[2:3]
.LBB74_125:
	s_or_b64 exec, exec, s[8:9]
                                        ; implicit-def: $vgpr10_vgpr11
.LBB74_126:
	s_andn2_saveexec_b64 s[6:7], s[6:7]
	s_cbranch_execz .LBB74_128
; %bb.127:
	v_mov_b32_e32 v0, 0
	global_store_dword v0, v10, s[2:3]
.LBB74_128:
	s_or_b64 exec, exec, s[6:7]
.LBB74_129:
	s_or_b64 exec, exec, s[4:5]
                                        ; implicit-def: $vgpr0_vgpr1
                                        ; implicit-def: $vgpr2_vgpr3
                                        ; implicit-def: $vgpr8_vgpr9
                                        ; implicit-def: $vgpr6_vgpr7
                                        ; implicit-def: $vgpr12_vgpr13
.LBB74_130:
	s_andn2_saveexec_b64 s[0:1], s[0:1]
	s_cbranch_execz .LBB74_157
; %bb.131:
	v_cmp_lt_i64_e32 vcc, 3, v[0:1]
	s_and_saveexec_b64 s[0:1], vcc
	s_xor_b64 s[0:1], exec, s[0:1]
	s_cbranch_execz .LBB74_145
; %bb.132:
	v_cmp_lt_i64_e32 vcc, 5, v[0:1]
	s_and_saveexec_b64 s[4:5], vcc
	s_xor_b64 s[4:5], exec, s[4:5]
	s_cbranch_execz .LBB74_138
; %bb.133:
	v_cmp_lt_i64_e32 vcc, 6, v[0:1]
	s_and_saveexec_b64 s[6:7], vcc
	s_xor_b64 s[6:7], exec, s[6:7]
	s_cbranch_execz .LBB74_135
; %bb.134:
	v_mov_b32_e32 v0, 0
	global_store_dword v0, v13, s[2:3]
                                        ; implicit-def: $vgpr12_vgpr13
.LBB74_135:
	s_andn2_saveexec_b64 s[6:7], s[6:7]
	s_cbranch_execz .LBB74_137
; %bb.136:
	v_mov_b32_e32 v0, 0
	global_store_dword v0, v12, s[2:3]
.LBB74_137:
	s_or_b64 exec, exec, s[6:7]
                                        ; implicit-def: $vgpr8_vgpr9
                                        ; implicit-def: $vgpr0_vgpr1
.LBB74_138:
	s_andn2_saveexec_b64 s[4:5], s[4:5]
	s_cbranch_execz .LBB74_144
; %bb.139:
	v_cmp_lt_i64_e32 vcc, 4, v[0:1]
	s_and_saveexec_b64 s[6:7], vcc
	s_xor_b64 s[6:7], exec, s[6:7]
	s_cbranch_execz .LBB74_141
; %bb.140:
	v_mov_b32_e32 v0, 0
	global_store_dword v0, v9, s[2:3]
                                        ; implicit-def: $vgpr8_vgpr9
.LBB74_141:
	s_andn2_saveexec_b64 s[6:7], s[6:7]
	s_cbranch_execz .LBB74_143
; %bb.142:
	v_mov_b32_e32 v0, 0
	global_store_dword v0, v8, s[2:3]
.LBB74_143:
	s_or_b64 exec, exec, s[6:7]
.LBB74_144:
	s_or_b64 exec, exec, s[4:5]
                                        ; implicit-def: $vgpr0_vgpr1
                                        ; implicit-def: $vgpr2_vgpr3
                                        ; implicit-def: $vgpr6_vgpr7
.LBB74_145:
	s_andn2_saveexec_b64 s[0:1], s[0:1]
	s_cbranch_execz .LBB74_157
; %bb.146:
	v_cmp_lt_i64_e32 vcc, 1, v[0:1]
	s_and_saveexec_b64 s[0:1], vcc
	s_xor_b64 s[0:1], exec, s[0:1]
	s_cbranch_execz .LBB74_152
; %bb.147:
	v_cmp_lt_i64_e32 vcc, 2, v[0:1]
	s_and_saveexec_b64 s[4:5], vcc
	s_xor_b64 s[4:5], exec, s[4:5]
	s_cbranch_execz .LBB74_149
; %bb.148:
	v_mov_b32_e32 v0, 0
	global_store_dword v0, v7, s[2:3]
                                        ; implicit-def: $vgpr6_vgpr7
.LBB74_149:
	s_andn2_saveexec_b64 s[4:5], s[4:5]
	s_cbranch_execz .LBB74_151
; %bb.150:
	v_mov_b32_e32 v0, 0
	global_store_dword v0, v6, s[2:3]
.LBB74_151:
	s_or_b64 exec, exec, s[4:5]
                                        ; implicit-def: $vgpr2_vgpr3
                                        ; implicit-def: $vgpr0_vgpr1
.LBB74_152:
	s_andn2_saveexec_b64 s[0:1], s[0:1]
	s_cbranch_execz .LBB74_157
; %bb.153:
	v_cmp_ne_u64_e32 vcc, 1, v[0:1]
	s_and_saveexec_b64 s[0:1], vcc
	s_xor_b64 s[0:1], exec, s[0:1]
	s_cbranch_execz .LBB74_155
; %bb.154:
	v_mov_b32_e32 v0, 0
	global_store_dword v0, v2, s[2:3]
                                        ; implicit-def: $vgpr2_vgpr3
.LBB74_155:
	s_andn2_saveexec_b64 s[0:1], s[0:1]
	s_cbranch_execz .LBB74_157
; %bb.156:
	v_mov_b32_e32 v0, 0
	global_store_dword v0, v3, s[2:3]
.LBB74_157:
	s_endpgm
	.section	.rodata,"a",@progbits
	.p2align	6, 0x0
	.amdhsa_kernel _ZN7rocprim6detail20lookback_scan_kernelILNS0_25lookback_scan_determinismE0ELb1ENS0_19wrapped_scan_configINS_14default_configEiEEN6hipcub22TransformInputIteratorIiNS6_6CastOpIiEEPilEEPlNS6_3SumEiiNS0_19lookback_scan_stateIiLb0ELb1EEEEEvT2_T3_mT5_T4_T7_jPT6_SM_bb
		.amdhsa_group_segment_fixed_size 15360
		.amdhsa_private_segment_fixed_size 0
		.amdhsa_kernarg_size 76
		.amdhsa_user_sgpr_count 6
		.amdhsa_user_sgpr_private_segment_buffer 1
		.amdhsa_user_sgpr_dispatch_ptr 0
		.amdhsa_user_sgpr_queue_ptr 0
		.amdhsa_user_sgpr_kernarg_segment_ptr 1
		.amdhsa_user_sgpr_dispatch_id 0
		.amdhsa_user_sgpr_flat_scratch_init 0
		.amdhsa_user_sgpr_private_segment_size 0
		.amdhsa_uses_dynamic_stack 0
		.amdhsa_system_sgpr_private_segment_wavefront_offset 0
		.amdhsa_system_sgpr_workgroup_id_x 1
		.amdhsa_system_sgpr_workgroup_id_y 0
		.amdhsa_system_sgpr_workgroup_id_z 0
		.amdhsa_system_sgpr_workgroup_info 0
		.amdhsa_system_vgpr_workitem_id 0
		.amdhsa_next_free_vgpr 53
		.amdhsa_next_free_sgpr 98
		.amdhsa_reserve_vcc 1
		.amdhsa_reserve_flat_scratch 0
		.amdhsa_float_round_mode_32 0
		.amdhsa_float_round_mode_16_64 0
		.amdhsa_float_denorm_mode_32 3
		.amdhsa_float_denorm_mode_16_64 3
		.amdhsa_dx10_clamp 1
		.amdhsa_ieee_mode 1
		.amdhsa_fp16_overflow 0
		.amdhsa_exception_fp_ieee_invalid_op 0
		.amdhsa_exception_fp_denorm_src 0
		.amdhsa_exception_fp_ieee_div_zero 0
		.amdhsa_exception_fp_ieee_overflow 0
		.amdhsa_exception_fp_ieee_underflow 0
		.amdhsa_exception_fp_ieee_inexact 0
		.amdhsa_exception_int_div_zero 0
	.end_amdhsa_kernel
	.section	.text._ZN7rocprim6detail20lookback_scan_kernelILNS0_25lookback_scan_determinismE0ELb1ENS0_19wrapped_scan_configINS_14default_configEiEEN6hipcub22TransformInputIteratorIiNS6_6CastOpIiEEPilEEPlNS6_3SumEiiNS0_19lookback_scan_stateIiLb0ELb1EEEEEvT2_T3_mT5_T4_T7_jPT6_SM_bb,"axG",@progbits,_ZN7rocprim6detail20lookback_scan_kernelILNS0_25lookback_scan_determinismE0ELb1ENS0_19wrapped_scan_configINS_14default_configEiEEN6hipcub22TransformInputIteratorIiNS6_6CastOpIiEEPilEEPlNS6_3SumEiiNS0_19lookback_scan_stateIiLb0ELb1EEEEEvT2_T3_mT5_T4_T7_jPT6_SM_bb,comdat
.Lfunc_end74:
	.size	_ZN7rocprim6detail20lookback_scan_kernelILNS0_25lookback_scan_determinismE0ELb1ENS0_19wrapped_scan_configINS_14default_configEiEEN6hipcub22TransformInputIteratorIiNS6_6CastOpIiEEPilEEPlNS6_3SumEiiNS0_19lookback_scan_stateIiLb0ELb1EEEEEvT2_T3_mT5_T4_T7_jPT6_SM_bb, .Lfunc_end74-_ZN7rocprim6detail20lookback_scan_kernelILNS0_25lookback_scan_determinismE0ELb1ENS0_19wrapped_scan_configINS_14default_configEiEEN6hipcub22TransformInputIteratorIiNS6_6CastOpIiEEPilEEPlNS6_3SumEiiNS0_19lookback_scan_stateIiLb0ELb1EEEEEvT2_T3_mT5_T4_T7_jPT6_SM_bb
                                        ; -- End function
	.set _ZN7rocprim6detail20lookback_scan_kernelILNS0_25lookback_scan_determinismE0ELb1ENS0_19wrapped_scan_configINS_14default_configEiEEN6hipcub22TransformInputIteratorIiNS6_6CastOpIiEEPilEEPlNS6_3SumEiiNS0_19lookback_scan_stateIiLb0ELb1EEEEEvT2_T3_mT5_T4_T7_jPT6_SM_bb.num_vgpr, 53
	.set _ZN7rocprim6detail20lookback_scan_kernelILNS0_25lookback_scan_determinismE0ELb1ENS0_19wrapped_scan_configINS_14default_configEiEEN6hipcub22TransformInputIteratorIiNS6_6CastOpIiEEPilEEPlNS6_3SumEiiNS0_19lookback_scan_stateIiLb0ELb1EEEEEvT2_T3_mT5_T4_T7_jPT6_SM_bb.num_agpr, 0
	.set _ZN7rocprim6detail20lookback_scan_kernelILNS0_25lookback_scan_determinismE0ELb1ENS0_19wrapped_scan_configINS_14default_configEiEEN6hipcub22TransformInputIteratorIiNS6_6CastOpIiEEPilEEPlNS6_3SumEiiNS0_19lookback_scan_stateIiLb0ELb1EEEEEvT2_T3_mT5_T4_T7_jPT6_SM_bb.numbered_sgpr, 34
	.set _ZN7rocprim6detail20lookback_scan_kernelILNS0_25lookback_scan_determinismE0ELb1ENS0_19wrapped_scan_configINS_14default_configEiEEN6hipcub22TransformInputIteratorIiNS6_6CastOpIiEEPilEEPlNS6_3SumEiiNS0_19lookback_scan_stateIiLb0ELb1EEEEEvT2_T3_mT5_T4_T7_jPT6_SM_bb.num_named_barrier, 0
	.set _ZN7rocprim6detail20lookback_scan_kernelILNS0_25lookback_scan_determinismE0ELb1ENS0_19wrapped_scan_configINS_14default_configEiEEN6hipcub22TransformInputIteratorIiNS6_6CastOpIiEEPilEEPlNS6_3SumEiiNS0_19lookback_scan_stateIiLb0ELb1EEEEEvT2_T3_mT5_T4_T7_jPT6_SM_bb.private_seg_size, 0
	.set _ZN7rocprim6detail20lookback_scan_kernelILNS0_25lookback_scan_determinismE0ELb1ENS0_19wrapped_scan_configINS_14default_configEiEEN6hipcub22TransformInputIteratorIiNS6_6CastOpIiEEPilEEPlNS6_3SumEiiNS0_19lookback_scan_stateIiLb0ELb1EEEEEvT2_T3_mT5_T4_T7_jPT6_SM_bb.uses_vcc, 1
	.set _ZN7rocprim6detail20lookback_scan_kernelILNS0_25lookback_scan_determinismE0ELb1ENS0_19wrapped_scan_configINS_14default_configEiEEN6hipcub22TransformInputIteratorIiNS6_6CastOpIiEEPilEEPlNS6_3SumEiiNS0_19lookback_scan_stateIiLb0ELb1EEEEEvT2_T3_mT5_T4_T7_jPT6_SM_bb.uses_flat_scratch, 0
	.set _ZN7rocprim6detail20lookback_scan_kernelILNS0_25lookback_scan_determinismE0ELb1ENS0_19wrapped_scan_configINS_14default_configEiEEN6hipcub22TransformInputIteratorIiNS6_6CastOpIiEEPilEEPlNS6_3SumEiiNS0_19lookback_scan_stateIiLb0ELb1EEEEEvT2_T3_mT5_T4_T7_jPT6_SM_bb.has_dyn_sized_stack, 0
	.set _ZN7rocprim6detail20lookback_scan_kernelILNS0_25lookback_scan_determinismE0ELb1ENS0_19wrapped_scan_configINS_14default_configEiEEN6hipcub22TransformInputIteratorIiNS6_6CastOpIiEEPilEEPlNS6_3SumEiiNS0_19lookback_scan_stateIiLb0ELb1EEEEEvT2_T3_mT5_T4_T7_jPT6_SM_bb.has_recursion, 0
	.set _ZN7rocprim6detail20lookback_scan_kernelILNS0_25lookback_scan_determinismE0ELb1ENS0_19wrapped_scan_configINS_14default_configEiEEN6hipcub22TransformInputIteratorIiNS6_6CastOpIiEEPilEEPlNS6_3SumEiiNS0_19lookback_scan_stateIiLb0ELb1EEEEEvT2_T3_mT5_T4_T7_jPT6_SM_bb.has_indirect_call, 0
	.section	.AMDGPU.csdata,"",@progbits
; Kernel info:
; codeLenInByte = 5772
; TotalNumSgprs: 38
; NumVgprs: 53
; ScratchSize: 0
; MemoryBound: 0
; FloatMode: 240
; IeeeMode: 1
; LDSByteSize: 15360 bytes/workgroup (compile time only)
; SGPRBlocks: 12
; VGPRBlocks: 13
; NumSGPRsForWavesPerEU: 102
; NumVGPRsForWavesPerEU: 53
; Occupancy: 4
; WaveLimiterHint : 1
; COMPUTE_PGM_RSRC2:SCRATCH_EN: 0
; COMPUTE_PGM_RSRC2:USER_SGPR: 6
; COMPUTE_PGM_RSRC2:TRAP_HANDLER: 0
; COMPUTE_PGM_RSRC2:TGID_X_EN: 1
; COMPUTE_PGM_RSRC2:TGID_Y_EN: 0
; COMPUTE_PGM_RSRC2:TGID_Z_EN: 0
; COMPUTE_PGM_RSRC2:TIDIG_COMP_CNT: 0
	.section	.text._ZN7rocprim6detail18single_scan_kernelILb1ENS0_19wrapped_scan_configINS_14default_configEiEEN6hipcub22TransformInputIteratorIiNS5_6CastOpIiEEPilEEPlNS5_3SumEiiEEvT1_mT4_T2_T3_,"axG",@progbits,_ZN7rocprim6detail18single_scan_kernelILb1ENS0_19wrapped_scan_configINS_14default_configEiEEN6hipcub22TransformInputIteratorIiNS5_6CastOpIiEEPilEEPlNS5_3SumEiiEEvT1_mT4_T2_T3_,comdat
	.protected	_ZN7rocprim6detail18single_scan_kernelILb1ENS0_19wrapped_scan_configINS_14default_configEiEEN6hipcub22TransformInputIteratorIiNS5_6CastOpIiEEPilEEPlNS5_3SumEiiEEvT1_mT4_T2_T3_ ; -- Begin function _ZN7rocprim6detail18single_scan_kernelILb1ENS0_19wrapped_scan_configINS_14default_configEiEEN6hipcub22TransformInputIteratorIiNS5_6CastOpIiEEPilEEPlNS5_3SumEiiEEvT1_mT4_T2_T3_
	.globl	_ZN7rocprim6detail18single_scan_kernelILb1ENS0_19wrapped_scan_configINS_14default_configEiEEN6hipcub22TransformInputIteratorIiNS5_6CastOpIiEEPilEEPlNS5_3SumEiiEEvT1_mT4_T2_T3_
	.p2align	8
	.type	_ZN7rocprim6detail18single_scan_kernelILb1ENS0_19wrapped_scan_configINS_14default_configEiEEN6hipcub22TransformInputIteratorIiNS5_6CastOpIiEEPilEEPlNS5_3SumEiiEEvT1_mT4_T2_T3_,@function
_ZN7rocprim6detail18single_scan_kernelILb1ENS0_19wrapped_scan_configINS_14default_configEiEEN6hipcub22TransformInputIteratorIiNS5_6CastOpIiEEPilEEPlNS5_3SumEiiEEvT1_mT4_T2_T3_: ; @_ZN7rocprim6detail18single_scan_kernelILb1ENS0_19wrapped_scan_configINS_14default_configEiEEN6hipcub22TransformInputIteratorIiNS5_6CastOpIiEEPilEEPlNS5_3SumEiiEEvT1_mT4_T2_T3_
; %bb.0:
	s_load_dwordx2 s[0:1], s[4:5], 0x0
	s_load_dword s33, s[4:5], 0x10
	v_lshlrev_b32_e32 v19, 2, v0
	s_waitcnt lgkmcnt(0)
	s_load_dword s8, s[0:1], 0x0
	v_mov_b32_e32 v1, s1
	v_add_co_u32_e32 v17, vcc, s0, v19
	v_addc_co_u32_e32 v18, vcc, 0, v1, vcc
	s_waitcnt lgkmcnt(0)
	s_mov_b32 s9, s8
	s_mov_b32 s10, s8
	;; [unrolled: 1-line block ×14, first 2 shown]
	v_mov_b32_e32 v1, s8
	v_cmp_gt_u32_e64 s[0:1], s33, v0
	v_mov_b32_e32 v2, s9
	v_mov_b32_e32 v3, s10
	v_mov_b32_e32 v4, s11
	v_mov_b32_e32 v5, s12
	v_mov_b32_e32 v6, s13
	v_mov_b32_e32 v7, s14
	v_mov_b32_e32 v8, s15
	v_mov_b32_e32 v9, s16
	v_mov_b32_e32 v10, s17
	v_mov_b32_e32 v11, s18
	v_mov_b32_e32 v12, s19
	v_mov_b32_e32 v13, s20
	v_mov_b32_e32 v14, s21
	v_mov_b32_e32 v15, s22
	v_mov_b32_e32 v16, s23
	s_and_saveexec_b64 s[2:3], s[0:1]
	s_cbranch_execz .LBB75_2
; %bb.1:
	global_load_dword v1, v[17:18], off
	v_mov_b32_e32 v2, s8
	v_mov_b32_e32 v3, s8
	;; [unrolled: 1-line block ×14, first 2 shown]
.LBB75_2:
	s_or_b64 exec, exec, s[2:3]
	v_or_b32_e32 v16, 0x100, v0
	v_cmp_gt_u32_e64 s[2:3], s33, v16
	s_and_saveexec_b64 s[6:7], s[2:3]
	s_cbranch_execz .LBB75_4
; %bb.3:
	global_load_dword v2, v[17:18], off offset:1024
.LBB75_4:
	s_or_b64 exec, exec, s[6:7]
	v_or_b32_e32 v16, 0x200, v0
	v_cmp_gt_u32_e64 s[6:7], s33, v16
	s_and_saveexec_b64 s[8:9], s[6:7]
	s_cbranch_execz .LBB75_6
; %bb.5:
	global_load_dword v3, v[17:18], off offset:2048
.LBB75_6:
	;; [unrolled: 8-line block ×3, first 2 shown]
	s_or_b64 exec, exec, s[10:11]
	v_or_b32_e32 v16, 0x400, v0
	v_cmp_gt_u32_e64 s[10:11], s33, v16
	s_and_saveexec_b64 s[12:13], s[10:11]
	s_cbranch_execz .LBB75_10
; %bb.9:
	v_add_co_u32_e32 v20, vcc, 0x1000, v17
	v_addc_co_u32_e32 v21, vcc, 0, v18, vcc
	global_load_dword v5, v[20:21], off
.LBB75_10:
	s_or_b64 exec, exec, s[12:13]
	v_or_b32_e32 v16, 0x500, v0
	v_cmp_gt_u32_e64 s[12:13], s33, v16
	s_and_saveexec_b64 s[14:15], s[12:13]
	s_cbranch_execz .LBB75_12
; %bb.11:
	v_add_co_u32_e32 v20, vcc, 0x1000, v17
	v_addc_co_u32_e32 v21, vcc, 0, v18, vcc
	global_load_dword v6, v[20:21], off offset:1024
.LBB75_12:
	s_or_b64 exec, exec, s[14:15]
	v_or_b32_e32 v16, 0x600, v0
	v_cmp_gt_u32_e64 s[14:15], s33, v16
	s_and_saveexec_b64 s[16:17], s[14:15]
	s_cbranch_execz .LBB75_14
; %bb.13:
	v_add_co_u32_e32 v20, vcc, 0x1000, v17
	v_addc_co_u32_e32 v21, vcc, 0, v18, vcc
	global_load_dword v7, v[20:21], off offset:2048
.LBB75_14:
	;; [unrolled: 10-line block ×3, first 2 shown]
	s_or_b64 exec, exec, s[18:19]
	v_or_b32_e32 v16, 0x800, v0
	v_cmp_gt_u32_e64 s[18:19], s33, v16
	s_and_saveexec_b64 s[20:21], s[18:19]
	s_cbranch_execz .LBB75_18
; %bb.17:
	v_add_co_u32_e32 v20, vcc, 0x2000, v17
	v_addc_co_u32_e32 v21, vcc, 0, v18, vcc
	global_load_dword v9, v[20:21], off
.LBB75_18:
	s_or_b64 exec, exec, s[20:21]
	v_or_b32_e32 v16, 0x900, v0
	v_cmp_gt_u32_e64 s[20:21], s33, v16
	s_and_saveexec_b64 s[22:23], s[20:21]
	s_cbranch_execz .LBB75_20
; %bb.19:
	v_add_co_u32_e32 v20, vcc, 0x2000, v17
	v_addc_co_u32_e32 v21, vcc, 0, v18, vcc
	global_load_dword v10, v[20:21], off offset:1024
.LBB75_20:
	s_or_b64 exec, exec, s[22:23]
	v_or_b32_e32 v16, 0xa00, v0
	v_cmp_gt_u32_e64 s[22:23], s33, v16
	s_and_saveexec_b64 s[24:25], s[22:23]
	s_cbranch_execz .LBB75_22
; %bb.21:
	v_add_co_u32_e32 v20, vcc, 0x2000, v17
	v_addc_co_u32_e32 v21, vcc, 0, v18, vcc
	global_load_dword v11, v[20:21], off offset:2048
.LBB75_22:
	;; [unrolled: 10-line block ×3, first 2 shown]
	s_or_b64 exec, exec, s[26:27]
	v_or_b32_e32 v16, 0xc00, v0
	v_cmp_gt_u32_e64 s[26:27], s33, v16
	s_and_saveexec_b64 s[28:29], s[26:27]
	s_cbranch_execz .LBB75_26
; %bb.25:
	v_add_co_u32_e32 v20, vcc, 0x3000, v17
	v_addc_co_u32_e32 v21, vcc, 0, v18, vcc
	global_load_dword v13, v[20:21], off
.LBB75_26:
	s_or_b64 exec, exec, s[28:29]
	v_or_b32_e32 v16, 0xd00, v0
	v_cmp_gt_u32_e64 s[28:29], s33, v16
	s_and_saveexec_b64 s[30:31], s[28:29]
	s_cbranch_execz .LBB75_28
; %bb.27:
	v_add_co_u32_e32 v20, vcc, 0x3000, v17
	v_addc_co_u32_e32 v21, vcc, 0, v18, vcc
	global_load_dword v14, v[20:21], off offset:1024
.LBB75_28:
	s_or_b64 exec, exec, s[30:31]
	v_or_b32_e32 v16, 0xe00, v0
	v_cmp_gt_u32_e64 s[30:31], s33, v16
	s_and_saveexec_b64 s[34:35], s[30:31]
	s_cbranch_execz .LBB75_30
; %bb.29:
	v_add_co_u32_e32 v15, vcc, 0x3000, v17
	v_addc_co_u32_e32 v16, vcc, 0, v18, vcc
	global_load_dword v15, v[15:16], off offset:2048
.LBB75_30:
	s_or_b64 exec, exec, s[34:35]
	s_waitcnt vmcnt(0)
	ds_write2st64_b32 v19, v1, v2 offset1:4
	ds_write2st64_b32 v19, v3, v4 offset0:8 offset1:12
	ds_write2st64_b32 v19, v5, v6 offset0:16 offset1:20
	;; [unrolled: 1-line block ×6, first 2 shown]
	ds_write_b32 v19, v15 offset:14336
	v_mad_u32_u24 v15, v0, 56, v19
	s_waitcnt lgkmcnt(0)
	s_barrier
	ds_read2_b32 v[13:14], v15 offset1:1
	ds_read2_b32 v[11:12], v15 offset0:2 offset1:3
	ds_read2_b32 v[9:10], v15 offset0:4 offset1:5
	;; [unrolled: 1-line block ×6, first 2 shown]
	ds_read_b32 v15, v15 offset:56
	s_waitcnt lgkmcnt(6)
	v_add3_u32 v16, v14, v13, v11
	s_waitcnt lgkmcnt(5)
	v_add3_u32 v16, v16, v12, v9
	;; [unrolled: 2-line block ×7, first 2 shown]
	v_lshrrev_b32_e32 v16, 3, v0
	v_and_b32_e32 v16, 28, v16
	v_add_u32_e32 v16, v19, v16
	v_cmp_gt_u32_e32 vcc, 64, v0
	s_barrier
	ds_write_b32 v16, v15
	s_waitcnt lgkmcnt(0)
	s_barrier
	s_and_saveexec_b64 s[34:35], vcc
	s_cbranch_execz .LBB75_32
; %bb.31:
	v_lshrrev_b32_e32 v16, 1, v0
	v_and_b32_e32 v16, 0x7c, v16
	v_lshl_add_u32 v18, v0, 4, v16
	ds_read2_b32 v[16:17], v18 offset1:1
	ds_read2_b32 v[20:21], v18 offset0:2 offset1:3
	v_mbcnt_lo_u32_b32 v22, -1, 0
	v_mbcnt_hi_u32_b32 v22, -1, v22
	v_and_b32_e32 v23, 15, v22
	s_waitcnt lgkmcnt(1)
	v_add_u32_e32 v24, v17, v16
	s_waitcnt lgkmcnt(0)
	v_add3_u32 v24, v24, v20, v21
	v_cmp_ne_u32_e32 vcc, 0, v23
	s_nop 0
	v_mov_b32_dpp v25, v24 row_shr:1 row_mask:0xf bank_mask:0xf
	v_cndmask_b32_e32 v25, 0, v25, vcc
	v_add_u32_e32 v24, v25, v24
	v_cmp_lt_u32_e32 vcc, 1, v23
	s_nop 0
	v_mov_b32_dpp v25, v24 row_shr:2 row_mask:0xf bank_mask:0xf
	v_cndmask_b32_e32 v25, 0, v25, vcc
	v_add_u32_e32 v24, v24, v25
	v_cmp_lt_u32_e32 vcc, 3, v23
	;; [unrolled: 5-line block ×3, first 2 shown]
	s_nop 0
	v_mov_b32_dpp v25, v24 row_shr:8 row_mask:0xf bank_mask:0xf
	v_cndmask_b32_e32 v23, 0, v25, vcc
	v_add_u32_e32 v23, v24, v23
	v_bfe_i32 v25, v22, 4, 1
	v_cmp_lt_u32_e32 vcc, 31, v22
	v_mov_b32_dpp v24, v23 row_bcast:15 row_mask:0xf bank_mask:0xf
	v_and_b32_e32 v24, v25, v24
	v_add_u32_e32 v23, v23, v24
	v_and_b32_e32 v25, 64, v22
	s_nop 0
	v_mov_b32_dpp v24, v23 row_bcast:31 row_mask:0xf bank_mask:0xf
	v_cndmask_b32_e32 v24, 0, v24, vcc
	v_add_u32_e32 v23, v23, v24
	v_add_u32_e32 v24, -1, v22
	v_cmp_lt_i32_e32 vcc, v24, v25
	v_cndmask_b32_e32 v22, v24, v22, vcc
	v_lshlrev_b32_e32 v22, 2, v22
	ds_bpermute_b32 v22, v22, v23
	v_cmp_eq_u32_e32 vcc, 0, v0
	s_waitcnt lgkmcnt(0)
	v_add_u32_e32 v16, v22, v16
	v_cndmask_b32_e32 v15, v16, v15, vcc
	v_add_u32_e32 v16, v15, v17
	ds_write2_b32 v18, v15, v16 offset1:1
	v_add_u32_e32 v15, v16, v20
	v_add_u32_e32 v16, v15, v21
	ds_write2_b32 v18, v15, v16 offset0:2 offset1:3
.LBB75_32:
	s_or_b64 exec, exec, s[34:35]
	s_load_dword s33, s[4:5], 0x18
	v_mul_u32_u24_e32 v15, 56, v0
	v_cmp_ne_u32_e32 vcc, 0, v0
	s_waitcnt lgkmcnt(0)
	s_barrier
	v_mov_b32_e32 v16, s33
	s_and_saveexec_b64 s[34:35], vcc
	s_cbranch_execz .LBB75_34
; %bb.33:
	v_add_u32_e32 v16, -1, v0
	v_lshrrev_b32_e32 v17, 3, v16
	v_and_b32_e32 v17, 0x1ffffffc, v17
	v_lshl_add_u32 v16, v16, 2, v17
	ds_read_b32 v16, v16
	s_waitcnt lgkmcnt(0)
	v_add_u32_e32 v16, s33, v16
.LBB75_34:
	s_or_b64 exec, exec, s[34:35]
	v_add_u32_e32 v13, v16, v13
	v_add_u32_e32 v14, v13, v14
	v_add_u32_e32 v11, v14, v11
	v_add_u32_e32 v12, v11, v12
	v_add_u32_e32 v9, v12, v9
	v_add_u32_e32 v10, v9, v10
	v_add_u32_e32 v7, v10, v7
	v_add_u32_e32 v8, v7, v8
	v_add_u32_e32 v5, v8, v5
	v_add_u32_e32 v6, v5, v6
	v_add_u32_e32 v3, v6, v3
	v_add_u32_e32 v4, v3, v4
	v_add_u32_e32 v1, v4, v1
	v_add_u32_e32 v2, v1, v2
	v_add_u32_e32 v15, v19, v15
	s_barrier
	ds_write2_b32 v15, v16, v13 offset1:1
	ds_write2_b32 v15, v14, v11 offset0:2 offset1:3
	ds_write2_b32 v15, v12, v9 offset0:4 offset1:5
	;; [unrolled: 1-line block ×6, first 2 shown]
	ds_write_b32 v15, v2 offset:56
	s_waitcnt lgkmcnt(0)
	s_barrier
	ds_read2st64_b32 v[15:16], v19 offset0:4 offset1:8
	ds_read2st64_b32 v[13:14], v19 offset0:12 offset1:16
	;; [unrolled: 1-line block ×7, first 2 shown]
	s_load_dwordx2 s[4:5], s[4:5], 0x20
	v_lshlrev_b32_e32 v0, 3, v0
	s_waitcnt lgkmcnt(0)
	v_mov_b32_e32 v4, s5
	v_add_co_u32_e32 v3, vcc, s4, v0
	v_addc_co_u32_e32 v4, vcc, 0, v4, vcc
	s_and_saveexec_b64 s[4:5], s[0:1]
	s_cbranch_execnz .LBB75_50
; %bb.35:
	s_or_b64 exec, exec, s[4:5]
	s_and_saveexec_b64 s[0:1], s[2:3]
	s_cbranch_execnz .LBB75_51
.LBB75_36:
	s_or_b64 exec, exec, s[0:1]
	s_and_saveexec_b64 s[0:1], s[6:7]
	s_cbranch_execnz .LBB75_52
.LBB75_37:
	s_or_b64 exec, exec, s[0:1]
	s_and_saveexec_b64 s[0:1], s[8:9]
	s_cbranch_execnz .LBB75_53
.LBB75_38:
	s_or_b64 exec, exec, s[0:1]
	s_and_saveexec_b64 s[0:1], s[10:11]
	s_cbranch_execnz .LBB75_54
.LBB75_39:
	s_or_b64 exec, exec, s[0:1]
	s_and_saveexec_b64 s[0:1], s[12:13]
	s_cbranch_execnz .LBB75_55
.LBB75_40:
	s_or_b64 exec, exec, s[0:1]
	s_and_saveexec_b64 s[0:1], s[14:15]
	s_cbranch_execnz .LBB75_56
.LBB75_41:
	s_or_b64 exec, exec, s[0:1]
	s_and_saveexec_b64 s[0:1], s[16:17]
	s_cbranch_execnz .LBB75_57
.LBB75_42:
	s_or_b64 exec, exec, s[0:1]
	s_and_saveexec_b64 s[0:1], s[18:19]
	s_cbranch_execnz .LBB75_58
.LBB75_43:
	s_or_b64 exec, exec, s[0:1]
	s_and_saveexec_b64 s[0:1], s[20:21]
	s_cbranch_execnz .LBB75_59
.LBB75_44:
	s_or_b64 exec, exec, s[0:1]
	s_and_saveexec_b64 s[0:1], s[22:23]
	s_cbranch_execnz .LBB75_60
.LBB75_45:
	s_or_b64 exec, exec, s[0:1]
	s_and_saveexec_b64 s[0:1], s[24:25]
	s_cbranch_execnz .LBB75_61
.LBB75_46:
	s_or_b64 exec, exec, s[0:1]
	s_and_saveexec_b64 s[0:1], s[26:27]
	s_cbranch_execnz .LBB75_62
.LBB75_47:
	s_or_b64 exec, exec, s[0:1]
	s_and_saveexec_b64 s[0:1], s[28:29]
	s_cbranch_execnz .LBB75_63
.LBB75_48:
	s_or_b64 exec, exec, s[0:1]
	s_and_saveexec_b64 s[0:1], s[30:31]
	s_cbranch_execnz .LBB75_64
.LBB75_49:
	s_endpgm
.LBB75_50:
	ds_read_b32 v17, v19
	s_waitcnt lgkmcnt(0)
	v_ashrrev_i32_e32 v18, 31, v17
	global_store_dwordx2 v[3:4], v[17:18], off
	s_or_b64 exec, exec, s[4:5]
	s_and_saveexec_b64 s[0:1], s[2:3]
	s_cbranch_execz .LBB75_36
.LBB75_51:
	v_ashrrev_i32_e32 v18, 31, v15
	v_mov_b32_e32 v17, v15
	global_store_dwordx2 v[3:4], v[17:18], off offset:2048
	s_or_b64 exec, exec, s[0:1]
	s_and_saveexec_b64 s[0:1], s[6:7]
	s_cbranch_execz .LBB75_37
.LBB75_52:
	v_add_co_u32_e32 v18, vcc, 0x1000, v3
	v_ashrrev_i32_e32 v17, 31, v16
	v_addc_co_u32_e32 v19, vcc, 0, v4, vcc
	global_store_dwordx2 v[18:19], v[16:17], off
	s_or_b64 exec, exec, s[0:1]
	s_and_saveexec_b64 s[0:1], s[8:9]
	s_cbranch_execz .LBB75_38
.LBB75_53:
	v_add_co_u32_e32 v17, vcc, 0x1000, v3
	v_ashrrev_i32_e32 v16, 31, v13
	v_mov_b32_e32 v15, v13
	v_addc_co_u32_e32 v18, vcc, 0, v4, vcc
	global_store_dwordx2 v[17:18], v[15:16], off offset:2048
	s_or_b64 exec, exec, s[0:1]
	s_and_saveexec_b64 s[0:1], s[10:11]
	s_cbranch_execz .LBB75_39
.LBB75_54:
	v_add_co_u32_e32 v16, vcc, 0x2000, v3
	v_ashrrev_i32_e32 v15, 31, v14
	v_addc_co_u32_e32 v17, vcc, 0, v4, vcc
	global_store_dwordx2 v[16:17], v[14:15], off
	s_or_b64 exec, exec, s[0:1]
	s_and_saveexec_b64 s[0:1], s[12:13]
	s_cbranch_execz .LBB75_40
.LBB75_55:
	v_add_co_u32_e32 v15, vcc, 0x2000, v3
	v_ashrrev_i32_e32 v14, 31, v11
	v_mov_b32_e32 v13, v11
	v_addc_co_u32_e32 v16, vcc, 0, v4, vcc
	global_store_dwordx2 v[15:16], v[13:14], off offset:2048
	s_or_b64 exec, exec, s[0:1]
	s_and_saveexec_b64 s[0:1], s[14:15]
	s_cbranch_execz .LBB75_41
.LBB75_56:
	v_add_co_u32_e32 v14, vcc, 0x3000, v3
	v_ashrrev_i32_e32 v13, 31, v12
	v_addc_co_u32_e32 v15, vcc, 0, v4, vcc
	global_store_dwordx2 v[14:15], v[12:13], off
	s_or_b64 exec, exec, s[0:1]
	s_and_saveexec_b64 s[0:1], s[16:17]
	s_cbranch_execz .LBB75_42
.LBB75_57:
	v_add_co_u32_e32 v13, vcc, 0x3000, v3
	v_ashrrev_i32_e32 v12, 31, v9
	v_mov_b32_e32 v11, v9
	v_addc_co_u32_e32 v14, vcc, 0, v4, vcc
	global_store_dwordx2 v[13:14], v[11:12], off offset:2048
	s_or_b64 exec, exec, s[0:1]
	s_and_saveexec_b64 s[0:1], s[18:19]
	s_cbranch_execz .LBB75_43
.LBB75_58:
	v_add_co_u32_e32 v12, vcc, 0x4000, v3
	v_ashrrev_i32_e32 v11, 31, v10
	v_addc_co_u32_e32 v13, vcc, 0, v4, vcc
	global_store_dwordx2 v[12:13], v[10:11], off
	s_or_b64 exec, exec, s[0:1]
	s_and_saveexec_b64 s[0:1], s[20:21]
	s_cbranch_execz .LBB75_44
.LBB75_59:
	v_add_co_u32_e32 v11, vcc, 0x4000, v3
	v_ashrrev_i32_e32 v10, 31, v7
	v_mov_b32_e32 v9, v7
	v_addc_co_u32_e32 v12, vcc, 0, v4, vcc
	global_store_dwordx2 v[11:12], v[9:10], off offset:2048
	s_or_b64 exec, exec, s[0:1]
	s_and_saveexec_b64 s[0:1], s[22:23]
	s_cbranch_execz .LBB75_45
.LBB75_60:
	v_add_co_u32_e32 v10, vcc, 0x5000, v3
	v_ashrrev_i32_e32 v9, 31, v8
	v_addc_co_u32_e32 v11, vcc, 0, v4, vcc
	global_store_dwordx2 v[10:11], v[8:9], off
	s_or_b64 exec, exec, s[0:1]
	s_and_saveexec_b64 s[0:1], s[24:25]
	s_cbranch_execz .LBB75_46
.LBB75_61:
	v_add_co_u32_e32 v9, vcc, 0x5000, v3
	v_ashrrev_i32_e32 v8, 31, v5
	v_mov_b32_e32 v7, v5
	v_addc_co_u32_e32 v10, vcc, 0, v4, vcc
	global_store_dwordx2 v[9:10], v[7:8], off offset:2048
	s_or_b64 exec, exec, s[0:1]
	s_and_saveexec_b64 s[0:1], s[26:27]
	s_cbranch_execz .LBB75_47
.LBB75_62:
	v_add_co_u32_e32 v8, vcc, 0x6000, v3
	v_ashrrev_i32_e32 v7, 31, v6
	v_addc_co_u32_e32 v9, vcc, 0, v4, vcc
	global_store_dwordx2 v[8:9], v[6:7], off
	s_or_b64 exec, exec, s[0:1]
	s_and_saveexec_b64 s[0:1], s[28:29]
	s_cbranch_execz .LBB75_48
.LBB75_63:
	v_add_co_u32_e32 v0, vcc, 0x6000, v3
	v_ashrrev_i32_e32 v6, 31, v1
	v_mov_b32_e32 v5, v1
	v_addc_co_u32_e32 v1, vcc, 0, v4, vcc
	global_store_dwordx2 v[0:1], v[5:6], off offset:2048
	s_or_b64 exec, exec, s[0:1]
	s_and_saveexec_b64 s[0:1], s[30:31]
	s_cbranch_execz .LBB75_49
.LBB75_64:
	v_ashrrev_i32_e32 v1, 31, v2
	v_mov_b32_e32 v0, v2
	v_add_co_u32_e32 v2, vcc, 0x7000, v3
	v_addc_co_u32_e32 v3, vcc, 0, v4, vcc
	global_store_dwordx2 v[2:3], v[0:1], off
	s_endpgm
	.section	.rodata,"a",@progbits
	.p2align	6, 0x0
	.amdhsa_kernel _ZN7rocprim6detail18single_scan_kernelILb1ENS0_19wrapped_scan_configINS_14default_configEiEEN6hipcub22TransformInputIteratorIiNS5_6CastOpIiEEPilEEPlNS5_3SumEiiEEvT1_mT4_T2_T3_
		.amdhsa_group_segment_fixed_size 15360
		.amdhsa_private_segment_fixed_size 0
		.amdhsa_kernarg_size 44
		.amdhsa_user_sgpr_count 6
		.amdhsa_user_sgpr_private_segment_buffer 1
		.amdhsa_user_sgpr_dispatch_ptr 0
		.amdhsa_user_sgpr_queue_ptr 0
		.amdhsa_user_sgpr_kernarg_segment_ptr 1
		.amdhsa_user_sgpr_dispatch_id 0
		.amdhsa_user_sgpr_flat_scratch_init 0
		.amdhsa_user_sgpr_private_segment_size 0
		.amdhsa_uses_dynamic_stack 0
		.amdhsa_system_sgpr_private_segment_wavefront_offset 0
		.amdhsa_system_sgpr_workgroup_id_x 1
		.amdhsa_system_sgpr_workgroup_id_y 0
		.amdhsa_system_sgpr_workgroup_id_z 0
		.amdhsa_system_sgpr_workgroup_info 0
		.amdhsa_system_vgpr_workitem_id 0
		.amdhsa_next_free_vgpr 49
		.amdhsa_next_free_sgpr 98
		.amdhsa_reserve_vcc 1
		.amdhsa_reserve_flat_scratch 0
		.amdhsa_float_round_mode_32 0
		.amdhsa_float_round_mode_16_64 0
		.amdhsa_float_denorm_mode_32 3
		.amdhsa_float_denorm_mode_16_64 3
		.amdhsa_dx10_clamp 1
		.amdhsa_ieee_mode 1
		.amdhsa_fp16_overflow 0
		.amdhsa_exception_fp_ieee_invalid_op 0
		.amdhsa_exception_fp_denorm_src 0
		.amdhsa_exception_fp_ieee_div_zero 0
		.amdhsa_exception_fp_ieee_overflow 0
		.amdhsa_exception_fp_ieee_underflow 0
		.amdhsa_exception_fp_ieee_inexact 0
		.amdhsa_exception_int_div_zero 0
	.end_amdhsa_kernel
	.section	.text._ZN7rocprim6detail18single_scan_kernelILb1ENS0_19wrapped_scan_configINS_14default_configEiEEN6hipcub22TransformInputIteratorIiNS5_6CastOpIiEEPilEEPlNS5_3SumEiiEEvT1_mT4_T2_T3_,"axG",@progbits,_ZN7rocprim6detail18single_scan_kernelILb1ENS0_19wrapped_scan_configINS_14default_configEiEEN6hipcub22TransformInputIteratorIiNS5_6CastOpIiEEPilEEPlNS5_3SumEiiEEvT1_mT4_T2_T3_,comdat
.Lfunc_end75:
	.size	_ZN7rocprim6detail18single_scan_kernelILb1ENS0_19wrapped_scan_configINS_14default_configEiEEN6hipcub22TransformInputIteratorIiNS5_6CastOpIiEEPilEEPlNS5_3SumEiiEEvT1_mT4_T2_T3_, .Lfunc_end75-_ZN7rocprim6detail18single_scan_kernelILb1ENS0_19wrapped_scan_configINS_14default_configEiEEN6hipcub22TransformInputIteratorIiNS5_6CastOpIiEEPilEEPlNS5_3SumEiiEEvT1_mT4_T2_T3_
                                        ; -- End function
	.set _ZN7rocprim6detail18single_scan_kernelILb1ENS0_19wrapped_scan_configINS_14default_configEiEEN6hipcub22TransformInputIteratorIiNS5_6CastOpIiEEPilEEPlNS5_3SumEiiEEvT1_mT4_T2_T3_.num_vgpr, 26
	.set _ZN7rocprim6detail18single_scan_kernelILb1ENS0_19wrapped_scan_configINS_14default_configEiEEN6hipcub22TransformInputIteratorIiNS5_6CastOpIiEEPilEEPlNS5_3SumEiiEEvT1_mT4_T2_T3_.num_agpr, 0
	.set _ZN7rocprim6detail18single_scan_kernelILb1ENS0_19wrapped_scan_configINS_14default_configEiEEN6hipcub22TransformInputIteratorIiNS5_6CastOpIiEEPilEEPlNS5_3SumEiiEEvT1_mT4_T2_T3_.numbered_sgpr, 36
	.set _ZN7rocprim6detail18single_scan_kernelILb1ENS0_19wrapped_scan_configINS_14default_configEiEEN6hipcub22TransformInputIteratorIiNS5_6CastOpIiEEPilEEPlNS5_3SumEiiEEvT1_mT4_T2_T3_.num_named_barrier, 0
	.set _ZN7rocprim6detail18single_scan_kernelILb1ENS0_19wrapped_scan_configINS_14default_configEiEEN6hipcub22TransformInputIteratorIiNS5_6CastOpIiEEPilEEPlNS5_3SumEiiEEvT1_mT4_T2_T3_.private_seg_size, 0
	.set _ZN7rocprim6detail18single_scan_kernelILb1ENS0_19wrapped_scan_configINS_14default_configEiEEN6hipcub22TransformInputIteratorIiNS5_6CastOpIiEEPilEEPlNS5_3SumEiiEEvT1_mT4_T2_T3_.uses_vcc, 1
	.set _ZN7rocprim6detail18single_scan_kernelILb1ENS0_19wrapped_scan_configINS_14default_configEiEEN6hipcub22TransformInputIteratorIiNS5_6CastOpIiEEPilEEPlNS5_3SumEiiEEvT1_mT4_T2_T3_.uses_flat_scratch, 0
	.set _ZN7rocprim6detail18single_scan_kernelILb1ENS0_19wrapped_scan_configINS_14default_configEiEEN6hipcub22TransformInputIteratorIiNS5_6CastOpIiEEPilEEPlNS5_3SumEiiEEvT1_mT4_T2_T3_.has_dyn_sized_stack, 0
	.set _ZN7rocprim6detail18single_scan_kernelILb1ENS0_19wrapped_scan_configINS_14default_configEiEEN6hipcub22TransformInputIteratorIiNS5_6CastOpIiEEPilEEPlNS5_3SumEiiEEvT1_mT4_T2_T3_.has_recursion, 0
	.set _ZN7rocprim6detail18single_scan_kernelILb1ENS0_19wrapped_scan_configINS_14default_configEiEEN6hipcub22TransformInputIteratorIiNS5_6CastOpIiEEPilEEPlNS5_3SumEiiEEvT1_mT4_T2_T3_.has_indirect_call, 0
	.section	.AMDGPU.csdata,"",@progbits
; Kernel info:
; codeLenInByte = 2492
; TotalNumSgprs: 40
; NumVgprs: 26
; ScratchSize: 0
; MemoryBound: 0
; FloatMode: 240
; IeeeMode: 1
; LDSByteSize: 15360 bytes/workgroup (compile time only)
; SGPRBlocks: 12
; VGPRBlocks: 12
; NumSGPRsForWavesPerEU: 102
; NumVGPRsForWavesPerEU: 49
; Occupancy: 4
; WaveLimiterHint : 0
; COMPUTE_PGM_RSRC2:SCRATCH_EN: 0
; COMPUTE_PGM_RSRC2:USER_SGPR: 6
; COMPUTE_PGM_RSRC2:TRAP_HANDLER: 0
; COMPUTE_PGM_RSRC2:TGID_X_EN: 1
; COMPUTE_PGM_RSRC2:TGID_Y_EN: 0
; COMPUTE_PGM_RSRC2:TGID_Z_EN: 0
; COMPUTE_PGM_RSRC2:TIDIG_COMP_CNT: 0
	.section	.text._ZN7rocprim6detail20lookback_scan_kernelILNS0_25lookback_scan_determinismE0ELb1ENS0_19wrapped_scan_configINS_14default_configE6__halfEEPS5_S7_N6hipcub3MaxES5_S5_NS0_19lookback_scan_stateIS5_Lb1ELb1EEEEEvT2_T3_mT5_T4_T7_jPT6_SI_bb,"axG",@progbits,_ZN7rocprim6detail20lookback_scan_kernelILNS0_25lookback_scan_determinismE0ELb1ENS0_19wrapped_scan_configINS_14default_configE6__halfEEPS5_S7_N6hipcub3MaxES5_S5_NS0_19lookback_scan_stateIS5_Lb1ELb1EEEEEvT2_T3_mT5_T4_T7_jPT6_SI_bb,comdat
	.protected	_ZN7rocprim6detail20lookback_scan_kernelILNS0_25lookback_scan_determinismE0ELb1ENS0_19wrapped_scan_configINS_14default_configE6__halfEEPS5_S7_N6hipcub3MaxES5_S5_NS0_19lookback_scan_stateIS5_Lb1ELb1EEEEEvT2_T3_mT5_T4_T7_jPT6_SI_bb ; -- Begin function _ZN7rocprim6detail20lookback_scan_kernelILNS0_25lookback_scan_determinismE0ELb1ENS0_19wrapped_scan_configINS_14default_configE6__halfEEPS5_S7_N6hipcub3MaxES5_S5_NS0_19lookback_scan_stateIS5_Lb1ELb1EEEEEvT2_T3_mT5_T4_T7_jPT6_SI_bb
	.globl	_ZN7rocprim6detail20lookback_scan_kernelILNS0_25lookback_scan_determinismE0ELb1ENS0_19wrapped_scan_configINS_14default_configE6__halfEEPS5_S7_N6hipcub3MaxES5_S5_NS0_19lookback_scan_stateIS5_Lb1ELb1EEEEEvT2_T3_mT5_T4_T7_jPT6_SI_bb
	.p2align	8
	.type	_ZN7rocprim6detail20lookback_scan_kernelILNS0_25lookback_scan_determinismE0ELb1ENS0_19wrapped_scan_configINS_14default_configE6__halfEEPS5_S7_N6hipcub3MaxES5_S5_NS0_19lookback_scan_stateIS5_Lb1ELb1EEEEEvT2_T3_mT5_T4_T7_jPT6_SI_bb,@function
_ZN7rocprim6detail20lookback_scan_kernelILNS0_25lookback_scan_determinismE0ELb1ENS0_19wrapped_scan_configINS_14default_configE6__halfEEPS5_S7_N6hipcub3MaxES5_S5_NS0_19lookback_scan_stateIS5_Lb1ELb1EEEEEvT2_T3_mT5_T4_T7_jPT6_SI_bb: ; @_ZN7rocprim6detail20lookback_scan_kernelILNS0_25lookback_scan_determinismE0ELb1ENS0_19wrapped_scan_configINS_14default_configE6__halfEEPS5_S7_N6hipcub3MaxES5_S5_NS0_19lookback_scan_stateIS5_Lb1ELb1EEEEEvT2_T3_mT5_T4_T7_jPT6_SI_bb
; %bb.0:
	s_endpgm
	.section	.rodata,"a",@progbits
	.p2align	6, 0x0
	.amdhsa_kernel _ZN7rocprim6detail20lookback_scan_kernelILNS0_25lookback_scan_determinismE0ELb1ENS0_19wrapped_scan_configINS_14default_configE6__halfEEPS5_S7_N6hipcub3MaxES5_S5_NS0_19lookback_scan_stateIS5_Lb1ELb1EEEEEvT2_T3_mT5_T4_T7_jPT6_SI_bb
		.amdhsa_group_segment_fixed_size 0
		.amdhsa_private_segment_fixed_size 0
		.amdhsa_kernarg_size 68
		.amdhsa_user_sgpr_count 6
		.amdhsa_user_sgpr_private_segment_buffer 1
		.amdhsa_user_sgpr_dispatch_ptr 0
		.amdhsa_user_sgpr_queue_ptr 0
		.amdhsa_user_sgpr_kernarg_segment_ptr 1
		.amdhsa_user_sgpr_dispatch_id 0
		.amdhsa_user_sgpr_flat_scratch_init 0
		.amdhsa_user_sgpr_private_segment_size 0
		.amdhsa_uses_dynamic_stack 0
		.amdhsa_system_sgpr_private_segment_wavefront_offset 0
		.amdhsa_system_sgpr_workgroup_id_x 1
		.amdhsa_system_sgpr_workgroup_id_y 0
		.amdhsa_system_sgpr_workgroup_id_z 0
		.amdhsa_system_sgpr_workgroup_info 0
		.amdhsa_system_vgpr_workitem_id 0
		.amdhsa_next_free_vgpr 1
		.amdhsa_next_free_sgpr 0
		.amdhsa_reserve_vcc 0
		.amdhsa_reserve_flat_scratch 0
		.amdhsa_float_round_mode_32 0
		.amdhsa_float_round_mode_16_64 0
		.amdhsa_float_denorm_mode_32 3
		.amdhsa_float_denorm_mode_16_64 3
		.amdhsa_dx10_clamp 1
		.amdhsa_ieee_mode 1
		.amdhsa_fp16_overflow 0
		.amdhsa_exception_fp_ieee_invalid_op 0
		.amdhsa_exception_fp_denorm_src 0
		.amdhsa_exception_fp_ieee_div_zero 0
		.amdhsa_exception_fp_ieee_overflow 0
		.amdhsa_exception_fp_ieee_underflow 0
		.amdhsa_exception_fp_ieee_inexact 0
		.amdhsa_exception_int_div_zero 0
	.end_amdhsa_kernel
	.section	.text._ZN7rocprim6detail20lookback_scan_kernelILNS0_25lookback_scan_determinismE0ELb1ENS0_19wrapped_scan_configINS_14default_configE6__halfEEPS5_S7_N6hipcub3MaxES5_S5_NS0_19lookback_scan_stateIS5_Lb1ELb1EEEEEvT2_T3_mT5_T4_T7_jPT6_SI_bb,"axG",@progbits,_ZN7rocprim6detail20lookback_scan_kernelILNS0_25lookback_scan_determinismE0ELb1ENS0_19wrapped_scan_configINS_14default_configE6__halfEEPS5_S7_N6hipcub3MaxES5_S5_NS0_19lookback_scan_stateIS5_Lb1ELb1EEEEEvT2_T3_mT5_T4_T7_jPT6_SI_bb,comdat
.Lfunc_end76:
	.size	_ZN7rocprim6detail20lookback_scan_kernelILNS0_25lookback_scan_determinismE0ELb1ENS0_19wrapped_scan_configINS_14default_configE6__halfEEPS5_S7_N6hipcub3MaxES5_S5_NS0_19lookback_scan_stateIS5_Lb1ELb1EEEEEvT2_T3_mT5_T4_T7_jPT6_SI_bb, .Lfunc_end76-_ZN7rocprim6detail20lookback_scan_kernelILNS0_25lookback_scan_determinismE0ELb1ENS0_19wrapped_scan_configINS_14default_configE6__halfEEPS5_S7_N6hipcub3MaxES5_S5_NS0_19lookback_scan_stateIS5_Lb1ELb1EEEEEvT2_T3_mT5_T4_T7_jPT6_SI_bb
                                        ; -- End function
	.set _ZN7rocprim6detail20lookback_scan_kernelILNS0_25lookback_scan_determinismE0ELb1ENS0_19wrapped_scan_configINS_14default_configE6__halfEEPS5_S7_N6hipcub3MaxES5_S5_NS0_19lookback_scan_stateIS5_Lb1ELb1EEEEEvT2_T3_mT5_T4_T7_jPT6_SI_bb.num_vgpr, 0
	.set _ZN7rocprim6detail20lookback_scan_kernelILNS0_25lookback_scan_determinismE0ELb1ENS0_19wrapped_scan_configINS_14default_configE6__halfEEPS5_S7_N6hipcub3MaxES5_S5_NS0_19lookback_scan_stateIS5_Lb1ELb1EEEEEvT2_T3_mT5_T4_T7_jPT6_SI_bb.num_agpr, 0
	.set _ZN7rocprim6detail20lookback_scan_kernelILNS0_25lookback_scan_determinismE0ELb1ENS0_19wrapped_scan_configINS_14default_configE6__halfEEPS5_S7_N6hipcub3MaxES5_S5_NS0_19lookback_scan_stateIS5_Lb1ELb1EEEEEvT2_T3_mT5_T4_T7_jPT6_SI_bb.numbered_sgpr, 0
	.set _ZN7rocprim6detail20lookback_scan_kernelILNS0_25lookback_scan_determinismE0ELb1ENS0_19wrapped_scan_configINS_14default_configE6__halfEEPS5_S7_N6hipcub3MaxES5_S5_NS0_19lookback_scan_stateIS5_Lb1ELb1EEEEEvT2_T3_mT5_T4_T7_jPT6_SI_bb.num_named_barrier, 0
	.set _ZN7rocprim6detail20lookback_scan_kernelILNS0_25lookback_scan_determinismE0ELb1ENS0_19wrapped_scan_configINS_14default_configE6__halfEEPS5_S7_N6hipcub3MaxES5_S5_NS0_19lookback_scan_stateIS5_Lb1ELb1EEEEEvT2_T3_mT5_T4_T7_jPT6_SI_bb.private_seg_size, 0
	.set _ZN7rocprim6detail20lookback_scan_kernelILNS0_25lookback_scan_determinismE0ELb1ENS0_19wrapped_scan_configINS_14default_configE6__halfEEPS5_S7_N6hipcub3MaxES5_S5_NS0_19lookback_scan_stateIS5_Lb1ELb1EEEEEvT2_T3_mT5_T4_T7_jPT6_SI_bb.uses_vcc, 0
	.set _ZN7rocprim6detail20lookback_scan_kernelILNS0_25lookback_scan_determinismE0ELb1ENS0_19wrapped_scan_configINS_14default_configE6__halfEEPS5_S7_N6hipcub3MaxES5_S5_NS0_19lookback_scan_stateIS5_Lb1ELb1EEEEEvT2_T3_mT5_T4_T7_jPT6_SI_bb.uses_flat_scratch, 0
	.set _ZN7rocprim6detail20lookback_scan_kernelILNS0_25lookback_scan_determinismE0ELb1ENS0_19wrapped_scan_configINS_14default_configE6__halfEEPS5_S7_N6hipcub3MaxES5_S5_NS0_19lookback_scan_stateIS5_Lb1ELb1EEEEEvT2_T3_mT5_T4_T7_jPT6_SI_bb.has_dyn_sized_stack, 0
	.set _ZN7rocprim6detail20lookback_scan_kernelILNS0_25lookback_scan_determinismE0ELb1ENS0_19wrapped_scan_configINS_14default_configE6__halfEEPS5_S7_N6hipcub3MaxES5_S5_NS0_19lookback_scan_stateIS5_Lb1ELb1EEEEEvT2_T3_mT5_T4_T7_jPT6_SI_bb.has_recursion, 0
	.set _ZN7rocprim6detail20lookback_scan_kernelILNS0_25lookback_scan_determinismE0ELb1ENS0_19wrapped_scan_configINS_14default_configE6__halfEEPS5_S7_N6hipcub3MaxES5_S5_NS0_19lookback_scan_stateIS5_Lb1ELb1EEEEEvT2_T3_mT5_T4_T7_jPT6_SI_bb.has_indirect_call, 0
	.section	.AMDGPU.csdata,"",@progbits
; Kernel info:
; codeLenInByte = 4
; TotalNumSgprs: 4
; NumVgprs: 0
; ScratchSize: 0
; MemoryBound: 0
; FloatMode: 240
; IeeeMode: 1
; LDSByteSize: 0 bytes/workgroup (compile time only)
; SGPRBlocks: 0
; VGPRBlocks: 0
; NumSGPRsForWavesPerEU: 4
; NumVGPRsForWavesPerEU: 1
; Occupancy: 10
; WaveLimiterHint : 0
; COMPUTE_PGM_RSRC2:SCRATCH_EN: 0
; COMPUTE_PGM_RSRC2:USER_SGPR: 6
; COMPUTE_PGM_RSRC2:TRAP_HANDLER: 0
; COMPUTE_PGM_RSRC2:TGID_X_EN: 1
; COMPUTE_PGM_RSRC2:TGID_Y_EN: 0
; COMPUTE_PGM_RSRC2:TGID_Z_EN: 0
; COMPUTE_PGM_RSRC2:TIDIG_COMP_CNT: 0
	.section	.text._ZN7rocprim6detail20lookback_scan_kernelILNS0_25lookback_scan_determinismE0ELb1ENS0_19wrapped_scan_configINS_14default_configE6__halfEEPS5_S7_N6hipcub3MaxES5_S5_NS0_19lookback_scan_stateIS5_Lb0ELb1EEEEEvT2_T3_mT5_T4_T7_jPT6_SI_bb,"axG",@progbits,_ZN7rocprim6detail20lookback_scan_kernelILNS0_25lookback_scan_determinismE0ELb1ENS0_19wrapped_scan_configINS_14default_configE6__halfEEPS5_S7_N6hipcub3MaxES5_S5_NS0_19lookback_scan_stateIS5_Lb0ELb1EEEEEvT2_T3_mT5_T4_T7_jPT6_SI_bb,comdat
	.protected	_ZN7rocprim6detail20lookback_scan_kernelILNS0_25lookback_scan_determinismE0ELb1ENS0_19wrapped_scan_configINS_14default_configE6__halfEEPS5_S7_N6hipcub3MaxES5_S5_NS0_19lookback_scan_stateIS5_Lb0ELb1EEEEEvT2_T3_mT5_T4_T7_jPT6_SI_bb ; -- Begin function _ZN7rocprim6detail20lookback_scan_kernelILNS0_25lookback_scan_determinismE0ELb1ENS0_19wrapped_scan_configINS_14default_configE6__halfEEPS5_S7_N6hipcub3MaxES5_S5_NS0_19lookback_scan_stateIS5_Lb0ELb1EEEEEvT2_T3_mT5_T4_T7_jPT6_SI_bb
	.globl	_ZN7rocprim6detail20lookback_scan_kernelILNS0_25lookback_scan_determinismE0ELb1ENS0_19wrapped_scan_configINS_14default_configE6__halfEEPS5_S7_N6hipcub3MaxES5_S5_NS0_19lookback_scan_stateIS5_Lb0ELb1EEEEEvT2_T3_mT5_T4_T7_jPT6_SI_bb
	.p2align	8
	.type	_ZN7rocprim6detail20lookback_scan_kernelILNS0_25lookback_scan_determinismE0ELb1ENS0_19wrapped_scan_configINS_14default_configE6__halfEEPS5_S7_N6hipcub3MaxES5_S5_NS0_19lookback_scan_stateIS5_Lb0ELb1EEEEEvT2_T3_mT5_T4_T7_jPT6_SI_bb,@function
_ZN7rocprim6detail20lookback_scan_kernelILNS0_25lookback_scan_determinismE0ELb1ENS0_19wrapped_scan_configINS_14default_configE6__halfEEPS5_S7_N6hipcub3MaxES5_S5_NS0_19lookback_scan_stateIS5_Lb0ELb1EEEEEvT2_T3_mT5_T4_T7_jPT6_SI_bb: ; @_ZN7rocprim6detail20lookback_scan_kernelILNS0_25lookback_scan_determinismE0ELb1ENS0_19wrapped_scan_configINS_14default_configE6__halfEEPS5_S7_N6hipcub3MaxES5_S5_NS0_19lookback_scan_stateIS5_Lb0ELb1EEEEEvT2_T3_mT5_T4_T7_jPT6_SI_bb
; %bb.0:
	s_load_dword s3, s[4:5], 0x28
	s_load_dwordx4 s[8:11], s[4:5], 0x0
	s_load_dwordx2 s[0:1], s[4:5], 0x10
	s_mul_i32 s2, s6, 0x1800
	v_lshlrev_b32_e32 v19, 1, v0
	s_waitcnt lgkmcnt(0)
	s_add_i32 s7, s3, -1
	s_mul_i32 s12, s7, 0x1800
	s_sub_u32 s22, s0, s12
	s_subb_u32 s23, s1, 0
	s_mov_b32 s3, 0
	s_cmp_lg_u32 s6, s7
	s_cselect_b64 s[12:13], -1, 0
	s_lshl_b64 s[14:15], s[2:3], 1
	s_add_u32 s2, s8, s14
	s_addc_u32 s3, s9, s15
	s_mov_b64 s[0:1], -1
	s_and_b64 vcc, exec, s[12:13]
	s_cbranch_vccz .LBB77_2
; %bb.1:
	v_mov_b32_e32 v1, s3
	v_add_co_u32_e32 v3, vcc, s2, v19
	v_addc_co_u32_e32 v4, vcc, 0, v1, vcc
	v_add_co_u32_e32 v1, vcc, 0x1000, v3
	v_addc_co_u32_e32 v2, vcc, 0, v4, vcc
	global_load_ushort v5, v19, s[2:3]
	global_load_ushort v6, v19, s[2:3] offset:512
	global_load_ushort v7, v19, s[2:3] offset:1024
	;; [unrolled: 1-line block ×7, first 2 shown]
	global_load_ushort v13, v[1:2], off
	global_load_ushort v14, v[1:2], off offset:512
	global_load_ushort v15, v[1:2], off offset:1024
	;; [unrolled: 1-line block ×7, first 2 shown]
	v_add_co_u32_e32 v1, vcc, 0x2000, v3
	v_addc_co_u32_e32 v2, vcc, 0, v4, vcc
	global_load_ushort v3, v[1:2], off
	global_load_ushort v4, v[1:2], off offset:512
	global_load_ushort v22, v[1:2], off offset:1024
	;; [unrolled: 1-line block ×7, first 2 shown]
	s_mov_b64 s[0:1], 0
	s_waitcnt vmcnt(23)
	ds_write_b16 v19, v5
	s_waitcnt vmcnt(22)
	ds_write_b16 v19, v6 offset:512
	s_waitcnt vmcnt(21)
	ds_write_b16 v19, v7 offset:1024
	;; [unrolled: 2-line block ×23, first 2 shown]
	s_waitcnt lgkmcnt(0)
	s_barrier
.LBB77_2:
	s_andn2_b64 vcc, exec, s[0:1]
	v_cmp_gt_u32_e64 s[0:1], s22, v0
	s_cbranch_vccnz .LBB77_52
; %bb.3:
	v_mov_b32_e32 v1, 0
	global_load_ushort v3, v1, s[2:3]
	v_mov_b32_e32 v2, s3
	v_add_co_u32_e32 v1, vcc, s2, v19
	v_addc_co_u32_e32 v2, vcc, 0, v2, vcc
	s_waitcnt vmcnt(0)
	v_mov_b32_e32 v4, v3
	s_and_saveexec_b64 s[2:3], s[0:1]
	s_cbranch_execz .LBB77_5
; %bb.4:
	global_load_ushort v4, v[1:2], off
.LBB77_5:
	s_or_b64 exec, exec, s[2:3]
	v_or_b32_e32 v5, 0x100, v0
	v_cmp_gt_u32_e32 vcc, s22, v5
	v_mov_b32_e32 v5, v3
	s_and_saveexec_b64 s[0:1], vcc
	s_cbranch_execz .LBB77_7
; %bb.6:
	global_load_ushort v5, v[1:2], off offset:512
.LBB77_7:
	s_or_b64 exec, exec, s[0:1]
	v_or_b32_e32 v6, 0x200, v0
	v_cmp_gt_u32_e32 vcc, s22, v6
	v_mov_b32_e32 v6, v3
	s_and_saveexec_b64 s[0:1], vcc
	s_cbranch_execz .LBB77_9
; %bb.8:
	global_load_ushort v6, v[1:2], off offset:1024
.LBB77_9:
	;; [unrolled: 9-line block ×7, first 2 shown]
	s_or_b64 exec, exec, s[0:1]
	v_or_b32_e32 v12, 0x800, v0
	v_cmp_gt_u32_e32 vcc, s22, v12
	v_mov_b32_e32 v12, v3
	s_and_saveexec_b64 s[0:1], vcc
	s_cbranch_execz .LBB77_21
; %bb.20:
	v_add_co_u32_e32 v12, vcc, 0x1000, v1
	v_addc_co_u32_e32 v13, vcc, 0, v2, vcc
	global_load_ushort v12, v[12:13], off
.LBB77_21:
	s_or_b64 exec, exec, s[0:1]
	v_or_b32_e32 v13, 0x900, v0
	v_cmp_gt_u32_e32 vcc, s22, v13
	v_mov_b32_e32 v13, v3
	s_and_saveexec_b64 s[0:1], vcc
	s_cbranch_execz .LBB77_23
; %bb.22:
	v_add_co_u32_e32 v13, vcc, 0x1000, v1
	v_addc_co_u32_e32 v14, vcc, 0, v2, vcc
	global_load_ushort v13, v[13:14], off offset:512
.LBB77_23:
	s_or_b64 exec, exec, s[0:1]
	v_or_b32_e32 v14, 0xa00, v0
	v_cmp_gt_u32_e32 vcc, s22, v14
	v_mov_b32_e32 v14, v3
	s_and_saveexec_b64 s[0:1], vcc
	s_cbranch_execz .LBB77_25
; %bb.24:
	v_add_co_u32_e32 v14, vcc, 0x1000, v1
	v_addc_co_u32_e32 v15, vcc, 0, v2, vcc
	global_load_ushort v14, v[14:15], off offset:1024
.LBB77_25:
	;; [unrolled: 11-line block ×7, first 2 shown]
	s_or_b64 exec, exec, s[0:1]
	v_or_b32_e32 v21, 0x1000, v0
	v_cmp_gt_u32_e32 vcc, s22, v21
	v_mov_b32_e32 v21, v3
	s_and_saveexec_b64 s[0:1], vcc
	s_cbranch_execz .LBB77_37
; %bb.36:
	v_add_co_u32_e32 v21, vcc, 0x2000, v1
	v_addc_co_u32_e32 v22, vcc, 0, v2, vcc
	global_load_ushort v21, v[21:22], off
.LBB77_37:
	s_or_b64 exec, exec, s[0:1]
	v_or_b32_e32 v22, 0x1100, v0
	v_cmp_gt_u32_e32 vcc, s22, v22
	v_mov_b32_e32 v22, v3
	s_and_saveexec_b64 s[0:1], vcc
	s_cbranch_execz .LBB77_39
; %bb.38:
	v_add_co_u32_e32 v22, vcc, 0x2000, v1
	v_addc_co_u32_e32 v23, vcc, 0, v2, vcc
	global_load_ushort v22, v[22:23], off offset:512
.LBB77_39:
	s_or_b64 exec, exec, s[0:1]
	v_or_b32_e32 v23, 0x1200, v0
	v_cmp_gt_u32_e32 vcc, s22, v23
	v_mov_b32_e32 v23, v3
	s_and_saveexec_b64 s[0:1], vcc
	s_cbranch_execz .LBB77_41
; %bb.40:
	v_add_co_u32_e32 v23, vcc, 0x2000, v1
	v_addc_co_u32_e32 v24, vcc, 0, v2, vcc
	global_load_ushort v23, v[23:24], off offset:1024
.LBB77_41:
	;; [unrolled: 11-line block ×6, first 2 shown]
	s_or_b64 exec, exec, s[0:1]
	v_or_b32_e32 v28, 0x1700, v0
	v_cmp_gt_u32_e32 vcc, s22, v28
	s_and_saveexec_b64 s[0:1], vcc
	s_cbranch_execz .LBB77_51
; %bb.50:
	v_add_co_u32_e32 v1, vcc, 0x2000, v1
	v_addc_co_u32_e32 v2, vcc, 0, v2, vcc
	global_load_ushort v3, v[1:2], off offset:3584
.LBB77_51:
	s_or_b64 exec, exec, s[0:1]
	s_waitcnt vmcnt(0)
	ds_write_b16 v19, v4
	ds_write_b16 v19, v5 offset:512
	ds_write_b16 v19, v6 offset:1024
	;; [unrolled: 1-line block ×23, first 2 shown]
	s_waitcnt lgkmcnt(0)
	s_barrier
.LBB77_52:
	v_mul_u32_u24_e32 v20, 48, v0
	ds_read_b128 v[9:12], v20
	ds_read_b128 v[5:8], v20 offset:16
	ds_read_b128 v[1:4], v20 offset:32
	s_load_dwordx2 s[16:17], s[4:5], 0x20
	s_cmp_lg_u32 s6, 0
	v_mbcnt_lo_u32_b32 v35, -1, 0
	s_waitcnt lgkmcnt(0)
	v_lshrrev_b32_e32 v31, 16, v9
	v_lshrrev_b32_e32 v30, 16, v10
	;; [unrolled: 1-line block ×12, first 2 shown]
	v_cmp_lt_f16_e32 vcc, v9, v31
	v_lshrrev_b32_e32 v32, 6, v0
	v_or_b32_e32 v33, 63, v0
	s_barrier
	s_cbranch_scc0 .LBB77_74
; %bb.53:
	v_cndmask_b32_e32 v13, v9, v31, vcc
	v_cmp_lt_f16_e32 vcc, v13, v10
	v_cndmask_b32_e32 v13, v13, v10, vcc
	v_cmp_lt_f16_e32 vcc, v13, v30
	v_cndmask_b32_e32 v13, v13, v30, vcc
	v_cmp_lt_f16_e32 vcc, v13, v11
	v_cndmask_b32_e32 v13, v13, v11, vcc
	v_cmp_lt_f16_e32 vcc, v13, v29
	v_cndmask_b32_e32 v13, v13, v29, vcc
	v_cmp_lt_f16_e32 vcc, v13, v12
	v_cndmask_b32_e32 v13, v13, v12, vcc
	v_cmp_lt_f16_e32 vcc, v13, v28
	v_cndmask_b32_e32 v13, v13, v28, vcc
	v_cmp_lt_f16_e32 vcc, v13, v5
	v_cndmask_b32_e32 v13, v13, v5, vcc
	v_cmp_lt_f16_e32 vcc, v13, v27
	v_cndmask_b32_e32 v13, v13, v27, vcc
	v_cmp_lt_f16_e32 vcc, v13, v6
	v_cndmask_b32_e32 v13, v13, v6, vcc
	v_cmp_lt_f16_e32 vcc, v13, v26
	v_cndmask_b32_e32 v13, v13, v26, vcc
	v_cmp_lt_f16_e32 vcc, v13, v7
	v_cndmask_b32_e32 v13, v13, v7, vcc
	v_cmp_lt_f16_e32 vcc, v13, v25
	v_cndmask_b32_e32 v13, v13, v25, vcc
	v_cmp_lt_f16_e32 vcc, v13, v8
	v_cndmask_b32_e32 v13, v13, v8, vcc
	v_cmp_lt_f16_e32 vcc, v13, v24
	v_cndmask_b32_e32 v13, v13, v24, vcc
	v_cmp_lt_f16_e32 vcc, v13, v1
	v_cndmask_b32_e32 v13, v13, v1, vcc
	v_cmp_lt_f16_e32 vcc, v13, v23
	v_cndmask_b32_e32 v13, v13, v23, vcc
	v_cmp_lt_f16_e32 vcc, v13, v2
	v_cndmask_b32_e32 v13, v13, v2, vcc
	v_cmp_lt_f16_e32 vcc, v13, v22
	v_cndmask_b32_e32 v13, v13, v22, vcc
	v_cmp_lt_f16_e32 vcc, v13, v3
	v_cndmask_b32_e32 v13, v13, v3, vcc
	v_cmp_lt_f16_e32 vcc, v13, v21
	v_cndmask_b32_e32 v13, v13, v21, vcc
	v_cmp_lt_f16_e32 vcc, v13, v4
	v_cndmask_b32_e32 v13, v13, v4, vcc
	v_cmp_lt_f16_e32 vcc, v13, v34
	v_cndmask_b32_e32 v13, v13, v34, vcc
	v_mbcnt_hi_u32_b32 v18, -1, v35
	v_and_b32_e32 v15, 0xffff, v13
	v_and_b32_e32 v14, 15, v18
	v_cmp_eq_u32_e32 vcc, 0, v14
	v_mov_b32_dpp v15, v15 row_shr:1 row_mask:0xf bank_mask:0xf
	v_cmp_gt_f16_e64 s[0:1], v13, v15
	s_or_b64 vcc, vcc, s[0:1]
	v_cndmask_b32_e32 v13, v15, v13, vcc
	v_and_b32_e32 v15, 0xffff, v13
	s_nop 1
	v_mov_b32_dpp v15, v15 row_shr:2 row_mask:0xf bank_mask:0xf
	v_cmp_gt_f16_e32 vcc, v13, v15
	v_cndmask_b32_e32 v15, v15, v13, vcc
	v_cmp_lt_u32_e32 vcc, 1, v14
	v_cndmask_b32_e32 v13, v13, v15, vcc
	v_and_b32_e32 v15, 0xffff, v13
	s_nop 1
	v_mov_b32_dpp v15, v15 row_shr:4 row_mask:0xf bank_mask:0xf
	v_cmp_gt_f16_e32 vcc, v13, v15
	v_cndmask_b32_e32 v15, v15, v13, vcc
	v_cmp_lt_u32_e32 vcc, 3, v14
	;; [unrolled: 7-line block ×3, first 2 shown]
	v_cndmask_b32_e32 v13, v13, v15, vcc
	v_and_b32_e32 v14, 0xffff, v13
	v_and_b32_e32 v15, 16, v18
	v_cmp_eq_u32_e32 vcc, 0, v15
	v_mov_b32_dpp v14, v14 row_bcast:15 row_mask:0xf bank_mask:0xf
	v_cmp_gt_f16_e64 s[0:1], v13, v14
	s_or_b64 vcc, vcc, s[0:1]
	v_cndmask_b32_e32 v13, v14, v13, vcc
	v_and_b32_e32 v14, 0xffff, v13
	s_nop 1
	v_mov_b32_dpp v14, v14 row_bcast:31 row_mask:0xf bank_mask:0xf
	v_cmp_gt_f16_e32 vcc, v13, v14
	v_cndmask_b32_e32 v14, v14, v13, vcc
	v_cmp_lt_u32_e32 vcc, 31, v18
	v_cndmask_b32_e32 v13, v13, v14, vcc
	v_cmp_eq_u32_e32 vcc, v0, v33
	s_and_saveexec_b64 s[0:1], vcc
; %bb.54:
	v_lshlrev_b32_e32 v14, 1, v32
	ds_write_b16 v14, v13
; %bb.55:
	s_or_b64 exec, exec, s[0:1]
	v_cmp_gt_u32_e32 vcc, 4, v0
	s_waitcnt lgkmcnt(0)
	s_barrier
	s_and_saveexec_b64 s[2:3], vcc
	s_cbranch_execz .LBB77_57
; %bb.56:
	ds_read_u16 v14, v19
	v_and_b32_e32 v15, 3, v18
	v_cmp_eq_u32_e32 vcc, 0, v15
	s_waitcnt lgkmcnt(0)
	v_and_b32_e32 v16, 0xffff, v14
	s_nop 1
	v_mov_b32_dpp v16, v16 row_shr:1 row_mask:0xf bank_mask:0xf
	v_cmp_lt_f16_e64 s[0:1], v16, v14
	s_or_b64 vcc, vcc, s[0:1]
	v_cndmask_b32_e32 v14, v16, v14, vcc
	v_and_b32_e32 v16, 0xffff, v14
	s_nop 1
	v_mov_b32_dpp v16, v16 row_shr:2 row_mask:0xf bank_mask:0xf
	v_cmp_gt_f16_e32 vcc, v14, v16
	v_cndmask_b32_e32 v16, v16, v14, vcc
	v_cmp_lt_u32_e32 vcc, 1, v15
	v_cndmask_b32_e32 v14, v14, v16, vcc
	ds_write_b16 v19, v14
.LBB77_57:
	s_or_b64 exec, exec, s[2:3]
	v_cmp_gt_u32_e32 vcc, 64, v0
	v_cmp_lt_u32_e64 s[0:1], 63, v0
	s_waitcnt lgkmcnt(0)
	s_barrier
                                        ; implicit-def: $vgpr36
	s_and_saveexec_b64 s[2:3], s[0:1]
	s_cbranch_execz .LBB77_59
; %bb.58:
	v_lshl_add_u32 v14, v32, 1, -2
	ds_read_u16 v36, v14
	s_waitcnt lgkmcnt(0)
	v_cmp_lt_f16_e64 s[0:1], v36, v13
	v_cndmask_b32_e64 v13, v36, v13, s[0:1]
.LBB77_59:
	s_or_b64 exec, exec, s[2:3]
	v_subrev_co_u32_e64 v14, s[0:1], 1, v18
	v_and_b32_e32 v15, 64, v18
	v_cmp_lt_i32_e64 s[2:3], v14, v15
	v_cndmask_b32_e64 v14, v14, v18, s[2:3]
	v_lshlrev_b32_e32 v14, 2, v14
	v_and_b32_e32 v13, 0xffff, v13
	ds_bpermute_b32 v37, v14, v13
	s_and_saveexec_b64 s[18:19], vcc
	s_cbranch_execz .LBB77_79
; %bb.60:
	v_mov_b32_e32 v15, 0
	ds_read_u16 v38, v15 offset:6
	s_and_saveexec_b64 s[2:3], s[0:1]
	s_cbranch_execz .LBB77_62
; %bb.61:
	s_add_i32 s20, s6, 64
	s_mov_b32 s21, 0
	s_lshl_b64 s[20:21], s[20:21], 2
	s_mov_b32 s7, 0x10000
	s_add_u32 s20, s16, s20
	s_waitcnt lgkmcnt(0)
	v_or_b32_sdwa v13, v38, s7 dst_sel:DWORD dst_unused:UNUSED_PAD src0_sel:WORD_0 src1_sel:DWORD
	s_addc_u32 s21, s17, s21
	global_store_dword v15, v13, s[20:21]
.LBB77_62:
	s_or_b64 exec, exec, s[2:3]
	v_xad_u32 v13, v18, -1, s6
	v_add_u32_e32 v14, 64, v13
	v_lshlrev_b64 v[16:17], 2, v[14:15]
	v_mov_b32_e32 v14, s17
	v_add_co_u32_e32 v16, vcc, s16, v16
	v_addc_co_u32_e32 v17, vcc, v14, v17, vcc
	global_load_dword v14, v[16:17], off glc
	s_waitcnt vmcnt(0)
	v_lshrrev_b32_e32 v39, 16, v14
	v_cmp_eq_u16_sdwa s[20:21], v39, v15 src0_sel:BYTE_0 src1_sel:DWORD
	s_and_saveexec_b64 s[2:3], s[20:21]
	s_cbranch_execz .LBB77_66
; %bb.63:
	s_mov_b64 s[20:21], 0
	v_mov_b32_e32 v15, 0
.LBB77_64:                              ; =>This Inner Loop Header: Depth=1
	global_load_dword v14, v[16:17], off glc
	s_waitcnt vmcnt(0)
	v_lshrrev_b32_e32 v39, 16, v14
	v_cmp_ne_u16_sdwa s[24:25], v39, v15 src0_sel:BYTE_0 src1_sel:DWORD
	s_or_b64 s[20:21], s[24:25], s[20:21]
	s_andn2_b64 exec, exec, s[20:21]
	s_cbranch_execnz .LBB77_64
; %bb.65:
	s_or_b64 exec, exec, s[20:21]
.LBB77_66:
	s_or_b64 exec, exec, s[2:3]
	v_and_b32_e32 v48, 63, v18
	v_cmp_ne_u32_e32 vcc, 63, v48
	v_addc_co_u32_e32 v41, vcc, 0, v18, vcc
	v_lshlrev_b32_e32 v41, 2, v41
	v_and_b32_e32 v43, 0xffff, v14
	v_mov_b32_e32 v40, 2
	v_lshlrev_b64 v[15:16], v18, -1
	ds_bpermute_b32 v44, v41, v43
	v_cmp_eq_u16_sdwa s[2:3], v39, v40 src0_sel:BYTE_0 src1_sel:DWORD
	v_and_b32_e32 v17, s3, v16
	v_or_b32_e32 v17, 0x80000000, v17
	v_and_b32_e32 v42, s2, v15
	v_ffbl_b32_e32 v17, v17
	v_add_u32_e32 v17, 32, v17
	v_ffbl_b32_e32 v42, v42
	s_waitcnt lgkmcnt(0)
	v_cmp_gt_f16_e32 vcc, v14, v44
	v_min_u32_e32 v17, v42, v17
	v_add_u32_e32 v42, 1, v18
	v_cndmask_b32_e32 v44, v44, v14, vcc
	v_and_b32_e32 v45, 0xffff, v44
	v_cmp_gt_u32_e32 vcc, v42, v17
	v_cmp_gt_u32_e64 s[2:3], 62, v48
	v_cndmask_b32_e32 v45, v45, v43, vcc
	v_cndmask_b32_e64 v43, 0, 2, s[2:3]
	v_add_lshl_u32 v43, v43, v18, 2
	ds_bpermute_b32 v46, v43, v45
	v_cndmask_b32_e32 v14, v44, v14, vcc
	v_add_u32_e32 v44, 2, v18
	v_cmp_gt_u32_e64 s[2:3], 60, v48
	s_waitcnt lgkmcnt(0)
	v_cmp_gt_f16_e32 vcc, v14, v46
	v_cndmask_b32_e32 v46, v46, v14, vcc
	v_and_b32_e32 v47, 0xffff, v46
	v_cmp_gt_u32_e32 vcc, v44, v17
	v_cndmask_b32_e32 v47, v47, v45, vcc
	v_cndmask_b32_e64 v45, 0, 4, s[2:3]
	v_add_lshl_u32 v45, v45, v18, 2
	ds_bpermute_b32 v49, v45, v47
	v_cndmask_b32_e32 v14, v46, v14, vcc
	v_add_u32_e32 v46, 4, v18
	v_cmp_gt_u32_e64 s[2:3], 56, v48
	s_waitcnt lgkmcnt(0)
	v_cmp_gt_f16_e32 vcc, v14, v49
	v_cndmask_b32_e32 v49, v49, v14, vcc
	v_and_b32_e32 v50, 0xffff, v49
	v_cmp_gt_u32_e32 vcc, v46, v17
	v_cndmask_b32_e32 v50, v50, v47, vcc
	v_cndmask_b32_e64 v47, 0, 8, s[2:3]
	v_add_lshl_u32 v47, v47, v18, 2
	ds_bpermute_b32 v51, v47, v50
	v_cndmask_b32_e32 v14, v49, v14, vcc
	v_add_u32_e32 v49, 8, v18
	v_cmp_gt_u32_e64 s[2:3], 48, v48
	v_cndmask_b32_e64 v48, 0, 16, s[2:3]
	s_waitcnt lgkmcnt(0)
	v_cmp_gt_f16_e32 vcc, v14, v51
	v_cndmask_b32_e32 v51, v51, v14, vcc
	v_and_b32_e32 v52, 0xffff, v51
	v_cmp_gt_u32_e32 vcc, v49, v17
	v_cndmask_b32_e32 v52, v52, v50, vcc
	v_add_lshl_u32 v50, v48, v18, 2
	ds_bpermute_b32 v48, v50, v52
	v_cndmask_b32_e32 v14, v51, v14, vcc
	v_add_u32_e32 v51, 16, v18
	s_waitcnt lgkmcnt(0)
	v_cmp_gt_f16_e32 vcc, v14, v48
	v_cndmask_b32_e32 v48, v48, v14, vcc
	v_and_b32_e32 v53, 0xffff, v48
	v_cmp_gt_u32_e32 vcc, v51, v17
	v_cndmask_b32_e32 v53, v53, v52, vcc
	v_mov_b32_e32 v52, 0x80
	v_lshl_or_b32 v52, v18, 2, v52
	ds_bpermute_b32 v54, v52, v53
	v_add_u32_e32 v53, 32, v18
	v_cndmask_b32_e32 v14, v48, v14, vcc
	v_cmp_gt_u32_e64 s[2:3], v53, v17
	s_waitcnt lgkmcnt(0)
	v_cmp_gt_f16_e32 vcc, v14, v54
	s_or_b64 vcc, s[2:3], vcc
	v_cndmask_b32_e32 v17, v54, v14, vcc
	v_mov_b32_e32 v14, 0
	s_branch .LBB77_70
.LBB77_67:                              ;   in Loop: Header=BB77_70 Depth=1
	s_or_b64 exec, exec, s[20:21]
.LBB77_68:                              ;   in Loop: Header=BB77_70 Depth=1
	s_or_b64 exec, exec, s[2:3]
	v_and_b32_e32 v55, 0xffff, v54
	ds_bpermute_b32 v56, v41, v55
	v_cmp_eq_u16_sdwa s[2:3], v39, v40 src0_sel:BYTE_0 src1_sel:DWORD
	v_and_b32_e32 v17, s3, v16
	v_or_b32_e32 v17, 0x80000000, v17
	v_and_b32_e32 v18, s2, v15
	v_ffbl_b32_e32 v17, v17
	v_add_u32_e32 v17, 32, v17
	v_ffbl_b32_e32 v18, v18
	s_waitcnt lgkmcnt(0)
	v_cmp_gt_f16_e32 vcc, v54, v56
	v_min_u32_e32 v17, v18, v17
	v_cndmask_b32_e32 v18, v56, v54, vcc
	v_and_b32_e32 v56, 0xffff, v18
	v_cmp_gt_u32_e32 vcc, v42, v17
	v_cndmask_b32_e32 v55, v56, v55, vcc
	ds_bpermute_b32 v56, v43, v55
	v_cndmask_b32_e32 v18, v18, v54, vcc
	v_cmp_gt_u32_e64 s[2:3], v53, v17
	v_subrev_u32_e32 v13, 64, v13
	s_waitcnt lgkmcnt(0)
	v_cmp_gt_f16_e32 vcc, v18, v56
	v_cndmask_b32_e32 v54, v56, v18, vcc
	v_and_b32_e32 v56, 0xffff, v54
	v_cmp_gt_u32_e32 vcc, v44, v17
	v_cndmask_b32_e32 v55, v56, v55, vcc
	ds_bpermute_b32 v56, v45, v55
	v_cndmask_b32_e32 v18, v54, v18, vcc
	s_waitcnt lgkmcnt(0)
	v_cmp_gt_f16_e32 vcc, v18, v56
	v_cndmask_b32_e32 v54, v56, v18, vcc
	v_and_b32_e32 v56, 0xffff, v54
	v_cmp_gt_u32_e32 vcc, v46, v17
	v_cndmask_b32_e32 v55, v56, v55, vcc
	ds_bpermute_b32 v56, v47, v55
	v_cndmask_b32_e32 v18, v54, v18, vcc
	;; [unrolled: 8-line block ×4, first 2 shown]
	s_waitcnt lgkmcnt(0)
	v_cmp_gt_f16_e32 vcc, v17, v55
	s_or_b64 vcc, s[2:3], vcc
	v_cndmask_b32_e32 v17, v55, v17, vcc
	v_cmp_lt_f16_e32 vcc, v17, v48
	v_cndmask_b32_e32 v17, v17, v48, vcc
	s_mov_b64 s[2:3], 0
.LBB77_69:                              ;   in Loop: Header=BB77_70 Depth=1
	s_and_b64 vcc, exec, s[2:3]
	s_cbranch_vccnz .LBB77_75
.LBB77_70:                              ; =>This Loop Header: Depth=1
                                        ;     Child Loop BB77_73 Depth 2
	v_cmp_ne_u16_sdwa s[2:3], v39, v40 src0_sel:BYTE_0 src1_sel:DWORD
	v_mov_b32_e32 v48, v17
	s_cmp_lg_u64 s[2:3], exec
	s_mov_b64 s[2:3], -1
                                        ; implicit-def: $vgpr17
                                        ; implicit-def: $vgpr39
	s_cbranch_scc1 .LBB77_69
; %bb.71:                               ;   in Loop: Header=BB77_70 Depth=1
	v_lshlrev_b64 v[17:18], 2, v[13:14]
	v_mov_b32_e32 v39, s17
	v_add_co_u32_e32 v17, vcc, s16, v17
	v_addc_co_u32_e32 v18, vcc, v39, v18, vcc
	global_load_dword v54, v[17:18], off glc
	s_waitcnt vmcnt(0)
	v_lshrrev_b32_e32 v39, 16, v54
	v_cmp_eq_u16_sdwa s[20:21], v39, v14 src0_sel:BYTE_0 src1_sel:DWORD
	s_and_saveexec_b64 s[2:3], s[20:21]
	s_cbranch_execz .LBB77_68
; %bb.72:                               ;   in Loop: Header=BB77_70 Depth=1
	s_mov_b64 s[20:21], 0
.LBB77_73:                              ;   Parent Loop BB77_70 Depth=1
                                        ; =>  This Inner Loop Header: Depth=2
	global_load_dword v54, v[17:18], off glc
	s_waitcnt vmcnt(0)
	v_lshrrev_b32_e32 v39, 16, v54
	v_cmp_ne_u16_sdwa s[24:25], v39, v14 src0_sel:BYTE_0 src1_sel:DWORD
	s_or_b64 s[20:21], s[24:25], s[20:21]
	s_andn2_b64 exec, exec, s[20:21]
	s_cbranch_execnz .LBB77_73
	s_branch .LBB77_67
.LBB77_74:
                                        ; implicit-def: $vgpr14
                                        ; implicit-def: $vgpr13
                                        ; implicit-def: $vgpr15
                                        ; implicit-def: $vgpr16
                                        ; implicit-def: $vgpr17
                                        ; implicit-def: $vgpr18
                                        ; implicit-def: $vgpr37
                                        ; implicit-def: $vgpr39
                                        ; implicit-def: $vgpr36
                                        ; implicit-def: $vgpr38
                                        ; implicit-def: $vgpr40
                                        ; implicit-def: $vgpr41
                                        ; implicit-def: $vgpr42
                                        ; implicit-def: $vgpr43
                                        ; implicit-def: $vgpr45
                                        ; implicit-def: $vgpr47
                                        ; implicit-def: $vgpr44
                                        ; implicit-def: $vgpr46
                                        ; implicit-def: $vgpr48
                                        ; implicit-def: $vgpr49
                                        ; implicit-def: $vgpr50
                                        ; implicit-def: $vgpr51
                                        ; implicit-def: $vgpr52
                                        ; implicit-def: $vgpr53
	s_load_dwordx4 s[0:3], s[4:5], 0x30
	s_cbranch_execnz .LBB77_80
	s_branch .LBB77_91
.LBB77_75:
	s_and_saveexec_b64 s[2:3], s[0:1]
	s_cbranch_execz .LBB77_77
; %bb.76:
	v_cmp_lt_f16_e32 vcc, v48, v38
	v_cndmask_b32_e32 v13, v48, v38, vcc
	s_mov_b32 s7, 0x20000
	v_or_b32_sdwa v13, v13, s7 dst_sel:DWORD dst_unused:UNUSED_PAD src0_sel:WORD_0 src1_sel:DWORD
	s_add_i32 s6, s6, 64
	s_mov_b32 s7, 0
	s_lshl_b64 s[6:7], s[6:7], 2
	s_add_u32 s6, s16, s6
	s_addc_u32 s7, s17, s7
	v_mov_b32_e32 v14, 0
	global_store_dword v14, v13, s[6:7]
.LBB77_77:
	s_or_b64 exec, exec, s[2:3]
	v_cmp_eq_u32_e32 vcc, 0, v0
	s_and_b64 exec, exec, vcc
; %bb.78:
	v_mov_b32_e32 v13, 0
	ds_write_b16 v13, v48 offset:6
.LBB77_79:
	s_or_b64 exec, exec, s[18:19]
	v_mov_b32_e32 v13, 0
	s_waitcnt vmcnt(0) lgkmcnt(0)
	s_barrier
	ds_read_u16 v13, v13 offset:6
	v_cndmask_b32_e64 v14, v37, v36, s[0:1]
	s_waitcnt lgkmcnt(0)
	v_cmp_lt_f16_e32 vcc, v13, v14
	v_cndmask_b32_e32 v14, v13, v14, vcc
	v_cmp_eq_u32_e32 vcc, 0, v0
	v_cndmask_b32_e32 v14, v14, v13, vcc
	v_cmp_lt_f16_e32 vcc, v14, v9
	v_cndmask_b32_e32 v13, v14, v9, vcc
	v_cmp_lt_f16_e32 vcc, v13, v31
	;; [unrolled: 2-line block ×23, first 2 shown]
	v_cndmask_b32_e32 v53, v52, v4, vcc
	s_load_dwordx4 s[0:3], s[4:5], 0x30
	s_branch .LBB77_91
.LBB77_80:
	s_load_dword s6, s[4:5], 0x40
	s_load_dword s7, s[4:5], 0x18
	s_waitcnt lgkmcnt(0)
	s_bitcmp0_b32 s6, 0
	v_mov_b32_e32 v53, s7
	s_cbranch_scc1 .LBB77_82
; %bb.81:
	v_mov_b32_e32 v13, 0
	global_load_ushort v14, v13, s[8:9] offset:-2
	global_load_ushort v15, v13, s[0:1]
	s_waitcnt vmcnt(0)
	v_cmp_lt_f16_e32 vcc, v15, v14
	v_cndmask_b32_e32 v53, v15, v14, vcc
.LBB77_82:
	v_cmp_lt_f16_e32 vcc, v9, v31
	v_cndmask_b32_e32 v13, v9, v31, vcc
	v_cmp_lt_f16_e32 vcc, v13, v10
	v_cndmask_b32_e32 v13, v13, v10, vcc
	;; [unrolled: 2-line block ×23, first 2 shown]
	v_mbcnt_hi_u32_b32 v13, -1, v35
	v_and_b32_e32 v16, 0xffff, v14
	v_and_b32_e32 v15, 15, v13
	v_cmp_eq_u32_e32 vcc, 0, v15
	v_mov_b32_dpp v16, v16 row_shr:1 row_mask:0xf bank_mask:0xf
	v_cmp_gt_f16_e64 s[0:1], v14, v16
	s_or_b64 vcc, vcc, s[0:1]
	v_cndmask_b32_e32 v14, v16, v14, vcc
	v_and_b32_e32 v16, 0xffff, v14
	s_nop 1
	v_mov_b32_dpp v16, v16 row_shr:2 row_mask:0xf bank_mask:0xf
	v_cmp_gt_f16_e32 vcc, v14, v16
	v_cndmask_b32_e32 v16, v16, v14, vcc
	v_cmp_lt_u32_e32 vcc, 1, v15
	v_cndmask_b32_e32 v14, v14, v16, vcc
	v_and_b32_e32 v16, 0xffff, v14
	s_nop 1
	v_mov_b32_dpp v16, v16 row_shr:4 row_mask:0xf bank_mask:0xf
	v_cmp_gt_f16_e32 vcc, v14, v16
	v_cndmask_b32_e32 v16, v16, v14, vcc
	v_cmp_lt_u32_e32 vcc, 3, v15
	;; [unrolled: 7-line block ×3, first 2 shown]
	v_cndmask_b32_e32 v14, v14, v16, vcc
	v_and_b32_e32 v15, 0xffff, v14
	v_and_b32_e32 v16, 16, v13
	v_cmp_eq_u32_e32 vcc, 0, v16
	v_mov_b32_dpp v15, v15 row_bcast:15 row_mask:0xf bank_mask:0xf
	v_cmp_gt_f16_e64 s[0:1], v14, v15
	s_or_b64 vcc, vcc, s[0:1]
	v_cndmask_b32_e32 v14, v15, v14, vcc
	v_and_b32_e32 v15, 0xffff, v14
	s_nop 1
	v_mov_b32_dpp v15, v15 row_bcast:31 row_mask:0xf bank_mask:0xf
	v_cmp_gt_f16_e32 vcc, v14, v15
	v_cndmask_b32_e32 v15, v15, v14, vcc
	v_cmp_lt_u32_e32 vcc, 31, v13
	v_cndmask_b32_e32 v14, v14, v15, vcc
	v_cmp_eq_u32_e32 vcc, v0, v33
	s_and_saveexec_b64 s[0:1], vcc
; %bb.83:
	v_lshlrev_b32_e32 v15, 1, v32
	ds_write_b16 v15, v14
; %bb.84:
	s_or_b64 exec, exec, s[0:1]
	v_cmp_gt_u32_e32 vcc, 4, v0
	s_waitcnt lgkmcnt(0)
	s_barrier
	s_and_saveexec_b64 s[6:7], vcc
	s_cbranch_execz .LBB77_86
; %bb.85:
	s_movk_i32 s0, 0xffd2
	v_mad_i32_i24 v15, v0, s0, v20
	ds_read_u16 v16, v15
	v_and_b32_e32 v17, 3, v13
	v_cmp_eq_u32_e32 vcc, 0, v17
	s_waitcnt lgkmcnt(0)
	v_and_b32_e32 v18, 0xffff, v16
	s_nop 1
	v_mov_b32_dpp v18, v18 row_shr:1 row_mask:0xf bank_mask:0xf
	v_cmp_lt_f16_e64 s[0:1], v18, v16
	s_or_b64 vcc, vcc, s[0:1]
	v_cndmask_b32_e32 v16, v18, v16, vcc
	v_and_b32_e32 v18, 0xffff, v16
	s_nop 1
	v_mov_b32_dpp v18, v18 row_shr:2 row_mask:0xf bank_mask:0xf
	v_cmp_gt_f16_e32 vcc, v16, v18
	v_cndmask_b32_e32 v18, v18, v16, vcc
	v_cmp_lt_u32_e32 vcc, 1, v17
	v_cndmask_b32_e32 v16, v16, v18, vcc
	ds_write_b16 v15, v16
.LBB77_86:
	s_or_b64 exec, exec, s[6:7]
	v_cmp_lt_u32_e32 vcc, 63, v0
	v_mov_b32_e32 v15, v53
	s_waitcnt lgkmcnt(0)
	s_barrier
	s_and_saveexec_b64 s[0:1], vcc
	s_cbranch_execz .LBB77_88
; %bb.87:
	v_lshl_add_u32 v15, v32, 1, -2
	ds_read_u16 v15, v15
	s_waitcnt lgkmcnt(0)
	v_cmp_gt_f16_e32 vcc, v15, v53
	v_cndmask_b32_e32 v15, v53, v15, vcc
.LBB77_88:
	s_or_b64 exec, exec, s[0:1]
	v_cmp_lt_f16_e32 vcc, v15, v14
	v_cndmask_b32_e32 v14, v15, v14, vcc
	v_subrev_co_u32_e32 v16, vcc, 1, v13
	v_and_b32_e32 v17, 64, v13
	v_cmp_lt_i32_e64 s[0:1], v16, v17
	v_cndmask_b32_e64 v13, v16, v13, s[0:1]
	v_lshlrev_b32_e32 v13, 2, v13
	v_and_b32_e32 v14, 0xffff, v14
	ds_bpermute_b32 v13, v13, v14
	v_cmp_eq_u32_e64 s[0:1], 0, v0
	s_waitcnt lgkmcnt(0)
	v_cndmask_b32_e32 v14, v13, v15, vcc
	v_cndmask_b32_e64 v13, v14, v53, s[0:1]
	v_cmp_lt_f16_e32 vcc, v13, v9
	v_cndmask_b32_e32 v13, v13, v9, vcc
	v_cmp_lt_f16_e32 vcc, v13, v31
	v_cndmask_b32_e32 v15, v13, v31, vcc
	v_cmp_lt_f16_e32 vcc, v15, v10
	v_cndmask_b32_e32 v16, v15, v10, vcc
	v_cmp_lt_f16_e32 vcc, v16, v30
	v_cndmask_b32_e32 v17, v16, v30, vcc
	v_cmp_lt_f16_e32 vcc, v17, v11
	v_cndmask_b32_e32 v18, v17, v11, vcc
	v_cmp_lt_f16_e32 vcc, v18, v29
	v_cndmask_b32_e32 v37, v18, v29, vcc
	v_cmp_lt_f16_e32 vcc, v37, v12
	v_cndmask_b32_e32 v39, v37, v12, vcc
	v_cmp_lt_f16_e32 vcc, v39, v28
	v_cndmask_b32_e32 v36, v39, v28, vcc
	v_cmp_lt_f16_e32 vcc, v36, v5
	v_cndmask_b32_e32 v38, v36, v5, vcc
	v_cmp_lt_f16_e32 vcc, v38, v27
	v_cndmask_b32_e32 v40, v38, v27, vcc
	v_cmp_lt_f16_e32 vcc, v40, v6
	v_cndmask_b32_e32 v41, v40, v6, vcc
	v_cmp_lt_f16_e32 vcc, v41, v26
	v_cndmask_b32_e32 v42, v41, v26, vcc
	v_cmp_lt_f16_e32 vcc, v42, v7
	v_cndmask_b32_e32 v43, v42, v7, vcc
	v_cmp_lt_f16_e32 vcc, v43, v25
	v_cndmask_b32_e32 v45, v43, v25, vcc
	v_cmp_lt_f16_e32 vcc, v45, v8
	v_cndmask_b32_e32 v47, v45, v8, vcc
	v_cmp_lt_f16_e32 vcc, v47, v24
	v_cndmask_b32_e32 v44, v47, v24, vcc
	v_cmp_lt_f16_e32 vcc, v44, v1
	v_cndmask_b32_e32 v46, v44, v1, vcc
	v_cmp_lt_f16_e32 vcc, v46, v23
	v_cndmask_b32_e32 v48, v46, v23, vcc
	v_cmp_lt_f16_e32 vcc, v48, v2
	v_cndmask_b32_e32 v49, v48, v2, vcc
	v_cmp_lt_f16_e32 vcc, v49, v22
	v_cndmask_b32_e32 v50, v49, v22, vcc
	v_cmp_lt_f16_e32 vcc, v50, v3
	v_cndmask_b32_e32 v51, v50, v3, vcc
	v_cmp_lt_f16_e32 vcc, v51, v21
	v_cndmask_b32_e32 v52, v51, v21, vcc
	v_cmp_lt_f16_e32 vcc, v52, v4
	s_and_saveexec_b64 s[6:7], s[0:1]
	s_cbranch_execz .LBB77_90
; %bb.89:
	v_mov_b32_e32 v1, 0
	ds_read_u16 v2, v1 offset:6
	s_mov_b32 s8, 0x20000
	v_mov_b32_e32 v14, v53
	s_waitcnt lgkmcnt(0)
	v_cmp_gt_f16_e64 s[0:1], v2, v53
	v_cndmask_b32_e64 v2, v53, v2, s[0:1]
	v_or_b32_sdwa v2, v2, s8 dst_sel:DWORD dst_unused:UNUSED_PAD src0_sel:WORD_0 src1_sel:DWORD
	global_store_dword v1, v2, s[16:17] offset:256
.LBB77_90:
	s_or_b64 exec, exec, s[6:7]
	v_cndmask_b32_e32 v53, v52, v4, vcc
.LBB77_91:
	s_waitcnt lgkmcnt(0)
	s_add_u32 s0, s10, s14
	s_addc_u32 s1, s11, s15
	s_mov_b64 s[6:7], -1
	s_and_b64 vcc, exec, s[12:13]
	s_waitcnt vmcnt(0)
	s_barrier
	s_cbranch_vccz .LBB77_93
; %bb.92:
	s_mov_b32 s6, 0x5040100
	v_perm_b32 v4, v39, v37, s6
	v_perm_b32 v3, v18, v17, s6
	;; [unrolled: 1-line block ×4, first 2 shown]
	ds_write_b128 v20, v[1:4]
	v_perm_b32 v4, v47, v45, s6
	v_perm_b32 v3, v43, v42, s6
	;; [unrolled: 1-line block ×4, first 2 shown]
	ds_write_b128 v20, v[1:4] offset:16
	v_perm_b32 v4, v53, v52, s6
	v_perm_b32 v3, v51, v50, s6
	v_perm_b32 v2, v49, v48, s6
	v_perm_b32 v1, v46, v44, s6
	v_mov_b32_e32 v33, s1
	v_add_co_u32_e32 v34, vcc, s0, v19
	ds_write_b128 v20, v[1:4] offset:32
	s_waitcnt lgkmcnt(0)
	s_barrier
	ds_read_u16 v1, v19
	ds_read_u16 v2, v19 offset:512
	ds_read_u16 v3, v19 offset:1024
	;; [unrolled: 1-line block ×23, first 2 shown]
	v_addc_co_u32_e32 v33, vcc, 0, v33, vcc
	s_movk_i32 s6, 0x1000
	s_waitcnt lgkmcnt(14)
	global_store_short v19, v1, s[0:1]
	global_store_short v19, v2, s[0:1] offset:512
	global_store_short v19, v3, s[0:1] offset:1024
	;; [unrolled: 1-line block ×7, first 2 shown]
	v_add_co_u32_e32 v1, vcc, s6, v34
	v_addc_co_u32_e32 v2, vcc, 0, v33, vcc
	global_store_short v[1:2], v9, off
	global_store_short v[1:2], v10, off offset:512
	s_waitcnt lgkmcnt(13)
	global_store_short v[1:2], v11, off offset:1024
	s_waitcnt lgkmcnt(12)
	global_store_short v[1:2], v12, off offset:1536
	s_waitcnt lgkmcnt(11)
	global_store_short v[1:2], v21, off offset:2048
	s_waitcnt lgkmcnt(10)
	global_store_short v[1:2], v22, off offset:2560
	s_waitcnt lgkmcnt(9)
	global_store_short v[1:2], v23, off offset:3072
	s_waitcnt lgkmcnt(8)
	global_store_short v[1:2], v24, off offset:3584
	v_add_co_u32_e32 v1, vcc, 0x2000, v34
	v_addc_co_u32_e32 v2, vcc, 0, v33, vcc
	s_waitcnt lgkmcnt(7)
	global_store_short v[1:2], v25, off
	s_waitcnt lgkmcnt(6)
	global_store_short v[1:2], v26, off offset:512
	s_waitcnt lgkmcnt(5)
	global_store_short v[1:2], v27, off offset:1024
	s_waitcnt lgkmcnt(4)
	global_store_short v[1:2], v28, off offset:1536
	s_waitcnt lgkmcnt(3)
	global_store_short v[1:2], v29, off offset:2048
	s_waitcnt lgkmcnt(2)
	global_store_short v[1:2], v30, off offset:2560
	s_waitcnt lgkmcnt(1)
	global_store_short v[1:2], v31, off offset:3072
	s_waitcnt lgkmcnt(0)
	global_store_short v[1:2], v32, off offset:3584
	s_mov_b64 s[6:7], 0
.LBB77_93:
	s_andn2_b64 vcc, exec, s[6:7]
	s_cbranch_vccnz .LBB77_150
; %bb.94:
	s_mov_b32 s6, 0x5040100
	v_perm_b32 v4, v39, v37, s6
	v_perm_b32 v3, v18, v17, s6
	;; [unrolled: 1-line block ×4, first 2 shown]
	ds_write_b128 v20, v[1:4]
	v_perm_b32 v4, v47, v45, s6
	v_perm_b32 v3, v43, v42, s6
	;; [unrolled: 1-line block ×4, first 2 shown]
	ds_write_b128 v20, v[1:4] offset:16
	v_perm_b32 v4, v53, v52, s6
	v_perm_b32 v3, v51, v50, s6
	;; [unrolled: 1-line block ×4, first 2 shown]
	s_movk_i32 s6, 0xffd2
	ds_write_b128 v20, v[1:4] offset:32
	v_mad_i32_i24 v2, v0, s6, v20
	s_waitcnt vmcnt(0) lgkmcnt(0)
	s_barrier
	ds_read_u16 v5, v2
	ds_read_u16 v4, v2 offset:512
	ds_read_u16 v7, v2 offset:1024
	;; [unrolled: 1-line block ×23, first 2 shown]
	v_mov_b32_e32 v3, s1
	v_add_co_u32_e32 v2, vcc, s0, v19
	v_addc_co_u32_e32 v3, vcc, 0, v3, vcc
	v_mov_b32_e32 v1, 0
	v_cmp_gt_u32_e32 vcc, s22, v0
	s_and_saveexec_b64 s[0:1], vcc
	s_cbranch_execz .LBB77_96
; %bb.95:
	s_waitcnt lgkmcnt(14)
	global_store_short v[2:3], v5, off
.LBB77_96:
	s_or_b64 exec, exec, s[0:1]
	v_or_b32_e32 v19, 0x100, v0
	v_cmp_gt_u32_e32 vcc, s22, v19
	s_and_saveexec_b64 s[0:1], vcc
	s_cbranch_execz .LBB77_98
; %bb.97:
	s_waitcnt lgkmcnt(14)
	global_store_short v[2:3], v4, off offset:512
.LBB77_98:
	s_or_b64 exec, exec, s[0:1]
	v_or_b32_e32 v19, 0x200, v0
	v_cmp_gt_u32_e32 vcc, s22, v19
	s_and_saveexec_b64 s[0:1], vcc
	s_cbranch_execz .LBB77_100
; %bb.99:
	s_waitcnt lgkmcnt(14)
	global_store_short v[2:3], v7, off offset:1024
.LBB77_100:
	s_or_b64 exec, exec, s[0:1]
	v_or_b32_e32 v19, 0x300, v0
	v_cmp_gt_u32_e32 vcc, s22, v19
	s_and_saveexec_b64 s[0:1], vcc
	s_cbranch_execz .LBB77_102
; %bb.101:
	s_waitcnt lgkmcnt(14)
	global_store_short v[2:3], v8, off offset:1536
.LBB77_102:
	s_or_b64 exec, exec, s[0:1]
	v_or_b32_e32 v19, 0x400, v0
	v_cmp_gt_u32_e32 vcc, s22, v19
	s_and_saveexec_b64 s[0:1], vcc
	s_cbranch_execz .LBB77_104
; %bb.103:
	s_waitcnt lgkmcnt(14)
	global_store_short v[2:3], v6, off offset:2048
.LBB77_104:
	s_or_b64 exec, exec, s[0:1]
	v_or_b32_e32 v19, 0x500, v0
	v_cmp_gt_u32_e32 vcc, s22, v19
	s_and_saveexec_b64 s[0:1], vcc
	s_cbranch_execz .LBB77_106
; %bb.105:
	s_waitcnt lgkmcnt(14)
	global_store_short v[2:3], v9, off offset:2560
.LBB77_106:
	s_or_b64 exec, exec, s[0:1]
	v_or_b32_e32 v19, 0x600, v0
	v_cmp_gt_u32_e32 vcc, s22, v19
	s_and_saveexec_b64 s[0:1], vcc
	s_cbranch_execz .LBB77_108
; %bb.107:
	s_waitcnt lgkmcnt(14)
	global_store_short v[2:3], v13, off offset:3072
.LBB77_108:
	s_or_b64 exec, exec, s[0:1]
	v_or_b32_e32 v19, 0x700, v0
	v_cmp_gt_u32_e32 vcc, s22, v19
	s_and_saveexec_b64 s[0:1], vcc
	s_cbranch_execz .LBB77_110
; %bb.109:
	s_waitcnt lgkmcnt(14)
	global_store_short v[2:3], v14, off offset:3584
.LBB77_110:
	s_or_b64 exec, exec, s[0:1]
	v_or_b32_e32 v19, 0x800, v0
	v_cmp_gt_u32_e32 vcc, s22, v19
	s_and_saveexec_b64 s[0:1], vcc
	s_cbranch_execz .LBB77_112
; %bb.111:
	v_add_co_u32_e32 v29, vcc, 0x1000, v2
	v_addc_co_u32_e32 v30, vcc, 0, v3, vcc
	s_waitcnt lgkmcnt(14)
	global_store_short v[29:30], v18, off
.LBB77_112:
	s_or_b64 exec, exec, s[0:1]
	v_or_b32_e32 v19, 0x900, v0
	v_cmp_gt_u32_e32 vcc, s22, v19
	s_and_saveexec_b64 s[0:1], vcc
	s_cbranch_execz .LBB77_114
; %bb.113:
	v_add_co_u32_e32 v29, vcc, 0x1000, v2
	v_addc_co_u32_e32 v30, vcc, 0, v3, vcc
	s_waitcnt lgkmcnt(14)
	global_store_short v[29:30], v23, off offset:512
.LBB77_114:
	s_or_b64 exec, exec, s[0:1]
	v_or_b32_e32 v19, 0xa00, v0
	v_cmp_gt_u32_e32 vcc, s22, v19
	s_and_saveexec_b64 s[0:1], vcc
	s_cbranch_execz .LBB77_116
; %bb.115:
	v_add_co_u32_e32 v29, vcc, 0x1000, v2
	v_addc_co_u32_e32 v30, vcc, 0, v3, vcc
	s_waitcnt lgkmcnt(13)
	global_store_short v[29:30], v22, off offset:1024
.LBB77_116:
	;; [unrolled: 11-line block ×7, first 2 shown]
	s_or_b64 exec, exec, s[0:1]
	v_or_b32_e32 v19, 0x1000, v0
	v_cmp_gt_u32_e32 vcc, s22, v19
	s_and_saveexec_b64 s[0:1], vcc
	s_cbranch_execz .LBB77_128
; %bb.127:
	v_add_co_u32_e32 v29, vcc, 0x2000, v2
	v_addc_co_u32_e32 v30, vcc, 0, v3, vcc
	s_waitcnt lgkmcnt(7)
	global_store_short v[29:30], v24, off
.LBB77_128:
	s_or_b64 exec, exec, s[0:1]
	v_or_b32_e32 v19, 0x1100, v0
	v_cmp_gt_u32_e32 vcc, s22, v19
	s_and_saveexec_b64 s[0:1], vcc
	s_cbranch_execz .LBB77_130
; %bb.129:
	v_add_co_u32_e32 v29, vcc, 0x2000, v2
	v_addc_co_u32_e32 v30, vcc, 0, v3, vcc
	s_waitcnt lgkmcnt(6)
	global_store_short v[29:30], v26, off offset:512
.LBB77_130:
	s_or_b64 exec, exec, s[0:1]
	v_or_b32_e32 v19, 0x1200, v0
	v_cmp_gt_u32_e32 vcc, s22, v19
	s_and_saveexec_b64 s[0:1], vcc
	s_cbranch_execz .LBB77_132
; %bb.131:
	v_add_co_u32_e32 v29, vcc, 0x2000, v2
	v_addc_co_u32_e32 v30, vcc, 0, v3, vcc
	s_waitcnt lgkmcnt(5)
	global_store_short v[29:30], v27, off offset:1024
.LBB77_132:
	;; [unrolled: 11-line block ×7, first 2 shown]
	s_or_b64 exec, exec, s[0:1]
	s_load_dword s0, s[4:5], 0x40
	s_waitcnt lgkmcnt(0)
	s_bfe_u32 s0, s0, 0x10008
	s_cmp_eq_u32 s0, 0
	s_cbranch_scc1 .LBB77_150
; %bb.143:
	s_add_u32 s0, s22, -1
	s_addc_u32 s1, s23, -1
	s_mul_i32 s7, s1, 0xaaaaaaab
	s_mul_hi_u32 s8, s0, 0xaaaaaaab
	s_mul_hi_u32 s6, s1, 0xaaaaaaab
	s_add_u32 s7, s7, s8
	s_mul_i32 s5, s0, 0xaaaaaaaa
	s_addc_u32 s6, s6, 0
	s_mul_hi_u32 s4, s0, 0xaaaaaaaa
	s_add_u32 s5, s5, s7
	s_addc_u32 s4, s4, 0
	s_add_u32 s4, s6, s4
	s_addc_u32 s5, 0, 0
	s_mul_i32 s7, s1, 0xaaaaaaaa
	s_mul_hi_u32 s6, s1, 0xaaaaaaaa
	s_add_u32 s4, s7, s4
	s_addc_u32 s5, s6, s5
	s_lshr_b64 s[4:5], s[4:5], 4
	v_cmp_eq_u64_e32 vcc, s[4:5], v[0:1]
	s_and_saveexec_b64 s[4:5], vcc
	s_cbranch_execz .LBB77_150
; %bb.144:
	v_mul_hi_u32_u24_e32 v1, 24, v0
	v_mul_u32_u24_e32 v0, 24, v0
	v_mov_b32_e32 v2, s1
	v_sub_co_u32_e32 v0, vcc, s0, v0
	v_subb_co_u32_e32 v1, vcc, v2, v1, vcc
	v_cmp_lt_i64_e32 vcc, 11, v[0:1]
	s_mov_b64 s[0:1], 0
	s_mov_b64 s[10:11], 0
	;; [unrolled: 1-line block ×4, first 2 shown]
	s_and_saveexec_b64 s[4:5], vcc
	s_xor_b64 s[4:5], exec, s[4:5]
	s_cbranch_execnz .LBB77_151
; %bb.145:
	s_andn2_saveexec_b64 s[4:5], s[4:5]
	s_cbranch_execnz .LBB77_196
.LBB77_146:
	s_or_b64 exec, exec, s[4:5]
	s_and_saveexec_b64 s[4:5], s[10:11]
	s_cbranch_execnz .LBB77_213
.LBB77_147:
	s_or_b64 exec, exec, s[4:5]
	s_and_saveexec_b64 s[4:5], s[8:9]
	s_cbranch_execnz .LBB77_214
.LBB77_148:
	s_or_b64 exec, exec, s[4:5]
	s_and_saveexec_b64 s[4:5], s[6:7]
	s_xor_b64 s[4:5], exec, s[4:5]
	s_cbranch_execnz .LBB77_215
.LBB77_149:
	s_or_b64 exec, exec, s[4:5]
	s_and_b64 exec, exec, s[0:1]
	s_cbranch_execnz .LBB77_216
.LBB77_150:
	s_endpgm
.LBB77_151:
	v_cmp_lt_i64_e32 vcc, 17, v[0:1]
	s_and_saveexec_b64 s[12:13], vcc
	s_xor_b64 s[12:13], exec, s[12:13]
	s_cbranch_execz .LBB77_173
; %bb.152:
	v_cmp_lt_i64_e32 vcc, 20, v[0:1]
	s_and_saveexec_b64 s[14:15], vcc
	s_xor_b64 s[14:15], exec, s[14:15]
	s_cbranch_execz .LBB77_162
; %bb.153:
	v_cmp_lt_i64_e32 vcc, 21, v[0:1]
	s_mov_b64 s[16:17], 0
	s_and_saveexec_b64 s[6:7], vcc
	s_xor_b64 s[6:7], exec, s[6:7]
	s_cbranch_execz .LBB77_159
; %bb.154:
	v_cmp_lt_i64_e32 vcc, 22, v[0:1]
	s_and_saveexec_b64 s[16:17], vcc
	s_xor_b64 s[16:17], exec, s[16:17]
	s_cbranch_execz .LBB77_156
; %bb.155:
	v_mov_b32_e32 v2, 0
	global_store_short v2, v28, s[2:3]
.LBB77_156:
	s_or_saveexec_b64 s[16:17], s[16:17]
	s_mov_b64 s[18:19], 0
	s_xor_b64 exec, exec, s[16:17]
; %bb.157:
	s_mov_b64 s[18:19], exec
; %bb.158:
	s_or_b64 exec, exec, s[16:17]
	s_and_b64 s[16:17], s[18:19], exec
.LBB77_159:
	s_andn2_saveexec_b64 s[6:7], s[6:7]
; %bb.160:
	s_mov_b64 s[8:9], exec
; %bb.161:
	s_or_b64 exec, exec, s[6:7]
	s_and_b64 s[6:7], s[16:17], exec
	s_and_b64 s[8:9], s[8:9], exec
                                        ; implicit-def: $vgpr27
                                        ; implicit-def: $vgpr25
.LBB77_162:
	s_andn2_saveexec_b64 s[14:15], s[14:15]
	s_cbranch_execz .LBB77_172
; %bb.163:
	v_cmp_lt_i64_e32 vcc, 18, v[0:1]
	s_mov_b64 s[16:17], 0
	s_and_saveexec_b64 s[10:11], vcc
	s_xor_b64 s[10:11], exec, s[10:11]
	s_cbranch_execz .LBB77_169
; %bb.164:
	v_cmp_lt_i64_e32 vcc, 19, v[0:1]
	s_and_saveexec_b64 s[18:19], vcc
	s_xor_b64 s[18:19], exec, s[18:19]
; %bb.165:
	s_mov_b64 s[16:17], exec
                                        ; implicit-def: $vgpr25
; %bb.166:
	s_andn2_saveexec_b64 s[18:19], s[18:19]
	s_cbranch_execz .LBB77_168
; %bb.167:
	v_mov_b32_e32 v2, 0
	global_store_short v2, v25, s[2:3]
.LBB77_168:
	s_or_b64 exec, exec, s[18:19]
	s_and_b64 s[16:17], s[16:17], exec
                                        ; implicit-def: $vgpr27
.LBB77_169:
	s_andn2_saveexec_b64 s[10:11], s[10:11]
	s_cbranch_execz .LBB77_171
; %bb.170:
	v_mov_b32_e32 v2, 0
	global_store_short v2, v27, s[2:3]
.LBB77_171:
	s_or_b64 exec, exec, s[10:11]
	s_and_b64 s[10:11], s[16:17], exec
.LBB77_172:
	s_or_b64 exec, exec, s[14:15]
	s_and_b64 s[6:7], s[6:7], exec
	s_and_b64 s[8:9], s[8:9], exec
	;; [unrolled: 1-line block ×3, first 2 shown]
                                        ; implicit-def: $vgpr17
                                        ; implicit-def: $vgpr15
                                        ; implicit-def: $vgpr16
                                        ; implicit-def: $vgpr21
                                        ; implicit-def: $vgpr24
                                        ; implicit-def: $vgpr26
.LBB77_173:
	s_andn2_saveexec_b64 s[12:13], s[12:13]
	s_cbranch_execz .LBB77_195
; %bb.174:
	v_cmp_lt_i64_e32 vcc, 14, v[0:1]
	s_mov_b64 s[14:15], s[6:7]
	s_and_saveexec_b64 s[16:17], vcc
	s_xor_b64 s[16:17], exec, s[16:17]
	s_cbranch_execz .LBB77_184
; %bb.175:
	v_cmp_lt_i64_e32 vcc, 15, v[0:1]
	s_and_saveexec_b64 s[14:15], vcc
	s_xor_b64 s[14:15], exec, s[14:15]
	s_cbranch_execz .LBB77_181
; %bb.176:
	v_cmp_lt_i64_e32 vcc, 16, v[0:1]
	s_and_saveexec_b64 s[18:19], vcc
	s_xor_b64 s[18:19], exec, s[18:19]
	s_cbranch_execz .LBB77_178
; %bb.177:
	v_mov_b32_e32 v2, 0
	global_store_short v2, v26, s[2:3]
                                        ; implicit-def: $vgpr24
.LBB77_178:
	s_andn2_saveexec_b64 s[18:19], s[18:19]
	s_cbranch_execz .LBB77_180
; %bb.179:
	v_mov_b32_e32 v2, 0
	global_store_short v2, v24, s[2:3]
.LBB77_180:
	s_or_b64 exec, exec, s[18:19]
.LBB77_181:
	s_or_saveexec_b64 s[14:15], s[14:15]
	s_mov_b64 s[18:19], s[6:7]
	s_xor_b64 exec, exec, s[14:15]
; %bb.182:
	s_or_b64 s[18:19], s[6:7], exec
; %bb.183:
	s_or_b64 exec, exec, s[14:15]
	s_andn2_b64 s[14:15], s[6:7], exec
	s_and_b64 s[18:19], s[18:19], exec
	s_or_b64 s[14:15], s[14:15], s[18:19]
                                        ; implicit-def: $vgpr16
                                        ; implicit-def: $vgpr21
                                        ; implicit-def: $vgpr15
.LBB77_184:
	s_or_saveexec_b64 s[16:17], s[16:17]
	s_mov_b64 s[18:19], s[8:9]
                                        ; implicit-def: $vgpr11
	s_xor_b64 exec, exec, s[16:17]
	s_cbranch_execz .LBB77_194
; %bb.185:
	v_cmp_lt_i64_e32 vcc, 12, v[0:1]
	s_mov_b64 s[20:21], s[8:9]
	s_mov_b64 s[22:23], s[14:15]
	s_and_saveexec_b64 s[18:19], vcc
	s_xor_b64 s[18:19], exec, s[18:19]
	s_cbranch_execz .LBB77_191
; %bb.186:
	v_cmp_lt_i64_e32 vcc, 13, v[0:1]
	s_mov_b64 s[20:21], s[14:15]
	s_and_saveexec_b64 s[22:23], vcc
	s_xor_b64 s[22:23], exec, s[22:23]
; %bb.187:
	s_or_b64 s[20:21], s[14:15], exec
; %bb.188:
	s_or_saveexec_b64 s[22:23], s[22:23]
	s_mov_b64 s[24:25], s[8:9]
	s_xor_b64 exec, exec, s[22:23]
; %bb.189:
	s_or_b64 s[24:25], s[8:9], exec
; %bb.190:
	s_or_b64 exec, exec, s[22:23]
	s_andn2_b64 s[22:23], s[14:15], exec
	s_and_b64 s[20:21], s[20:21], exec
	s_or_b64 s[22:23], s[22:23], s[20:21]
	s_andn2_b64 s[20:21], s[8:9], exec
	s_and_b64 s[24:25], s[24:25], exec
	s_or_b64 s[20:21], s[20:21], s[24:25]
                                        ; implicit-def: $vgpr21
.LBB77_191:
	s_andn2_saveexec_b64 s[18:19], s[18:19]
; %bb.192:
	s_or_b64 s[20:21], s[20:21], exec
	v_mov_b32_e32 v16, v21
; %bb.193:
	s_or_b64 exec, exec, s[18:19]
	s_andn2_b64 s[14:15], s[14:15], exec
	s_and_b64 s[18:19], s[22:23], exec
	s_or_b64 s[14:15], s[14:15], s[18:19]
	s_andn2_b64 s[18:19], s[8:9], exec
	s_and_b64 s[20:21], s[20:21], exec
	s_or_b64 s[18:19], s[18:19], s[20:21]
	v_mov_b32_e32 v17, v15
	v_mov_b32_e32 v11, v16
.LBB77_194:
	s_or_b64 exec, exec, s[16:17]
	s_andn2_b64 s[6:7], s[6:7], exec
	s_and_b64 s[14:15], s[14:15], exec
	s_or_b64 s[6:7], s[6:7], s[14:15]
	s_andn2_b64 s[8:9], s[8:9], exec
	s_and_b64 s[14:15], s[18:19], exec
	s_or_b64 s[8:9], s[8:9], s[14:15]
	v_mov_b32_e32 v12, v17
.LBB77_195:
	s_or_b64 exec, exec, s[12:13]
	s_and_b64 s[6:7], s[6:7], exec
	s_and_b64 s[8:9], s[8:9], exec
	;; [unrolled: 1-line block ×3, first 2 shown]
                                        ; implicit-def: $vgpr18
                                        ; implicit-def: $vgpr23
                                        ; implicit-def: $vgpr20
                                        ; implicit-def: $vgpr22
                                        ; implicit-def: $vgpr13
                                        ; implicit-def: $vgpr14
	s_andn2_saveexec_b64 s[4:5], s[4:5]
	s_cbranch_execz .LBB77_146
.LBB77_196:
	v_cmp_lt_i64_e32 vcc, 5, v[0:1]
	s_mov_b64 s[14:15], -1
	s_mov_b64 s[12:13], s[10:11]
	s_mov_b64 s[16:17], s[8:9]
	;; [unrolled: 1-line block ×3, first 2 shown]
                                        ; implicit-def: $vgpr10
	s_and_saveexec_b64 s[0:1], vcc
	s_cbranch_execz .LBB77_212
; %bb.197:
	v_cmp_lt_i64_e32 vcc, 8, v[0:1]
	s_mov_b64 s[12:13], s[10:11]
                                        ; implicit-def: $vgpr10
	s_and_saveexec_b64 s[14:15], vcc
	s_xor_b64 s[14:15], exec, s[14:15]
	s_cbranch_execz .LBB77_207
; %bb.198:
	v_cmp_lt_i64_e32 vcc, 9, v[0:1]
	s_and_saveexec_b64 s[12:13], vcc
	s_xor_b64 s[12:13], exec, s[12:13]
	s_cbranch_execz .LBB77_204
; %bb.199:
	v_cmp_lt_i64_e32 vcc, 10, v[0:1]
	s_and_saveexec_b64 s[16:17], vcc
	s_xor_b64 s[16:17], exec, s[16:17]
; %bb.200:
                                        ; implicit-def: $vgpr22
; %bb.201:
	s_andn2_saveexec_b64 s[16:17], s[16:17]
; %bb.202:
	v_mov_b32_e32 v20, v22
; %bb.203:
	s_or_b64 exec, exec, s[16:17]
                                        ; implicit-def: $vgpr23
.LBB77_204:
	s_andn2_saveexec_b64 s[12:13], s[12:13]
; %bb.205:
	v_mov_b32_e32 v20, v23
; %bb.206:
	s_or_b64 exec, exec, s[12:13]
	s_or_b64 s[12:13], s[10:11], exec
	v_mov_b32_e32 v10, v20
                                        ; implicit-def: $vgpr18
.LBB77_207:
	s_or_saveexec_b64 s[14:15], s[14:15]
	s_mov_b64 s[16:17], s[8:9]
	s_mov_b64 s[20:21], s[6:7]
	s_xor_b64 exec, exec, s[14:15]
	s_cbranch_execz .LBB77_211
; %bb.208:
	v_cmp_lt_i64_e32 vcc, 6, v[0:1]
	s_mov_b64 s[20:21], -1
	s_mov_b64 s[18:19], s[12:13]
	s_mov_b64 s[16:17], s[8:9]
	s_and_saveexec_b64 s[22:23], vcc
; %bb.209:
	v_cmp_lt_i64_e32 vcc, 7, v[0:1]
	s_andn2_b64 s[18:19], s[12:13], exec
	s_and_b64 s[24:25], vcc, exec
	s_xor_b64 s[20:21], exec, -1
	s_or_b64 s[16:17], s[8:9], exec
	s_or_b64 s[18:19], s[18:19], s[24:25]
; %bb.210:
	s_or_b64 exec, exec, s[22:23]
	s_andn2_b64 s[22:23], s[6:7], exec
	s_and_b64 s[20:21], s[20:21], exec
	s_or_b64 s[20:21], s[22:23], s[20:21]
	s_andn2_b64 s[22:23], s[8:9], exec
	s_and_b64 s[16:17], s[16:17], exec
	s_andn2_b64 s[12:13], s[12:13], exec
	s_and_b64 s[18:19], s[18:19], exec
	s_or_b64 s[16:17], s[22:23], s[16:17]
	s_or_b64 s[12:13], s[12:13], s[18:19]
	v_mov_b32_e32 v10, v18
.LBB77_211:
	s_or_b64 exec, exec, s[14:15]
	s_andn2_b64 s[18:19], s[6:7], exec
	s_and_b64 s[20:21], s[20:21], exec
	s_or_b64 s[18:19], s[18:19], s[20:21]
	s_andn2_b64 s[20:21], s[8:9], exec
	s_and_b64 s[16:17], s[16:17], exec
	s_or_b64 s[16:17], s[20:21], s[16:17]
	s_andn2_b64 s[20:21], s[10:11], exec
	s_and_b64 s[12:13], s[12:13], exec
	s_xor_b64 s[14:15], exec, -1
	s_or_b64 s[12:13], s[20:21], s[12:13]
.LBB77_212:
	s_or_b64 exec, exec, s[0:1]
	s_and_b64 s[0:1], s[14:15], exec
	s_andn2_b64 s[6:7], s[6:7], exec
	s_and_b64 s[14:15], s[18:19], exec
	s_or_b64 s[6:7], s[6:7], s[14:15]
	s_andn2_b64 s[8:9], s[8:9], exec
	s_and_b64 s[14:15], s[16:17], exec
	s_andn2_b64 s[10:11], s[10:11], exec
	s_and_b64 s[12:13], s[12:13], exec
	s_or_b64 s[8:9], s[8:9], s[14:15]
	s_or_b64 s[10:11], s[10:11], s[12:13]
	v_mov_b32_e32 v12, v13
	v_mov_b32_e32 v11, v14
	s_or_b64 exec, exec, s[4:5]
	s_and_saveexec_b64 s[4:5], s[10:11]
	s_cbranch_execz .LBB77_147
.LBB77_213:
	v_mov_b32_e32 v2, 0
	s_andn2_b64 s[8:9], s[8:9], exec
	global_store_short v2, v10, s[2:3]
	s_or_b64 exec, exec, s[4:5]
	s_and_saveexec_b64 s[4:5], s[8:9]
	s_cbranch_execz .LBB77_148
.LBB77_214:
	v_mov_b32_e32 v2, 0
	global_store_short v2, v11, s[2:3]
	s_or_b64 exec, exec, s[4:5]
	s_and_saveexec_b64 s[4:5], s[6:7]
	s_xor_b64 s[4:5], exec, s[4:5]
	s_cbranch_execz .LBB77_149
.LBB77_215:
	v_mov_b32_e32 v2, 0
	global_store_short v2, v12, s[2:3]
	s_or_b64 exec, exec, s[4:5]
	s_and_b64 exec, exec, s[0:1]
	s_cbranch_execz .LBB77_150
.LBB77_216:
	v_cmp_lt_i64_e32 vcc, 2, v[0:1]
	s_and_saveexec_b64 s[0:1], vcc
	s_xor_b64 s[0:1], exec, s[0:1]
	s_cbranch_execz .LBB77_226
; %bb.217:
	v_cmp_lt_i64_e32 vcc, 3, v[0:1]
	s_and_saveexec_b64 s[4:5], vcc
	s_xor_b64 s[4:5], exec, s[4:5]
	s_cbranch_execz .LBB77_223
; %bb.218:
	;; [unrolled: 5-line block ×3, first 2 shown]
	v_mov_b32_e32 v0, 0
	global_store_short v0, v9, s[2:3]
                                        ; implicit-def: $vgpr6
.LBB77_220:
	s_andn2_saveexec_b64 s[6:7], s[6:7]
	s_cbranch_execz .LBB77_222
; %bb.221:
	v_mov_b32_e32 v0, 0
	global_store_short v0, v6, s[2:3]
.LBB77_222:
	s_or_b64 exec, exec, s[6:7]
                                        ; implicit-def: $vgpr8
.LBB77_223:
	s_andn2_saveexec_b64 s[4:5], s[4:5]
	s_cbranch_execz .LBB77_225
; %bb.224:
	v_mov_b32_e32 v0, 0
	global_store_short v0, v8, s[2:3]
.LBB77_225:
	s_or_b64 exec, exec, s[4:5]
                                        ; implicit-def: $vgpr0_vgpr1
                                        ; implicit-def: $vgpr7
                                        ; implicit-def: $vgpr4
                                        ; implicit-def: $vgpr5
.LBB77_226:
	s_andn2_saveexec_b64 s[0:1], s[0:1]
	s_cbranch_execz .LBB77_150
; %bb.227:
	v_cmp_lt_i64_e32 vcc, 1, v[0:1]
	s_and_saveexec_b64 s[0:1], vcc
	s_xor_b64 s[0:1], exec, s[0:1]
	s_cbranch_execz .LBB77_229
; %bb.228:
	v_mov_b32_e32 v0, 0
	global_store_short v0, v7, s[2:3]
                                        ; implicit-def: $vgpr4
                                        ; implicit-def: $vgpr0_vgpr1
                                        ; implicit-def: $vgpr5
.LBB77_229:
	s_andn2_saveexec_b64 s[0:1], s[0:1]
	s_cbranch_execz .LBB77_150
; %bb.230:
	v_cmp_ne_u64_e32 vcc, 1, v[0:1]
	s_and_saveexec_b64 s[0:1], vcc
	s_xor_b64 s[0:1], exec, s[0:1]
	s_cbranch_execz .LBB77_232
; %bb.231:
	v_mov_b32_e32 v0, 0
	global_store_short v0, v5, s[2:3]
                                        ; implicit-def: $vgpr4
.LBB77_232:
	s_andn2_saveexec_b64 s[0:1], s[0:1]
	s_cbranch_execz .LBB77_150
; %bb.233:
	v_mov_b32_e32 v0, 0
	global_store_short v0, v4, s[2:3]
	s_endpgm
	.section	.rodata,"a",@progbits
	.p2align	6, 0x0
	.amdhsa_kernel _ZN7rocprim6detail20lookback_scan_kernelILNS0_25lookback_scan_determinismE0ELb1ENS0_19wrapped_scan_configINS_14default_configE6__halfEEPS5_S7_N6hipcub3MaxES5_S5_NS0_19lookback_scan_stateIS5_Lb0ELb1EEEEEvT2_T3_mT5_T4_T7_jPT6_SI_bb
		.amdhsa_group_segment_fixed_size 12288
		.amdhsa_private_segment_fixed_size 0
		.amdhsa_kernarg_size 68
		.amdhsa_user_sgpr_count 6
		.amdhsa_user_sgpr_private_segment_buffer 1
		.amdhsa_user_sgpr_dispatch_ptr 0
		.amdhsa_user_sgpr_queue_ptr 0
		.amdhsa_user_sgpr_kernarg_segment_ptr 1
		.amdhsa_user_sgpr_dispatch_id 0
		.amdhsa_user_sgpr_flat_scratch_init 0
		.amdhsa_user_sgpr_private_segment_size 0
		.amdhsa_uses_dynamic_stack 0
		.amdhsa_system_sgpr_private_segment_wavefront_offset 0
		.amdhsa_system_sgpr_workgroup_id_x 1
		.amdhsa_system_sgpr_workgroup_id_y 0
		.amdhsa_system_sgpr_workgroup_id_z 0
		.amdhsa_system_sgpr_workgroup_info 0
		.amdhsa_system_vgpr_workitem_id 0
		.amdhsa_next_free_vgpr 57
		.amdhsa_next_free_sgpr 98
		.amdhsa_reserve_vcc 1
		.amdhsa_reserve_flat_scratch 0
		.amdhsa_float_round_mode_32 0
		.amdhsa_float_round_mode_16_64 0
		.amdhsa_float_denorm_mode_32 3
		.amdhsa_float_denorm_mode_16_64 3
		.amdhsa_dx10_clamp 1
		.amdhsa_ieee_mode 1
		.amdhsa_fp16_overflow 0
		.amdhsa_exception_fp_ieee_invalid_op 0
		.amdhsa_exception_fp_denorm_src 0
		.amdhsa_exception_fp_ieee_div_zero 0
		.amdhsa_exception_fp_ieee_overflow 0
		.amdhsa_exception_fp_ieee_underflow 0
		.amdhsa_exception_fp_ieee_inexact 0
		.amdhsa_exception_int_div_zero 0
	.end_amdhsa_kernel
	.section	.text._ZN7rocprim6detail20lookback_scan_kernelILNS0_25lookback_scan_determinismE0ELb1ENS0_19wrapped_scan_configINS_14default_configE6__halfEEPS5_S7_N6hipcub3MaxES5_S5_NS0_19lookback_scan_stateIS5_Lb0ELb1EEEEEvT2_T3_mT5_T4_T7_jPT6_SI_bb,"axG",@progbits,_ZN7rocprim6detail20lookback_scan_kernelILNS0_25lookback_scan_determinismE0ELb1ENS0_19wrapped_scan_configINS_14default_configE6__halfEEPS5_S7_N6hipcub3MaxES5_S5_NS0_19lookback_scan_stateIS5_Lb0ELb1EEEEEvT2_T3_mT5_T4_T7_jPT6_SI_bb,comdat
.Lfunc_end77:
	.size	_ZN7rocprim6detail20lookback_scan_kernelILNS0_25lookback_scan_determinismE0ELb1ENS0_19wrapped_scan_configINS_14default_configE6__halfEEPS5_S7_N6hipcub3MaxES5_S5_NS0_19lookback_scan_stateIS5_Lb0ELb1EEEEEvT2_T3_mT5_T4_T7_jPT6_SI_bb, .Lfunc_end77-_ZN7rocprim6detail20lookback_scan_kernelILNS0_25lookback_scan_determinismE0ELb1ENS0_19wrapped_scan_configINS_14default_configE6__halfEEPS5_S7_N6hipcub3MaxES5_S5_NS0_19lookback_scan_stateIS5_Lb0ELb1EEEEEvT2_T3_mT5_T4_T7_jPT6_SI_bb
                                        ; -- End function
	.set _ZN7rocprim6detail20lookback_scan_kernelILNS0_25lookback_scan_determinismE0ELb1ENS0_19wrapped_scan_configINS_14default_configE6__halfEEPS5_S7_N6hipcub3MaxES5_S5_NS0_19lookback_scan_stateIS5_Lb0ELb1EEEEEvT2_T3_mT5_T4_T7_jPT6_SI_bb.num_vgpr, 57
	.set _ZN7rocprim6detail20lookback_scan_kernelILNS0_25lookback_scan_determinismE0ELb1ENS0_19wrapped_scan_configINS_14default_configE6__halfEEPS5_S7_N6hipcub3MaxES5_S5_NS0_19lookback_scan_stateIS5_Lb0ELb1EEEEEvT2_T3_mT5_T4_T7_jPT6_SI_bb.num_agpr, 0
	.set _ZN7rocprim6detail20lookback_scan_kernelILNS0_25lookback_scan_determinismE0ELb1ENS0_19wrapped_scan_configINS_14default_configE6__halfEEPS5_S7_N6hipcub3MaxES5_S5_NS0_19lookback_scan_stateIS5_Lb0ELb1EEEEEvT2_T3_mT5_T4_T7_jPT6_SI_bb.numbered_sgpr, 26
	.set _ZN7rocprim6detail20lookback_scan_kernelILNS0_25lookback_scan_determinismE0ELb1ENS0_19wrapped_scan_configINS_14default_configE6__halfEEPS5_S7_N6hipcub3MaxES5_S5_NS0_19lookback_scan_stateIS5_Lb0ELb1EEEEEvT2_T3_mT5_T4_T7_jPT6_SI_bb.num_named_barrier, 0
	.set _ZN7rocprim6detail20lookback_scan_kernelILNS0_25lookback_scan_determinismE0ELb1ENS0_19wrapped_scan_configINS_14default_configE6__halfEEPS5_S7_N6hipcub3MaxES5_S5_NS0_19lookback_scan_stateIS5_Lb0ELb1EEEEEvT2_T3_mT5_T4_T7_jPT6_SI_bb.private_seg_size, 0
	.set _ZN7rocprim6detail20lookback_scan_kernelILNS0_25lookback_scan_determinismE0ELb1ENS0_19wrapped_scan_configINS_14default_configE6__halfEEPS5_S7_N6hipcub3MaxES5_S5_NS0_19lookback_scan_stateIS5_Lb0ELb1EEEEEvT2_T3_mT5_T4_T7_jPT6_SI_bb.uses_vcc, 1
	.set _ZN7rocprim6detail20lookback_scan_kernelILNS0_25lookback_scan_determinismE0ELb1ENS0_19wrapped_scan_configINS_14default_configE6__halfEEPS5_S7_N6hipcub3MaxES5_S5_NS0_19lookback_scan_stateIS5_Lb0ELb1EEEEEvT2_T3_mT5_T4_T7_jPT6_SI_bb.uses_flat_scratch, 0
	.set _ZN7rocprim6detail20lookback_scan_kernelILNS0_25lookback_scan_determinismE0ELb1ENS0_19wrapped_scan_configINS_14default_configE6__halfEEPS5_S7_N6hipcub3MaxES5_S5_NS0_19lookback_scan_stateIS5_Lb0ELb1EEEEEvT2_T3_mT5_T4_T7_jPT6_SI_bb.has_dyn_sized_stack, 0
	.set _ZN7rocprim6detail20lookback_scan_kernelILNS0_25lookback_scan_determinismE0ELb1ENS0_19wrapped_scan_configINS_14default_configE6__halfEEPS5_S7_N6hipcub3MaxES5_S5_NS0_19lookback_scan_stateIS5_Lb0ELb1EEEEEvT2_T3_mT5_T4_T7_jPT6_SI_bb.has_recursion, 0
	.set _ZN7rocprim6detail20lookback_scan_kernelILNS0_25lookback_scan_determinismE0ELb1ENS0_19wrapped_scan_configINS_14default_configE6__halfEEPS5_S7_N6hipcub3MaxES5_S5_NS0_19lookback_scan_stateIS5_Lb0ELb1EEEEEvT2_T3_mT5_T4_T7_jPT6_SI_bb.has_indirect_call, 0
	.section	.AMDGPU.csdata,"",@progbits
; Kernel info:
; codeLenInByte = 8672
; TotalNumSgprs: 30
; NumVgprs: 57
; ScratchSize: 0
; MemoryBound: 0
; FloatMode: 240
; IeeeMode: 1
; LDSByteSize: 12288 bytes/workgroup (compile time only)
; SGPRBlocks: 12
; VGPRBlocks: 14
; NumSGPRsForWavesPerEU: 102
; NumVGPRsForWavesPerEU: 57
; Occupancy: 4
; WaveLimiterHint : 1
; COMPUTE_PGM_RSRC2:SCRATCH_EN: 0
; COMPUTE_PGM_RSRC2:USER_SGPR: 6
; COMPUTE_PGM_RSRC2:TRAP_HANDLER: 0
; COMPUTE_PGM_RSRC2:TGID_X_EN: 1
; COMPUTE_PGM_RSRC2:TGID_Y_EN: 0
; COMPUTE_PGM_RSRC2:TGID_Z_EN: 0
; COMPUTE_PGM_RSRC2:TIDIG_COMP_CNT: 0
	.section	.text._ZN7rocprim6detail18single_scan_kernelILb1ENS0_19wrapped_scan_configINS_14default_configE6__halfEEPS4_S6_N6hipcub3MaxES4_S4_EEvT1_mT4_T2_T3_,"axG",@progbits,_ZN7rocprim6detail18single_scan_kernelILb1ENS0_19wrapped_scan_configINS_14default_configE6__halfEEPS4_S6_N6hipcub3MaxES4_S4_EEvT1_mT4_T2_T3_,comdat
	.protected	_ZN7rocprim6detail18single_scan_kernelILb1ENS0_19wrapped_scan_configINS_14default_configE6__halfEEPS4_S6_N6hipcub3MaxES4_S4_EEvT1_mT4_T2_T3_ ; -- Begin function _ZN7rocprim6detail18single_scan_kernelILb1ENS0_19wrapped_scan_configINS_14default_configE6__halfEEPS4_S6_N6hipcub3MaxES4_S4_EEvT1_mT4_T2_T3_
	.globl	_ZN7rocprim6detail18single_scan_kernelILb1ENS0_19wrapped_scan_configINS_14default_configE6__halfEEPS4_S6_N6hipcub3MaxES4_S4_EEvT1_mT4_T2_T3_
	.p2align	8
	.type	_ZN7rocprim6detail18single_scan_kernelILb1ENS0_19wrapped_scan_configINS_14default_configE6__halfEEPS4_S6_N6hipcub3MaxES4_S4_EEvT1_mT4_T2_T3_,@function
_ZN7rocprim6detail18single_scan_kernelILb1ENS0_19wrapped_scan_configINS_14default_configE6__halfEEPS4_S6_N6hipcub3MaxES4_S4_EEvT1_mT4_T2_T3_: ; @_ZN7rocprim6detail18single_scan_kernelILb1ENS0_19wrapped_scan_configINS_14default_configE6__halfEEPS4_S6_N6hipcub3MaxES4_S4_EEvT1_mT4_T2_T3_
; %bb.0:
	s_load_dwordx4 s[48:51], s[4:5], 0x0
	v_mov_b32_e32 v1, 0
	v_lshlrev_b32_e32 v13, 1, v0
	s_waitcnt lgkmcnt(0)
	global_load_ushort v3, v1, s[48:49]
	v_mov_b32_e32 v2, s49
	v_add_co_u32_e32 v1, vcc, s48, v13
	v_addc_co_u32_e32 v2, vcc, 0, v2, vcc
	v_cmp_gt_u32_e64 s[0:1], s50, v0
	s_waitcnt vmcnt(0)
	v_mov_b32_e32 v4, v3
	s_and_saveexec_b64 s[2:3], s[0:1]
	s_cbranch_execz .LBB78_2
; %bb.1:
	global_load_ushort v4, v[1:2], off
.LBB78_2:
	s_or_b64 exec, exec, s[2:3]
	v_or_b32_e32 v5, 0x100, v0
	v_cmp_gt_u32_e64 s[2:3], s50, v5
	v_mov_b32_e32 v5, v3
	s_and_saveexec_b64 s[6:7], s[2:3]
	s_cbranch_execz .LBB78_4
; %bb.3:
	global_load_ushort v5, v[1:2], off offset:512
.LBB78_4:
	s_or_b64 exec, exec, s[6:7]
	v_or_b32_e32 v6, 0x200, v0
	v_cmp_gt_u32_e64 s[44:45], s50, v6
	v_mov_b32_e32 v6, v3
	s_and_saveexec_b64 s[6:7], s[44:45]
	s_cbranch_execz .LBB78_6
; %bb.5:
	global_load_ushort v6, v[1:2], off offset:1024
.LBB78_6:
	s_or_b64 exec, exec, s[6:7]
	v_or_b32_e32 v7, 0x300, v0
	v_cmp_gt_u32_e64 s[6:7], s50, v7
	v_mov_b32_e32 v7, v3
	s_and_saveexec_b64 s[8:9], s[6:7]
	s_cbranch_execz .LBB78_8
; %bb.7:
	global_load_ushort v7, v[1:2], off offset:1536
.LBB78_8:
	s_or_b64 exec, exec, s[8:9]
	v_or_b32_e32 v8, 0x400, v0
	v_cmp_gt_u32_e64 s[8:9], s50, v8
	v_mov_b32_e32 v8, v3
	s_and_saveexec_b64 s[10:11], s[8:9]
	s_cbranch_execz .LBB78_10
; %bb.9:
	global_load_ushort v8, v[1:2], off offset:2048
.LBB78_10:
	s_or_b64 exec, exec, s[10:11]
	v_or_b32_e32 v9, 0x500, v0
	v_cmp_gt_u32_e64 s[10:11], s50, v9
	v_mov_b32_e32 v9, v3
	s_and_saveexec_b64 s[12:13], s[10:11]
	s_cbranch_execz .LBB78_12
; %bb.11:
	global_load_ushort v9, v[1:2], off offset:2560
.LBB78_12:
	s_or_b64 exec, exec, s[12:13]
	v_or_b32_e32 v10, 0x600, v0
	v_cmp_gt_u32_e64 s[12:13], s50, v10
	v_mov_b32_e32 v10, v3
	s_and_saveexec_b64 s[14:15], s[12:13]
	s_cbranch_execz .LBB78_14
; %bb.13:
	global_load_ushort v10, v[1:2], off offset:3072
.LBB78_14:
	s_or_b64 exec, exec, s[14:15]
	v_or_b32_e32 v11, 0x700, v0
	v_cmp_gt_u32_e64 s[14:15], s50, v11
	v_mov_b32_e32 v11, v3
	s_and_saveexec_b64 s[16:17], s[14:15]
	s_cbranch_execz .LBB78_16
; %bb.15:
	global_load_ushort v11, v[1:2], off offset:3584
.LBB78_16:
	s_or_b64 exec, exec, s[16:17]
	v_or_b32_e32 v12, 0x800, v0
	v_cmp_gt_u32_e64 s[16:17], s50, v12
	v_mov_b32_e32 v12, v3
	s_and_saveexec_b64 s[18:19], s[16:17]
	s_cbranch_execz .LBB78_18
; %bb.17:
	v_add_co_u32_e32 v14, vcc, 0x1000, v1
	v_addc_co_u32_e32 v15, vcc, 0, v2, vcc
	global_load_ushort v12, v[14:15], off
.LBB78_18:
	s_or_b64 exec, exec, s[18:19]
	v_or_b32_e32 v14, 0x900, v0
	v_cmp_gt_u32_e64 s[18:19], s50, v14
	v_mov_b32_e32 v14, v3
	s_and_saveexec_b64 s[20:21], s[18:19]
	s_cbranch_execz .LBB78_20
; %bb.19:
	v_add_co_u32_e32 v14, vcc, 0x1000, v1
	v_addc_co_u32_e32 v15, vcc, 0, v2, vcc
	global_load_ushort v14, v[14:15], off offset:512
.LBB78_20:
	s_or_b64 exec, exec, s[20:21]
	v_or_b32_e32 v15, 0xa00, v0
	v_cmp_gt_u32_e64 s[20:21], s50, v15
	v_mov_b32_e32 v15, v3
	s_and_saveexec_b64 s[22:23], s[20:21]
	s_cbranch_execz .LBB78_22
; %bb.21:
	v_add_co_u32_e32 v15, vcc, 0x1000, v1
	v_addc_co_u32_e32 v16, vcc, 0, v2, vcc
	global_load_ushort v15, v[15:16], off offset:1024
.LBB78_22:
	;; [unrolled: 11-line block ×7, first 2 shown]
	s_or_b64 exec, exec, s[34:35]
	v_or_b32_e32 v21, 0x1000, v0
	v_cmp_gt_u32_e64 s[34:35], s50, v21
	v_mov_b32_e32 v21, v3
	s_and_saveexec_b64 s[36:37], s[34:35]
	s_cbranch_execz .LBB78_34
; %bb.33:
	v_add_co_u32_e32 v21, vcc, 0x2000, v1
	v_addc_co_u32_e32 v22, vcc, 0, v2, vcc
	global_load_ushort v21, v[21:22], off
.LBB78_34:
	s_or_b64 exec, exec, s[36:37]
	v_or_b32_e32 v22, 0x1100, v0
	v_cmp_gt_u32_e64 s[36:37], s50, v22
	v_mov_b32_e32 v22, v3
	s_and_saveexec_b64 s[38:39], s[36:37]
	s_cbranch_execz .LBB78_36
; %bb.35:
	v_add_co_u32_e32 v22, vcc, 0x2000, v1
	v_addc_co_u32_e32 v23, vcc, 0, v2, vcc
	global_load_ushort v22, v[22:23], off offset:512
.LBB78_36:
	s_or_b64 exec, exec, s[38:39]
	v_or_b32_e32 v23, 0x1200, v0
	v_cmp_gt_u32_e64 s[38:39], s50, v23
	v_mov_b32_e32 v23, v3
	s_and_saveexec_b64 s[40:41], s[38:39]
	s_cbranch_execz .LBB78_38
; %bb.37:
	v_add_co_u32_e32 v23, vcc, 0x2000, v1
	v_addc_co_u32_e32 v24, vcc, 0, v2, vcc
	global_load_ushort v23, v[23:24], off offset:1024
.LBB78_38:
	;; [unrolled: 11-line block ×6, first 2 shown]
	s_or_b64 exec, exec, s[52:53]
	v_or_b32_e32 v28, 0x1700, v0
	v_cmp_gt_u32_e64 s[50:51], s50, v28
	s_and_saveexec_b64 s[52:53], s[50:51]
	s_cbranch_execz .LBB78_48
; %bb.47:
	v_add_co_u32_e32 v1, vcc, 0x2000, v1
	v_addc_co_u32_e32 v2, vcc, 0, v2, vcc
	global_load_ushort v3, v[1:2], off offset:3584
.LBB78_48:
	s_or_b64 exec, exec, s[52:53]
	v_mad_u32_u24 v1, v0, 46, v13
	s_waitcnt vmcnt(0)
	ds_write_b16 v13, v4
	ds_write_b16 v13, v5 offset:512
	ds_write_b16 v13, v6 offset:1024
	;; [unrolled: 1-line block ×23, first 2 shown]
	s_waitcnt lgkmcnt(0)
	s_barrier
	ds_read_b128 v[9:12], v1
	ds_read_b128 v[5:8], v1 offset:16
	ds_read_b128 v[1:4], v1 offset:32
	s_load_dword s33, s[4:5], 0x10
	s_waitcnt lgkmcnt(0)
	s_barrier
	v_lshrrev_b32_e32 v24, 16, v9
	v_cmp_lt_f16_e32 vcc, v9, v24
	v_cndmask_b32_e32 v26, v9, v24, vcc
	v_cmp_lt_f16_e32 vcc, v26, v10
	v_lshrrev_b32_e32 v23, 16, v10
	v_cndmask_b32_e32 v26, v26, v10, vcc
	v_cmp_lt_f16_e32 vcc, v26, v23
	v_cndmask_b32_e32 v26, v26, v23, vcc
	v_cmp_lt_f16_e32 vcc, v26, v11
	v_lshrrev_b32_e32 v22, 16, v11
	v_cndmask_b32_e32 v26, v26, v11, vcc
	;; [unrolled: 5-line block ×11, first 2 shown]
	v_cmp_lt_f16_e32 vcc, v26, v25
	v_cndmask_b32_e32 v26, v26, v25, vcc
	v_mbcnt_lo_u32_b32 v25, -1, 0
	v_mbcnt_hi_u32_b32 v25, -1, v25
	v_and_b32_e32 v28, 0xffff, v26
	v_and_b32_e32 v27, 15, v25
	v_cmp_eq_u32_e32 vcc, 0, v27
	v_mov_b32_dpp v28, v28 row_shr:1 row_mask:0xf bank_mask:0xf
	v_cmp_gt_f16_e64 s[52:53], v26, v28
	s_or_b64 vcc, vcc, s[52:53]
	v_cndmask_b32_e32 v26, v28, v26, vcc
	v_and_b32_e32 v28, 0xffff, v26
	s_nop 1
	v_mov_b32_dpp v28, v28 row_shr:2 row_mask:0xf bank_mask:0xf
	v_cmp_gt_f16_e32 vcc, v26, v28
	v_cndmask_b32_e32 v28, v28, v26, vcc
	v_cmp_lt_u32_e32 vcc, 1, v27
	v_cndmask_b32_e32 v26, v26, v28, vcc
	v_and_b32_e32 v28, 0xffff, v26
	s_nop 1
	v_mov_b32_dpp v28, v28 row_shr:4 row_mask:0xf bank_mask:0xf
	v_cmp_gt_f16_e32 vcc, v26, v28
	v_cndmask_b32_e32 v28, v28, v26, vcc
	v_cmp_lt_u32_e32 vcc, 3, v27
	;; [unrolled: 7-line block ×3, first 2 shown]
	v_cndmask_b32_e32 v26, v26, v28, vcc
	v_and_b32_e32 v27, 0xffff, v26
	v_and_b32_e32 v28, 16, v25
	v_cmp_eq_u32_e32 vcc, 0, v28
	v_mov_b32_dpp v27, v27 row_bcast:15 row_mask:0xf bank_mask:0xf
	v_cmp_gt_f16_e64 s[52:53], v26, v27
	s_or_b64 vcc, vcc, s[52:53]
	v_cndmask_b32_e32 v26, v27, v26, vcc
	v_and_b32_e32 v27, 0xffff, v26
	v_lshrrev_b32_e32 v28, 6, v0
	s_nop 0
	v_mov_b32_dpp v27, v27 row_bcast:31 row_mask:0xf bank_mask:0xf
	v_cmp_gt_f16_e32 vcc, v26, v27
	v_cndmask_b32_e32 v27, v27, v26, vcc
	v_cmp_lt_u32_e32 vcc, 31, v25
	v_cndmask_b32_e32 v27, v26, v27, vcc
	v_or_b32_e32 v26, 63, v0
	v_cmp_eq_u32_e32 vcc, v0, v26
	s_and_saveexec_b64 s[52:53], vcc
; %bb.49:
	v_lshlrev_b32_e32 v26, 1, v28
	ds_write_b16 v26, v27
; %bb.50:
	s_or_b64 exec, exec, s[52:53]
	v_cmp_gt_u32_e32 vcc, 4, v0
	s_waitcnt lgkmcnt(0)
	s_barrier
	s_and_saveexec_b64 s[54:55], vcc
	s_cbranch_execz .LBB78_52
; %bb.51:
	ds_read_u16 v26, v13
	v_and_b32_e32 v29, 3, v25
	v_cmp_eq_u32_e32 vcc, 0, v29
	s_waitcnt lgkmcnt(0)
	v_and_b32_e32 v30, 0xffff, v26
	s_nop 1
	v_mov_b32_dpp v30, v30 row_shr:1 row_mask:0xf bank_mask:0xf
	v_cmp_lt_f16_e64 s[52:53], v30, v26
	s_or_b64 vcc, vcc, s[52:53]
	v_cndmask_b32_e32 v26, v30, v26, vcc
	v_and_b32_e32 v30, 0xffff, v26
	s_nop 1
	v_mov_b32_dpp v30, v30 row_shr:2 row_mask:0xf bank_mask:0xf
	v_cmp_gt_f16_e32 vcc, v26, v30
	v_cndmask_b32_e32 v30, v30, v26, vcc
	v_cmp_lt_u32_e32 vcc, 1, v29
	v_cndmask_b32_e32 v26, v26, v30, vcc
	ds_write_b16 v13, v26
.LBB78_52:
	s_or_b64 exec, exec, s[54:55]
	v_mul_u32_u24_e32 v26, 46, v0
	v_cmp_lt_u32_e32 vcc, 63, v0
	v_mov_b32_e32 v29, s33
	s_waitcnt lgkmcnt(0)
	s_barrier
	s_and_saveexec_b64 s[52:53], vcc
	s_cbranch_execz .LBB78_54
; %bb.53:
	v_lshl_add_u32 v28, v28, 1, -2
	ds_read_u16 v28, v28
	v_mov_b32_e32 v29, s33
	s_waitcnt lgkmcnt(0)
	v_cmp_lt_f16_e32 vcc, s33, v28
	v_cndmask_b32_e32 v29, v29, v28, vcc
.LBB78_54:
	s_or_b64 exec, exec, s[52:53]
	v_cmp_lt_f16_e32 vcc, v29, v27
	v_cndmask_b32_e32 v27, v29, v27, vcc
	v_subrev_co_u32_e32 v28, vcc, 1, v25
	v_and_b32_e32 v30, 64, v25
	v_cmp_lt_i32_e64 s[52:53], v28, v30
	v_cndmask_b32_e64 v25, v28, v25, s[52:53]
	v_lshlrev_b32_e32 v25, 2, v25
	v_and_b32_e32 v27, 0xffff, v27
	ds_bpermute_b32 v25, v25, v27
	v_mov_b32_e32 v27, s33
	s_mov_b32 s33, 0x5040100
	v_add_u32_e32 v26, v13, v26
	s_waitcnt lgkmcnt(0)
	v_cndmask_b32_e32 v25, v25, v29, vcc
	v_cmp_eq_u32_e32 vcc, 0, v0
	v_cndmask_b32_e32 v0, v25, v27, vcc
	v_cmp_lt_f16_e32 vcc, v0, v9
	v_cndmask_b32_e32 v9, v0, v9, vcc
	v_cmp_lt_f16_e32 vcc, v9, v24
	;; [unrolled: 2-line block ×23, first 2 shown]
	v_perm_b32 v3, v12, v22, s33
	v_perm_b32 v2, v11, v23, s33
	;; [unrolled: 1-line block ×4, first 2 shown]
	v_cndmask_b32_e32 v4, v14, v4, vcc
	s_barrier
	ds_write_b128 v26, v[0:3]
	v_perm_b32 v3, v8, v18, s33
	v_perm_b32 v2, v7, v19, s33
	;; [unrolled: 1-line block ×4, first 2 shown]
	ds_write_b128 v26, v[0:3] offset:16
	v_perm_b32 v3, v4, v14, s33
	v_perm_b32 v2, v28, v15, s33
	;; [unrolled: 1-line block ×4, first 2 shown]
	ds_write_b128 v26, v[0:3] offset:32
	s_waitcnt lgkmcnt(0)
	s_barrier
	ds_read_u16 v25, v13 offset:512
	ds_read_u16 v24, v13 offset:1024
	;; [unrolled: 1-line block ×23, first 2 shown]
	s_load_dwordx2 s[4:5], s[4:5], 0x18
	s_waitcnt lgkmcnt(0)
	v_mov_b32_e32 v1, s5
	v_add_co_u32_e32 v0, vcc, s4, v13
	v_addc_co_u32_e32 v1, vcc, 0, v1, vcc
	s_and_saveexec_b64 s[4:5], s[0:1]
	s_cbranch_execnz .LBB78_79
; %bb.55:
	s_or_b64 exec, exec, s[4:5]
	s_and_saveexec_b64 s[0:1], s[2:3]
	s_cbranch_execnz .LBB78_80
.LBB78_56:
	s_or_b64 exec, exec, s[0:1]
	s_and_saveexec_b64 s[0:1], s[44:45]
	s_cbranch_execnz .LBB78_81
.LBB78_57:
	s_or_b64 exec, exec, s[0:1]
	s_and_saveexec_b64 s[0:1], s[6:7]
	s_cbranch_execnz .LBB78_82
.LBB78_58:
	s_or_b64 exec, exec, s[0:1]
	s_and_saveexec_b64 s[0:1], s[8:9]
	s_cbranch_execnz .LBB78_83
.LBB78_59:
	s_or_b64 exec, exec, s[0:1]
	s_and_saveexec_b64 s[0:1], s[10:11]
	s_cbranch_execnz .LBB78_84
.LBB78_60:
	s_or_b64 exec, exec, s[0:1]
	s_and_saveexec_b64 s[0:1], s[12:13]
	s_cbranch_execnz .LBB78_85
.LBB78_61:
	s_or_b64 exec, exec, s[0:1]
	s_and_saveexec_b64 s[0:1], s[14:15]
	s_cbranch_execnz .LBB78_86
.LBB78_62:
	s_or_b64 exec, exec, s[0:1]
	s_and_saveexec_b64 s[0:1], s[16:17]
	s_cbranch_execnz .LBB78_87
.LBB78_63:
	s_or_b64 exec, exec, s[0:1]
	s_and_saveexec_b64 s[0:1], s[18:19]
	s_cbranch_execnz .LBB78_88
.LBB78_64:
	s_or_b64 exec, exec, s[0:1]
	s_and_saveexec_b64 s[0:1], s[20:21]
	s_cbranch_execnz .LBB78_89
.LBB78_65:
	s_or_b64 exec, exec, s[0:1]
	s_and_saveexec_b64 s[0:1], s[22:23]
	s_cbranch_execnz .LBB78_90
.LBB78_66:
	s_or_b64 exec, exec, s[0:1]
	s_and_saveexec_b64 s[0:1], s[24:25]
	s_cbranch_execnz .LBB78_91
.LBB78_67:
	s_or_b64 exec, exec, s[0:1]
	s_and_saveexec_b64 s[0:1], s[26:27]
	s_cbranch_execnz .LBB78_92
.LBB78_68:
	s_or_b64 exec, exec, s[0:1]
	s_and_saveexec_b64 s[0:1], s[28:29]
	s_cbranch_execnz .LBB78_93
.LBB78_69:
	s_or_b64 exec, exec, s[0:1]
	s_and_saveexec_b64 s[0:1], s[30:31]
	s_cbranch_execnz .LBB78_94
.LBB78_70:
	s_or_b64 exec, exec, s[0:1]
	s_and_saveexec_b64 s[0:1], s[34:35]
	s_cbranch_execnz .LBB78_95
.LBB78_71:
	s_or_b64 exec, exec, s[0:1]
	s_and_saveexec_b64 s[0:1], s[36:37]
	s_cbranch_execnz .LBB78_96
.LBB78_72:
	s_or_b64 exec, exec, s[0:1]
	s_and_saveexec_b64 s[0:1], s[38:39]
	s_cbranch_execnz .LBB78_97
.LBB78_73:
	s_or_b64 exec, exec, s[0:1]
	s_and_saveexec_b64 s[0:1], s[40:41]
	s_cbranch_execnz .LBB78_98
.LBB78_74:
	s_or_b64 exec, exec, s[0:1]
	s_and_saveexec_b64 s[0:1], s[42:43]
	s_cbranch_execnz .LBB78_99
.LBB78_75:
	s_or_b64 exec, exec, s[0:1]
	s_and_saveexec_b64 s[0:1], s[46:47]
	s_cbranch_execnz .LBB78_100
.LBB78_76:
	s_or_b64 exec, exec, s[0:1]
	s_and_saveexec_b64 s[0:1], s[48:49]
	s_cbranch_execnz .LBB78_101
.LBB78_77:
	s_or_b64 exec, exec, s[0:1]
	s_and_saveexec_b64 s[0:1], s[50:51]
	s_cbranch_execnz .LBB78_102
.LBB78_78:
	s_endpgm
.LBB78_79:
	ds_read_u16 v13, v13
	s_waitcnt lgkmcnt(0)
	global_store_short v[0:1], v13, off
	s_or_b64 exec, exec, s[4:5]
	s_and_saveexec_b64 s[0:1], s[2:3]
	s_cbranch_execz .LBB78_56
.LBB78_80:
	global_store_short v[0:1], v25, off offset:512
	s_or_b64 exec, exec, s[0:1]
	s_and_saveexec_b64 s[0:1], s[44:45]
	s_cbranch_execz .LBB78_57
.LBB78_81:
	global_store_short v[0:1], v24, off offset:1024
	s_or_b64 exec, exec, s[0:1]
	s_and_saveexec_b64 s[0:1], s[6:7]
	s_cbranch_execz .LBB78_58
.LBB78_82:
	global_store_short v[0:1], v23, off offset:1536
	s_or_b64 exec, exec, s[0:1]
	s_and_saveexec_b64 s[0:1], s[8:9]
	s_cbranch_execz .LBB78_59
.LBB78_83:
	global_store_short v[0:1], v22, off offset:2048
	s_or_b64 exec, exec, s[0:1]
	s_and_saveexec_b64 s[0:1], s[10:11]
	s_cbranch_execz .LBB78_60
.LBB78_84:
	global_store_short v[0:1], v21, off offset:2560
	s_or_b64 exec, exec, s[0:1]
	s_and_saveexec_b64 s[0:1], s[12:13]
	s_cbranch_execz .LBB78_61
.LBB78_85:
	global_store_short v[0:1], v20, off offset:3072
	s_or_b64 exec, exec, s[0:1]
	s_and_saveexec_b64 s[0:1], s[14:15]
	s_cbranch_execz .LBB78_62
.LBB78_86:
	global_store_short v[0:1], v19, off offset:3584
	s_or_b64 exec, exec, s[0:1]
	s_and_saveexec_b64 s[0:1], s[16:17]
	s_cbranch_execz .LBB78_63
.LBB78_87:
	v_add_co_u32_e32 v19, vcc, 0x1000, v0
	v_addc_co_u32_e32 v20, vcc, 0, v1, vcc
	global_store_short v[19:20], v18, off
	s_or_b64 exec, exec, s[0:1]
	s_and_saveexec_b64 s[0:1], s[18:19]
	s_cbranch_execz .LBB78_64
.LBB78_88:
	v_add_co_u32_e32 v18, vcc, 0x1000, v0
	v_addc_co_u32_e32 v19, vcc, 0, v1, vcc
	global_store_short v[18:19], v17, off offset:512
	s_or_b64 exec, exec, s[0:1]
	s_and_saveexec_b64 s[0:1], s[20:21]
	s_cbranch_execz .LBB78_65
.LBB78_89:
	v_add_co_u32_e32 v17, vcc, 0x1000, v0
	v_addc_co_u32_e32 v18, vcc, 0, v1, vcc
	global_store_short v[17:18], v16, off offset:1024
	s_or_b64 exec, exec, s[0:1]
	s_and_saveexec_b64 s[0:1], s[22:23]
	s_cbranch_execz .LBB78_66
.LBB78_90:
	v_add_co_u32_e32 v16, vcc, 0x1000, v0
	v_addc_co_u32_e32 v17, vcc, 0, v1, vcc
	global_store_short v[16:17], v15, off offset:1536
	s_or_b64 exec, exec, s[0:1]
	s_and_saveexec_b64 s[0:1], s[24:25]
	s_cbranch_execz .LBB78_67
.LBB78_91:
	v_add_co_u32_e32 v15, vcc, 0x1000, v0
	v_addc_co_u32_e32 v16, vcc, 0, v1, vcc
	global_store_short v[15:16], v14, off offset:2048
	s_or_b64 exec, exec, s[0:1]
	s_and_saveexec_b64 s[0:1], s[26:27]
	s_cbranch_execz .LBB78_68
.LBB78_92:
	v_add_co_u32_e32 v13, vcc, 0x1000, v0
	v_addc_co_u32_e32 v14, vcc, 0, v1, vcc
	global_store_short v[13:14], v12, off offset:2560
	s_or_b64 exec, exec, s[0:1]
	s_and_saveexec_b64 s[0:1], s[28:29]
	s_cbranch_execz .LBB78_69
.LBB78_93:
	v_add_co_u32_e32 v12, vcc, 0x1000, v0
	v_addc_co_u32_e32 v13, vcc, 0, v1, vcc
	global_store_short v[12:13], v11, off offset:3072
	s_or_b64 exec, exec, s[0:1]
	s_and_saveexec_b64 s[0:1], s[30:31]
	s_cbranch_execz .LBB78_70
.LBB78_94:
	v_add_co_u32_e32 v11, vcc, 0x1000, v0
	v_addc_co_u32_e32 v12, vcc, 0, v1, vcc
	global_store_short v[11:12], v10, off offset:3584
	s_or_b64 exec, exec, s[0:1]
	s_and_saveexec_b64 s[0:1], s[34:35]
	s_cbranch_execz .LBB78_71
.LBB78_95:
	v_add_co_u32_e32 v10, vcc, 0x2000, v0
	v_addc_co_u32_e32 v11, vcc, 0, v1, vcc
	global_store_short v[10:11], v9, off
	s_or_b64 exec, exec, s[0:1]
	s_and_saveexec_b64 s[0:1], s[36:37]
	s_cbranch_execz .LBB78_72
.LBB78_96:
	v_add_co_u32_e32 v9, vcc, 0x2000, v0
	v_addc_co_u32_e32 v10, vcc, 0, v1, vcc
	global_store_short v[9:10], v8, off offset:512
	s_or_b64 exec, exec, s[0:1]
	s_and_saveexec_b64 s[0:1], s[38:39]
	s_cbranch_execz .LBB78_73
.LBB78_97:
	v_add_co_u32_e32 v8, vcc, 0x2000, v0
	v_addc_co_u32_e32 v9, vcc, 0, v1, vcc
	global_store_short v[8:9], v7, off offset:1024
	s_or_b64 exec, exec, s[0:1]
	s_and_saveexec_b64 s[0:1], s[40:41]
	s_cbranch_execz .LBB78_74
.LBB78_98:
	v_add_co_u32_e32 v7, vcc, 0x2000, v0
	v_addc_co_u32_e32 v8, vcc, 0, v1, vcc
	global_store_short v[7:8], v6, off offset:1536
	s_or_b64 exec, exec, s[0:1]
	s_and_saveexec_b64 s[0:1], s[42:43]
	s_cbranch_execz .LBB78_75
.LBB78_99:
	v_add_co_u32_e32 v6, vcc, 0x2000, v0
	v_addc_co_u32_e32 v7, vcc, 0, v1, vcc
	global_store_short v[6:7], v5, off offset:2048
	s_or_b64 exec, exec, s[0:1]
	s_and_saveexec_b64 s[0:1], s[46:47]
	s_cbranch_execz .LBB78_76
.LBB78_100:
	v_add_co_u32_e32 v5, vcc, 0x2000, v0
	v_addc_co_u32_e32 v6, vcc, 0, v1, vcc
	global_store_short v[5:6], v4, off offset:2560
	s_or_b64 exec, exec, s[0:1]
	s_and_saveexec_b64 s[0:1], s[48:49]
	s_cbranch_execz .LBB78_77
.LBB78_101:
	v_add_co_u32_e32 v4, vcc, 0x2000, v0
	v_addc_co_u32_e32 v5, vcc, 0, v1, vcc
	global_store_short v[4:5], v3, off offset:3072
	s_or_b64 exec, exec, s[0:1]
	s_and_saveexec_b64 s[0:1], s[50:51]
	s_cbranch_execz .LBB78_78
.LBB78_102:
	v_add_co_u32_e32 v0, vcc, 0x2000, v0
	v_addc_co_u32_e32 v1, vcc, 0, v1, vcc
	global_store_short v[0:1], v2, off offset:3584
	s_endpgm
	.section	.rodata,"a",@progbits
	.p2align	6, 0x0
	.amdhsa_kernel _ZN7rocprim6detail18single_scan_kernelILb1ENS0_19wrapped_scan_configINS_14default_configE6__halfEEPS4_S6_N6hipcub3MaxES4_S4_EEvT1_mT4_T2_T3_
		.amdhsa_group_segment_fixed_size 12288
		.amdhsa_private_segment_fixed_size 0
		.amdhsa_kernarg_size 36
		.amdhsa_user_sgpr_count 6
		.amdhsa_user_sgpr_private_segment_buffer 1
		.amdhsa_user_sgpr_dispatch_ptr 0
		.amdhsa_user_sgpr_queue_ptr 0
		.amdhsa_user_sgpr_kernarg_segment_ptr 1
		.amdhsa_user_sgpr_dispatch_id 0
		.amdhsa_user_sgpr_flat_scratch_init 0
		.amdhsa_user_sgpr_private_segment_size 0
		.amdhsa_uses_dynamic_stack 0
		.amdhsa_system_sgpr_private_segment_wavefront_offset 0
		.amdhsa_system_sgpr_workgroup_id_x 1
		.amdhsa_system_sgpr_workgroup_id_y 0
		.amdhsa_system_sgpr_workgroup_id_z 0
		.amdhsa_system_sgpr_workgroup_info 0
		.amdhsa_system_vgpr_workitem_id 0
		.amdhsa_next_free_vgpr 41
		.amdhsa_next_free_sgpr 98
		.amdhsa_reserve_vcc 1
		.amdhsa_reserve_flat_scratch 0
		.amdhsa_float_round_mode_32 0
		.amdhsa_float_round_mode_16_64 0
		.amdhsa_float_denorm_mode_32 3
		.amdhsa_float_denorm_mode_16_64 3
		.amdhsa_dx10_clamp 1
		.amdhsa_ieee_mode 1
		.amdhsa_fp16_overflow 0
		.amdhsa_exception_fp_ieee_invalid_op 0
		.amdhsa_exception_fp_denorm_src 0
		.amdhsa_exception_fp_ieee_div_zero 0
		.amdhsa_exception_fp_ieee_overflow 0
		.amdhsa_exception_fp_ieee_underflow 0
		.amdhsa_exception_fp_ieee_inexact 0
		.amdhsa_exception_int_div_zero 0
	.end_amdhsa_kernel
	.section	.text._ZN7rocprim6detail18single_scan_kernelILb1ENS0_19wrapped_scan_configINS_14default_configE6__halfEEPS4_S6_N6hipcub3MaxES4_S4_EEvT1_mT4_T2_T3_,"axG",@progbits,_ZN7rocprim6detail18single_scan_kernelILb1ENS0_19wrapped_scan_configINS_14default_configE6__halfEEPS4_S6_N6hipcub3MaxES4_S4_EEvT1_mT4_T2_T3_,comdat
.Lfunc_end78:
	.size	_ZN7rocprim6detail18single_scan_kernelILb1ENS0_19wrapped_scan_configINS_14default_configE6__halfEEPS4_S6_N6hipcub3MaxES4_S4_EEvT1_mT4_T2_T3_, .Lfunc_end78-_ZN7rocprim6detail18single_scan_kernelILb1ENS0_19wrapped_scan_configINS_14default_configE6__halfEEPS4_S6_N6hipcub3MaxES4_S4_EEvT1_mT4_T2_T3_
                                        ; -- End function
	.set _ZN7rocprim6detail18single_scan_kernelILb1ENS0_19wrapped_scan_configINS_14default_configE6__halfEEPS4_S6_N6hipcub3MaxES4_S4_EEvT1_mT4_T2_T3_.num_vgpr, 31
	.set _ZN7rocprim6detail18single_scan_kernelILb1ENS0_19wrapped_scan_configINS_14default_configE6__halfEEPS4_S6_N6hipcub3MaxES4_S4_EEvT1_mT4_T2_T3_.num_agpr, 0
	.set _ZN7rocprim6detail18single_scan_kernelILb1ENS0_19wrapped_scan_configINS_14default_configE6__halfEEPS4_S6_N6hipcub3MaxES4_S4_EEvT1_mT4_T2_T3_.numbered_sgpr, 56
	.set _ZN7rocprim6detail18single_scan_kernelILb1ENS0_19wrapped_scan_configINS_14default_configE6__halfEEPS4_S6_N6hipcub3MaxES4_S4_EEvT1_mT4_T2_T3_.num_named_barrier, 0
	.set _ZN7rocprim6detail18single_scan_kernelILb1ENS0_19wrapped_scan_configINS_14default_configE6__halfEEPS4_S6_N6hipcub3MaxES4_S4_EEvT1_mT4_T2_T3_.private_seg_size, 0
	.set _ZN7rocprim6detail18single_scan_kernelILb1ENS0_19wrapped_scan_configINS_14default_configE6__halfEEPS4_S6_N6hipcub3MaxES4_S4_EEvT1_mT4_T2_T3_.uses_vcc, 1
	.set _ZN7rocprim6detail18single_scan_kernelILb1ENS0_19wrapped_scan_configINS_14default_configE6__halfEEPS4_S6_N6hipcub3MaxES4_S4_EEvT1_mT4_T2_T3_.uses_flat_scratch, 0
	.set _ZN7rocprim6detail18single_scan_kernelILb1ENS0_19wrapped_scan_configINS_14default_configE6__halfEEPS4_S6_N6hipcub3MaxES4_S4_EEvT1_mT4_T2_T3_.has_dyn_sized_stack, 0
	.set _ZN7rocprim6detail18single_scan_kernelILb1ENS0_19wrapped_scan_configINS_14default_configE6__halfEEPS4_S6_N6hipcub3MaxES4_S4_EEvT1_mT4_T2_T3_.has_recursion, 0
	.set _ZN7rocprim6detail18single_scan_kernelILb1ENS0_19wrapped_scan_configINS_14default_configE6__halfEEPS4_S6_N6hipcub3MaxES4_S4_EEvT1_mT4_T2_T3_.has_indirect_call, 0
	.section	.AMDGPU.csdata,"",@progbits
; Kernel info:
; codeLenInByte = 3700
; TotalNumSgprs: 60
; NumVgprs: 31
; ScratchSize: 0
; MemoryBound: 0
; FloatMode: 240
; IeeeMode: 1
; LDSByteSize: 12288 bytes/workgroup (compile time only)
; SGPRBlocks: 12
; VGPRBlocks: 10
; NumSGPRsForWavesPerEU: 102
; NumVGPRsForWavesPerEU: 41
; Occupancy: 5
; WaveLimiterHint : 0
; COMPUTE_PGM_RSRC2:SCRATCH_EN: 0
; COMPUTE_PGM_RSRC2:USER_SGPR: 6
; COMPUTE_PGM_RSRC2:TRAP_HANDLER: 0
; COMPUTE_PGM_RSRC2:TGID_X_EN: 1
; COMPUTE_PGM_RSRC2:TGID_Y_EN: 0
; COMPUTE_PGM_RSRC2:TGID_Z_EN: 0
; COMPUTE_PGM_RSRC2:TIDIG_COMP_CNT: 0
	.section	.text._ZN7rocprim6detail20lookback_scan_kernelILNS0_25lookback_scan_determinismE0ELb1ENS0_19wrapped_scan_configINS_14default_configE12hip_bfloat16EEPS5_S7_N6hipcub3MaxES5_S5_NS0_19lookback_scan_stateIS5_Lb1ELb1EEEEEvT2_T3_mT5_T4_T7_jPT6_SI_bb,"axG",@progbits,_ZN7rocprim6detail20lookback_scan_kernelILNS0_25lookback_scan_determinismE0ELb1ENS0_19wrapped_scan_configINS_14default_configE12hip_bfloat16EEPS5_S7_N6hipcub3MaxES5_S5_NS0_19lookback_scan_stateIS5_Lb1ELb1EEEEEvT2_T3_mT5_T4_T7_jPT6_SI_bb,comdat
	.protected	_ZN7rocprim6detail20lookback_scan_kernelILNS0_25lookback_scan_determinismE0ELb1ENS0_19wrapped_scan_configINS_14default_configE12hip_bfloat16EEPS5_S7_N6hipcub3MaxES5_S5_NS0_19lookback_scan_stateIS5_Lb1ELb1EEEEEvT2_T3_mT5_T4_T7_jPT6_SI_bb ; -- Begin function _ZN7rocprim6detail20lookback_scan_kernelILNS0_25lookback_scan_determinismE0ELb1ENS0_19wrapped_scan_configINS_14default_configE12hip_bfloat16EEPS5_S7_N6hipcub3MaxES5_S5_NS0_19lookback_scan_stateIS5_Lb1ELb1EEEEEvT2_T3_mT5_T4_T7_jPT6_SI_bb
	.globl	_ZN7rocprim6detail20lookback_scan_kernelILNS0_25lookback_scan_determinismE0ELb1ENS0_19wrapped_scan_configINS_14default_configE12hip_bfloat16EEPS5_S7_N6hipcub3MaxES5_S5_NS0_19lookback_scan_stateIS5_Lb1ELb1EEEEEvT2_T3_mT5_T4_T7_jPT6_SI_bb
	.p2align	8
	.type	_ZN7rocprim6detail20lookback_scan_kernelILNS0_25lookback_scan_determinismE0ELb1ENS0_19wrapped_scan_configINS_14default_configE12hip_bfloat16EEPS5_S7_N6hipcub3MaxES5_S5_NS0_19lookback_scan_stateIS5_Lb1ELb1EEEEEvT2_T3_mT5_T4_T7_jPT6_SI_bb,@function
_ZN7rocprim6detail20lookback_scan_kernelILNS0_25lookback_scan_determinismE0ELb1ENS0_19wrapped_scan_configINS_14default_configE12hip_bfloat16EEPS5_S7_N6hipcub3MaxES5_S5_NS0_19lookback_scan_stateIS5_Lb1ELb1EEEEEvT2_T3_mT5_T4_T7_jPT6_SI_bb: ; @_ZN7rocprim6detail20lookback_scan_kernelILNS0_25lookback_scan_determinismE0ELb1ENS0_19wrapped_scan_configINS_14default_configE12hip_bfloat16EEPS5_S7_N6hipcub3MaxES5_S5_NS0_19lookback_scan_stateIS5_Lb1ELb1EEEEEvT2_T3_mT5_T4_T7_jPT6_SI_bb
; %bb.0:
	s_endpgm
	.section	.rodata,"a",@progbits
	.p2align	6, 0x0
	.amdhsa_kernel _ZN7rocprim6detail20lookback_scan_kernelILNS0_25lookback_scan_determinismE0ELb1ENS0_19wrapped_scan_configINS_14default_configE12hip_bfloat16EEPS5_S7_N6hipcub3MaxES5_S5_NS0_19lookback_scan_stateIS5_Lb1ELb1EEEEEvT2_T3_mT5_T4_T7_jPT6_SI_bb
		.amdhsa_group_segment_fixed_size 0
		.amdhsa_private_segment_fixed_size 0
		.amdhsa_kernarg_size 68
		.amdhsa_user_sgpr_count 6
		.amdhsa_user_sgpr_private_segment_buffer 1
		.amdhsa_user_sgpr_dispatch_ptr 0
		.amdhsa_user_sgpr_queue_ptr 0
		.amdhsa_user_sgpr_kernarg_segment_ptr 1
		.amdhsa_user_sgpr_dispatch_id 0
		.amdhsa_user_sgpr_flat_scratch_init 0
		.amdhsa_user_sgpr_private_segment_size 0
		.amdhsa_uses_dynamic_stack 0
		.amdhsa_system_sgpr_private_segment_wavefront_offset 0
		.amdhsa_system_sgpr_workgroup_id_x 1
		.amdhsa_system_sgpr_workgroup_id_y 0
		.amdhsa_system_sgpr_workgroup_id_z 0
		.amdhsa_system_sgpr_workgroup_info 0
		.amdhsa_system_vgpr_workitem_id 0
		.amdhsa_next_free_vgpr 1
		.amdhsa_next_free_sgpr 0
		.amdhsa_reserve_vcc 0
		.amdhsa_reserve_flat_scratch 0
		.amdhsa_float_round_mode_32 0
		.amdhsa_float_round_mode_16_64 0
		.amdhsa_float_denorm_mode_32 3
		.amdhsa_float_denorm_mode_16_64 3
		.amdhsa_dx10_clamp 1
		.amdhsa_ieee_mode 1
		.amdhsa_fp16_overflow 0
		.amdhsa_exception_fp_ieee_invalid_op 0
		.amdhsa_exception_fp_denorm_src 0
		.amdhsa_exception_fp_ieee_div_zero 0
		.amdhsa_exception_fp_ieee_overflow 0
		.amdhsa_exception_fp_ieee_underflow 0
		.amdhsa_exception_fp_ieee_inexact 0
		.amdhsa_exception_int_div_zero 0
	.end_amdhsa_kernel
	.section	.text._ZN7rocprim6detail20lookback_scan_kernelILNS0_25lookback_scan_determinismE0ELb1ENS0_19wrapped_scan_configINS_14default_configE12hip_bfloat16EEPS5_S7_N6hipcub3MaxES5_S5_NS0_19lookback_scan_stateIS5_Lb1ELb1EEEEEvT2_T3_mT5_T4_T7_jPT6_SI_bb,"axG",@progbits,_ZN7rocprim6detail20lookback_scan_kernelILNS0_25lookback_scan_determinismE0ELb1ENS0_19wrapped_scan_configINS_14default_configE12hip_bfloat16EEPS5_S7_N6hipcub3MaxES5_S5_NS0_19lookback_scan_stateIS5_Lb1ELb1EEEEEvT2_T3_mT5_T4_T7_jPT6_SI_bb,comdat
.Lfunc_end79:
	.size	_ZN7rocprim6detail20lookback_scan_kernelILNS0_25lookback_scan_determinismE0ELb1ENS0_19wrapped_scan_configINS_14default_configE12hip_bfloat16EEPS5_S7_N6hipcub3MaxES5_S5_NS0_19lookback_scan_stateIS5_Lb1ELb1EEEEEvT2_T3_mT5_T4_T7_jPT6_SI_bb, .Lfunc_end79-_ZN7rocprim6detail20lookback_scan_kernelILNS0_25lookback_scan_determinismE0ELb1ENS0_19wrapped_scan_configINS_14default_configE12hip_bfloat16EEPS5_S7_N6hipcub3MaxES5_S5_NS0_19lookback_scan_stateIS5_Lb1ELb1EEEEEvT2_T3_mT5_T4_T7_jPT6_SI_bb
                                        ; -- End function
	.set _ZN7rocprim6detail20lookback_scan_kernelILNS0_25lookback_scan_determinismE0ELb1ENS0_19wrapped_scan_configINS_14default_configE12hip_bfloat16EEPS5_S7_N6hipcub3MaxES5_S5_NS0_19lookback_scan_stateIS5_Lb1ELb1EEEEEvT2_T3_mT5_T4_T7_jPT6_SI_bb.num_vgpr, 0
	.set _ZN7rocprim6detail20lookback_scan_kernelILNS0_25lookback_scan_determinismE0ELb1ENS0_19wrapped_scan_configINS_14default_configE12hip_bfloat16EEPS5_S7_N6hipcub3MaxES5_S5_NS0_19lookback_scan_stateIS5_Lb1ELb1EEEEEvT2_T3_mT5_T4_T7_jPT6_SI_bb.num_agpr, 0
	.set _ZN7rocprim6detail20lookback_scan_kernelILNS0_25lookback_scan_determinismE0ELb1ENS0_19wrapped_scan_configINS_14default_configE12hip_bfloat16EEPS5_S7_N6hipcub3MaxES5_S5_NS0_19lookback_scan_stateIS5_Lb1ELb1EEEEEvT2_T3_mT5_T4_T7_jPT6_SI_bb.numbered_sgpr, 0
	.set _ZN7rocprim6detail20lookback_scan_kernelILNS0_25lookback_scan_determinismE0ELb1ENS0_19wrapped_scan_configINS_14default_configE12hip_bfloat16EEPS5_S7_N6hipcub3MaxES5_S5_NS0_19lookback_scan_stateIS5_Lb1ELb1EEEEEvT2_T3_mT5_T4_T7_jPT6_SI_bb.num_named_barrier, 0
	.set _ZN7rocprim6detail20lookback_scan_kernelILNS0_25lookback_scan_determinismE0ELb1ENS0_19wrapped_scan_configINS_14default_configE12hip_bfloat16EEPS5_S7_N6hipcub3MaxES5_S5_NS0_19lookback_scan_stateIS5_Lb1ELb1EEEEEvT2_T3_mT5_T4_T7_jPT6_SI_bb.private_seg_size, 0
	.set _ZN7rocprim6detail20lookback_scan_kernelILNS0_25lookback_scan_determinismE0ELb1ENS0_19wrapped_scan_configINS_14default_configE12hip_bfloat16EEPS5_S7_N6hipcub3MaxES5_S5_NS0_19lookback_scan_stateIS5_Lb1ELb1EEEEEvT2_T3_mT5_T4_T7_jPT6_SI_bb.uses_vcc, 0
	.set _ZN7rocprim6detail20lookback_scan_kernelILNS0_25lookback_scan_determinismE0ELb1ENS0_19wrapped_scan_configINS_14default_configE12hip_bfloat16EEPS5_S7_N6hipcub3MaxES5_S5_NS0_19lookback_scan_stateIS5_Lb1ELb1EEEEEvT2_T3_mT5_T4_T7_jPT6_SI_bb.uses_flat_scratch, 0
	.set _ZN7rocprim6detail20lookback_scan_kernelILNS0_25lookback_scan_determinismE0ELb1ENS0_19wrapped_scan_configINS_14default_configE12hip_bfloat16EEPS5_S7_N6hipcub3MaxES5_S5_NS0_19lookback_scan_stateIS5_Lb1ELb1EEEEEvT2_T3_mT5_T4_T7_jPT6_SI_bb.has_dyn_sized_stack, 0
	.set _ZN7rocprim6detail20lookback_scan_kernelILNS0_25lookback_scan_determinismE0ELb1ENS0_19wrapped_scan_configINS_14default_configE12hip_bfloat16EEPS5_S7_N6hipcub3MaxES5_S5_NS0_19lookback_scan_stateIS5_Lb1ELb1EEEEEvT2_T3_mT5_T4_T7_jPT6_SI_bb.has_recursion, 0
	.set _ZN7rocprim6detail20lookback_scan_kernelILNS0_25lookback_scan_determinismE0ELb1ENS0_19wrapped_scan_configINS_14default_configE12hip_bfloat16EEPS5_S7_N6hipcub3MaxES5_S5_NS0_19lookback_scan_stateIS5_Lb1ELb1EEEEEvT2_T3_mT5_T4_T7_jPT6_SI_bb.has_indirect_call, 0
	.section	.AMDGPU.csdata,"",@progbits
; Kernel info:
; codeLenInByte = 4
; TotalNumSgprs: 4
; NumVgprs: 0
; ScratchSize: 0
; MemoryBound: 0
; FloatMode: 240
; IeeeMode: 1
; LDSByteSize: 0 bytes/workgroup (compile time only)
; SGPRBlocks: 0
; VGPRBlocks: 0
; NumSGPRsForWavesPerEU: 4
; NumVGPRsForWavesPerEU: 1
; Occupancy: 10
; WaveLimiterHint : 0
; COMPUTE_PGM_RSRC2:SCRATCH_EN: 0
; COMPUTE_PGM_RSRC2:USER_SGPR: 6
; COMPUTE_PGM_RSRC2:TRAP_HANDLER: 0
; COMPUTE_PGM_RSRC2:TGID_X_EN: 1
; COMPUTE_PGM_RSRC2:TGID_Y_EN: 0
; COMPUTE_PGM_RSRC2:TGID_Z_EN: 0
; COMPUTE_PGM_RSRC2:TIDIG_COMP_CNT: 0
	.section	.text._ZN7rocprim6detail20lookback_scan_kernelILNS0_25lookback_scan_determinismE0ELb1ENS0_19wrapped_scan_configINS_14default_configE12hip_bfloat16EEPS5_S7_N6hipcub3MaxES5_S5_NS0_19lookback_scan_stateIS5_Lb0ELb1EEEEEvT2_T3_mT5_T4_T7_jPT6_SI_bb,"axG",@progbits,_ZN7rocprim6detail20lookback_scan_kernelILNS0_25lookback_scan_determinismE0ELb1ENS0_19wrapped_scan_configINS_14default_configE12hip_bfloat16EEPS5_S7_N6hipcub3MaxES5_S5_NS0_19lookback_scan_stateIS5_Lb0ELb1EEEEEvT2_T3_mT5_T4_T7_jPT6_SI_bb,comdat
	.protected	_ZN7rocprim6detail20lookback_scan_kernelILNS0_25lookback_scan_determinismE0ELb1ENS0_19wrapped_scan_configINS_14default_configE12hip_bfloat16EEPS5_S7_N6hipcub3MaxES5_S5_NS0_19lookback_scan_stateIS5_Lb0ELb1EEEEEvT2_T3_mT5_T4_T7_jPT6_SI_bb ; -- Begin function _ZN7rocprim6detail20lookback_scan_kernelILNS0_25lookback_scan_determinismE0ELb1ENS0_19wrapped_scan_configINS_14default_configE12hip_bfloat16EEPS5_S7_N6hipcub3MaxES5_S5_NS0_19lookback_scan_stateIS5_Lb0ELb1EEEEEvT2_T3_mT5_T4_T7_jPT6_SI_bb
	.globl	_ZN7rocprim6detail20lookback_scan_kernelILNS0_25lookback_scan_determinismE0ELb1ENS0_19wrapped_scan_configINS_14default_configE12hip_bfloat16EEPS5_S7_N6hipcub3MaxES5_S5_NS0_19lookback_scan_stateIS5_Lb0ELb1EEEEEvT2_T3_mT5_T4_T7_jPT6_SI_bb
	.p2align	8
	.type	_ZN7rocprim6detail20lookback_scan_kernelILNS0_25lookback_scan_determinismE0ELb1ENS0_19wrapped_scan_configINS_14default_configE12hip_bfloat16EEPS5_S7_N6hipcub3MaxES5_S5_NS0_19lookback_scan_stateIS5_Lb0ELb1EEEEEvT2_T3_mT5_T4_T7_jPT6_SI_bb,@function
_ZN7rocprim6detail20lookback_scan_kernelILNS0_25lookback_scan_determinismE0ELb1ENS0_19wrapped_scan_configINS_14default_configE12hip_bfloat16EEPS5_S7_N6hipcub3MaxES5_S5_NS0_19lookback_scan_stateIS5_Lb0ELb1EEEEEvT2_T3_mT5_T4_T7_jPT6_SI_bb: ; @_ZN7rocprim6detail20lookback_scan_kernelILNS0_25lookback_scan_determinismE0ELb1ENS0_19wrapped_scan_configINS_14default_configE12hip_bfloat16EEPS5_S7_N6hipcub3MaxES5_S5_NS0_19lookback_scan_stateIS5_Lb0ELb1EEEEEvT2_T3_mT5_T4_T7_jPT6_SI_bb
; %bb.0:
	s_load_dword s3, s[4:5], 0x28
	s_load_dwordx4 s[12:15], s[4:5], 0x0
	s_load_dwordx2 s[0:1], s[4:5], 0x10
	s_mul_i32 s2, s6, 0x1800
	v_lshlrev_b32_e32 v19, 1, v0
	s_waitcnt lgkmcnt(0)
	s_add_i32 s7, s3, -1
	s_mul_i32 s8, s7, 0x1800
	s_sub_u32 s24, s0, s8
	s_subb_u32 s25, s1, 0
	s_mov_b32 s3, 0
	s_cmp_lg_u32 s6, s7
	s_cselect_b64 s[16:17], -1, 0
	s_lshl_b64 s[18:19], s[2:3], 1
	s_add_u32 s2, s12, s18
	s_addc_u32 s3, s13, s19
	s_mov_b64 s[0:1], -1
	s_and_b64 vcc, exec, s[16:17]
	s_cbranch_vccz .LBB80_2
; %bb.1:
	v_mov_b32_e32 v1, s3
	v_add_co_u32_e32 v3, vcc, s2, v19
	v_addc_co_u32_e32 v4, vcc, 0, v1, vcc
	v_add_co_u32_e32 v1, vcc, 0x1000, v3
	v_addc_co_u32_e32 v2, vcc, 0, v4, vcc
	global_load_ushort v5, v19, s[2:3]
	global_load_ushort v6, v19, s[2:3] offset:512
	global_load_ushort v7, v19, s[2:3] offset:1024
	;; [unrolled: 1-line block ×7, first 2 shown]
	global_load_ushort v13, v[1:2], off
	global_load_ushort v14, v[1:2], off offset:512
	global_load_ushort v15, v[1:2], off offset:1024
	;; [unrolled: 1-line block ×7, first 2 shown]
	v_add_co_u32_e32 v1, vcc, 0x2000, v3
	v_addc_co_u32_e32 v2, vcc, 0, v4, vcc
	global_load_ushort v3, v[1:2], off
	global_load_ushort v4, v[1:2], off offset:512
	global_load_ushort v22, v[1:2], off offset:1024
	global_load_ushort v23, v[1:2], off offset:1536
	global_load_ushort v24, v[1:2], off offset:2048
	global_load_ushort v25, v[1:2], off offset:2560
	global_load_ushort v26, v[1:2], off offset:3072
	global_load_ushort v27, v[1:2], off offset:3584
	s_mov_b64 s[0:1], 0
	s_waitcnt vmcnt(23)
	ds_write_b16 v19, v5
	s_waitcnt vmcnt(22)
	ds_write_b16 v19, v6 offset:512
	s_waitcnt vmcnt(21)
	ds_write_b16 v19, v7 offset:1024
	;; [unrolled: 2-line block ×23, first 2 shown]
	s_waitcnt lgkmcnt(0)
	s_barrier
.LBB80_2:
	s_andn2_b64 vcc, exec, s[0:1]
	v_cmp_gt_u32_e64 s[0:1], s24, v0
	s_cbranch_vccnz .LBB80_52
; %bb.3:
	v_mov_b32_e32 v1, 0
	global_load_ushort v3, v1, s[2:3]
	v_mov_b32_e32 v2, s3
	v_add_co_u32_e32 v1, vcc, s2, v19
	v_addc_co_u32_e32 v2, vcc, 0, v2, vcc
	s_waitcnt vmcnt(0)
	v_mov_b32_e32 v4, v3
	s_and_saveexec_b64 s[2:3], s[0:1]
	s_cbranch_execz .LBB80_5
; %bb.4:
	global_load_ushort v4, v[1:2], off
.LBB80_5:
	s_or_b64 exec, exec, s[2:3]
	v_or_b32_e32 v5, 0x100, v0
	v_cmp_gt_u32_e32 vcc, s24, v5
	v_mov_b32_e32 v5, v3
	s_and_saveexec_b64 s[0:1], vcc
	s_cbranch_execz .LBB80_7
; %bb.6:
	global_load_ushort v5, v[1:2], off offset:512
.LBB80_7:
	s_or_b64 exec, exec, s[0:1]
	v_or_b32_e32 v6, 0x200, v0
	v_cmp_gt_u32_e32 vcc, s24, v6
	v_mov_b32_e32 v6, v3
	s_and_saveexec_b64 s[0:1], vcc
	s_cbranch_execz .LBB80_9
; %bb.8:
	global_load_ushort v6, v[1:2], off offset:1024
.LBB80_9:
	;; [unrolled: 9-line block ×7, first 2 shown]
	s_or_b64 exec, exec, s[0:1]
	v_or_b32_e32 v12, 0x800, v0
	v_cmp_gt_u32_e32 vcc, s24, v12
	v_mov_b32_e32 v12, v3
	s_and_saveexec_b64 s[0:1], vcc
	s_cbranch_execz .LBB80_21
; %bb.20:
	v_add_co_u32_e32 v12, vcc, 0x1000, v1
	v_addc_co_u32_e32 v13, vcc, 0, v2, vcc
	global_load_ushort v12, v[12:13], off
.LBB80_21:
	s_or_b64 exec, exec, s[0:1]
	v_or_b32_e32 v13, 0x900, v0
	v_cmp_gt_u32_e32 vcc, s24, v13
	v_mov_b32_e32 v13, v3
	s_and_saveexec_b64 s[0:1], vcc
	s_cbranch_execz .LBB80_23
; %bb.22:
	v_add_co_u32_e32 v13, vcc, 0x1000, v1
	v_addc_co_u32_e32 v14, vcc, 0, v2, vcc
	global_load_ushort v13, v[13:14], off offset:512
.LBB80_23:
	s_or_b64 exec, exec, s[0:1]
	v_or_b32_e32 v14, 0xa00, v0
	v_cmp_gt_u32_e32 vcc, s24, v14
	v_mov_b32_e32 v14, v3
	s_and_saveexec_b64 s[0:1], vcc
	s_cbranch_execz .LBB80_25
; %bb.24:
	v_add_co_u32_e32 v14, vcc, 0x1000, v1
	v_addc_co_u32_e32 v15, vcc, 0, v2, vcc
	global_load_ushort v14, v[14:15], off offset:1024
.LBB80_25:
	;; [unrolled: 11-line block ×7, first 2 shown]
	s_or_b64 exec, exec, s[0:1]
	v_or_b32_e32 v21, 0x1000, v0
	v_cmp_gt_u32_e32 vcc, s24, v21
	v_mov_b32_e32 v21, v3
	s_and_saveexec_b64 s[0:1], vcc
	s_cbranch_execz .LBB80_37
; %bb.36:
	v_add_co_u32_e32 v21, vcc, 0x2000, v1
	v_addc_co_u32_e32 v22, vcc, 0, v2, vcc
	global_load_ushort v21, v[21:22], off
.LBB80_37:
	s_or_b64 exec, exec, s[0:1]
	v_or_b32_e32 v22, 0x1100, v0
	v_cmp_gt_u32_e32 vcc, s24, v22
	v_mov_b32_e32 v22, v3
	s_and_saveexec_b64 s[0:1], vcc
	s_cbranch_execz .LBB80_39
; %bb.38:
	v_add_co_u32_e32 v22, vcc, 0x2000, v1
	v_addc_co_u32_e32 v23, vcc, 0, v2, vcc
	global_load_ushort v22, v[22:23], off offset:512
.LBB80_39:
	s_or_b64 exec, exec, s[0:1]
	v_or_b32_e32 v23, 0x1200, v0
	v_cmp_gt_u32_e32 vcc, s24, v23
	v_mov_b32_e32 v23, v3
	s_and_saveexec_b64 s[0:1], vcc
	s_cbranch_execz .LBB80_41
; %bb.40:
	v_add_co_u32_e32 v23, vcc, 0x2000, v1
	v_addc_co_u32_e32 v24, vcc, 0, v2, vcc
	global_load_ushort v23, v[23:24], off offset:1024
.LBB80_41:
	;; [unrolled: 11-line block ×6, first 2 shown]
	s_or_b64 exec, exec, s[0:1]
	v_or_b32_e32 v28, 0x1700, v0
	v_cmp_gt_u32_e32 vcc, s24, v28
	s_and_saveexec_b64 s[0:1], vcc
	s_cbranch_execz .LBB80_51
; %bb.50:
	v_add_co_u32_e32 v1, vcc, 0x2000, v1
	v_addc_co_u32_e32 v2, vcc, 0, v2, vcc
	global_load_ushort v3, v[1:2], off offset:3584
.LBB80_51:
	s_or_b64 exec, exec, s[0:1]
	s_waitcnt vmcnt(0)
	ds_write_b16 v19, v4
	ds_write_b16 v19, v5 offset:512
	ds_write_b16 v19, v6 offset:1024
	;; [unrolled: 1-line block ×23, first 2 shown]
	s_waitcnt lgkmcnt(0)
	s_barrier
.LBB80_52:
	v_mul_u32_u24_e32 v20, 48, v0
	ds_read_b128 v[9:12], v20
	ds_read_b128 v[5:8], v20 offset:16
	ds_read_b128 v[1:4], v20 offset:32
	s_load_dwordx2 s[20:21], s[4:5], 0x20
	s_cmp_lg_u32 s6, 0
	v_mbcnt_lo_u32_b32 v58, -1, 0
	s_waitcnt lgkmcnt(0)
	v_lshrrev_b32_e32 v46, 16, v9
	v_lshrrev_b32_e32 v43, 16, v10
	v_lshrrev_b32_e32 v39, 16, v11
	v_lshrrev_b32_e32 v36, 16, v12
	v_lshrrev_b32_e32 v30, 16, v5
	v_lshrrev_b32_e32 v27, 16, v6
	v_lshrrev_b32_e32 v25, 16, v7
	v_lshrrev_b32_e32 v24, 16, v8
	v_lshrrev_b32_e32 v23, 16, v1
	v_lshrrev_b32_e32 v22, 16, v2
	v_lshrrev_b32_e32 v21, 16, v3
	v_lshrrev_b32_e32 v57, 16, v4
	v_lshlrev_b32_e32 v54, 16, v9
	v_lshlrev_b32_e32 v53, 16, v46
	;; [unrolled: 1-line block ×17, first 2 shown]
	v_cmp_lt_f32_e32 vcc, v54, v53
	v_lshlrev_b32_e32 v35, 16, v23
	v_lshlrev_b32_e32 v33, 16, v2
	;; [unrolled: 1-line block ×7, first 2 shown]
	v_lshrrev_b32_e32 v55, 6, v0
	v_or_b32_e32 v56, 63, v0
	s_barrier
	s_cbranch_scc0 .LBB80_78
; %bb.53:
	v_cndmask_b32_e32 v13, v9, v46, vcc
	v_lshlrev_b32_e32 v14, 16, v13
	v_cmp_lt_f32_e32 vcc, v14, v52
	v_cndmask_b32_e32 v13, v13, v10, vcc
	v_lshlrev_b32_e32 v14, 16, v13
	v_cmp_lt_f32_e32 vcc, v14, v51
	;; [unrolled: 3-line block ×22, first 2 shown]
	v_cndmask_b32_e32 v13, v13, v57, vcc
	v_and_b32_e32 v15, 0xffff, v13
	v_lshlrev_b32_e32 v60, 16, v13
	v_mbcnt_hi_u32_b32 v18, -1, v58
	v_mov_b32_dpp v16, v15 row_shr:1 row_mask:0xf bank_mask:0xf
	v_lshlrev_b32_e32 v17, 16, v16
	v_cmp_lt_f32_e32 vcc, v17, v60
	v_and_b32_e32 v14, 15, v18
	v_cndmask_b32_e32 v16, v16, v13, vcc
	v_and_b32_e32 v17, 0xffff, v16
	v_cmp_eq_u32_e32 vcc, 0, v14
	v_cndmask_b32_e32 v15, v17, v15, vcc
	v_cndmask_b32_e32 v13, v16, v13, vcc
	v_lshlrev_b32_e32 v60, 16, v15
	v_mov_b32_dpp v16, v15 row_shr:2 row_mask:0xf bank_mask:0xf
	v_lshlrev_b32_e32 v17, 16, v16
	v_cmp_lt_f32_e32 vcc, v17, v60
	v_cndmask_b32_e32 v16, v16, v13, vcc
	v_and_b32_e32 v17, 0xffff, v16
	v_cmp_lt_u32_e32 vcc, 1, v14
	v_cndmask_b32_e32 v15, v15, v17, vcc
	v_cndmask_b32_e32 v13, v13, v16, vcc
	v_lshlrev_b32_e32 v60, 16, v15
	v_mov_b32_dpp v16, v15 row_shr:4 row_mask:0xf bank_mask:0xf
	v_lshlrev_b32_e32 v17, 16, v16
	v_cmp_lt_f32_e32 vcc, v17, v60
	v_cndmask_b32_e32 v16, v16, v13, vcc
	v_and_b32_e32 v17, 0xffff, v16
	v_cmp_lt_u32_e32 vcc, 3, v14
	;; [unrolled: 9-line block ×3, first 2 shown]
	v_cndmask_b32_e32 v14, v15, v17, vcc
	v_lshlrev_b32_e32 v60, 16, v14
	v_cndmask_b32_e32 v13, v13, v16, vcc
	v_mov_b32_dpp v15, v14 row_bcast:15 row_mask:0xf bank_mask:0xf
	v_lshlrev_b32_e32 v17, 16, v15
	v_cmp_lt_f32_e32 vcc, v17, v60
	v_and_b32_e32 v16, 16, v18
	v_cndmask_b32_e32 v15, v15, v13, vcc
	v_and_b32_e32 v17, 0xffff, v15
	v_cmp_eq_u32_e32 vcc, 0, v16
	v_cndmask_b32_e32 v14, v17, v14, vcc
	v_cndmask_b32_e32 v13, v15, v13, vcc
	s_nop 0
	v_mov_b32_dpp v15, v14 row_bcast:31 row_mask:0xf bank_mask:0xf
	v_lshlrev_b32_e32 v16, 16, v15
	v_lshlrev_b32_e32 v14, 16, v14
	v_cmp_lt_f32_e32 vcc, v16, v14
	v_cndmask_b32_e32 v14, v15, v13, vcc
	v_cmp_lt_u32_e32 vcc, 31, v18
	v_cndmask_b32_e32 v13, v13, v14, vcc
	v_cmp_eq_u32_e32 vcc, v0, v56
	s_and_saveexec_b64 s[0:1], vcc
; %bb.54:
	v_lshlrev_b32_e32 v14, 1, v55
	ds_write_b16 v14, v13
; %bb.55:
	s_or_b64 exec, exec, s[0:1]
	v_cmp_gt_u32_e32 vcc, 4, v0
	s_waitcnt lgkmcnt(0)
	s_barrier
	s_and_saveexec_b64 s[0:1], vcc
	s_cbranch_execz .LBB80_57
; %bb.56:
	ds_read_u16 v14, v19
	v_and_b32_e32 v15, 3, v18
	s_waitcnt lgkmcnt(0)
	v_and_b32_e32 v16, 0xffff, v14
	s_nop 1
	v_mov_b32_dpp v60, v16 row_shr:1 row_mask:0xf bank_mask:0xf
	v_lshlrev_b32_e32 v17, 16, v14
	v_lshlrev_b32_e32 v61, 16, v60
	v_cmp_lt_f32_e32 vcc, v61, v17
	v_cndmask_b32_e32 v17, v60, v14, vcc
	v_and_b32_e32 v60, 0xffff, v17
	v_cmp_eq_u32_e32 vcc, 0, v15
	v_cndmask_b32_e32 v16, v60, v16, vcc
	v_cndmask_b32_e32 v14, v17, v14, vcc
	s_nop 0
	v_mov_b32_dpp v17, v16 row_shr:2 row_mask:0xf bank_mask:0xf
	v_lshlrev_b32_e32 v60, 16, v17
	v_lshlrev_b32_e32 v16, 16, v16
	v_cmp_lt_f32_e32 vcc, v60, v16
	v_cndmask_b32_e32 v16, v17, v14, vcc
	v_cmp_lt_u32_e32 vcc, 1, v15
	v_cndmask_b32_e32 v14, v14, v16, vcc
	ds_write_b16 v19, v14
.LBB80_57:
	s_or_b64 exec, exec, s[0:1]
	v_cmp_gt_u32_e32 vcc, 64, v0
	v_cmp_lt_u32_e64 s[0:1], 63, v0
	s_waitcnt lgkmcnt(0)
	s_barrier
                                        ; implicit-def: $vgpr60
	s_and_saveexec_b64 s[2:3], s[0:1]
	s_cbranch_execz .LBB80_59
; %bb.58:
	v_lshl_add_u32 v14, v55, 1, -2
	ds_read_u16 v60, v14
	v_lshlrev_b32_e32 v14, 16, v13
	s_waitcnt lgkmcnt(0)
	v_lshlrev_b32_e32 v15, 16, v60
	v_cmp_lt_f32_e64 s[0:1], v15, v14
	v_cndmask_b32_e64 v13, v60, v13, s[0:1]
.LBB80_59:
	s_or_b64 exec, exec, s[2:3]
	v_subrev_co_u32_e64 v14, s[0:1], 1, v18
	v_and_b32_e32 v15, 64, v18
	v_cmp_lt_i32_e64 s[2:3], v14, v15
	v_cndmask_b32_e64 v14, v14, v18, s[2:3]
	v_lshlrev_b32_e32 v14, 2, v14
	v_and_b32_e32 v13, 0xffff, v13
	ds_bpermute_b32 v61, v14, v13
	s_and_saveexec_b64 s[22:23], vcc
	s_cbranch_execz .LBB80_83
; %bb.60:
	v_mov_b32_e32 v15, 0
	ds_read_u16 v63, v15 offset:6
	s_waitcnt lgkmcnt(0)
	v_and_b32_e32 v62, 0xffff, v63
	s_and_saveexec_b64 s[2:3], s[0:1]
	s_cbranch_execz .LBB80_62
; %bb.61:
	s_add_i32 s8, s6, 64
	s_mov_b32 s9, 0
	s_lshl_b64 s[8:9], s[8:9], 2
	s_add_u32 s8, s20, s8
	v_or_b32_e32 v13, 0x10000, v62
	s_addc_u32 s9, s21, s9
	global_store_dword v15, v13, s[8:9]
.LBB80_62:
	s_or_b64 exec, exec, s[2:3]
	v_xad_u32 v13, v18, -1, s6
	v_add_u32_e32 v14, 64, v13
	v_lshlrev_b64 v[16:17], 2, v[14:15]
	v_mov_b32_e32 v14, s21
	v_add_co_u32_e32 v16, vcc, s20, v16
	v_addc_co_u32_e32 v17, vcc, v14, v17, vcc
	global_load_dword v79, v[16:17], off glc
	s_waitcnt vmcnt(0)
	v_lshrrev_b32_e32 v64, 16, v79
	v_cmp_eq_u16_sdwa s[8:9], v64, v15 src0_sel:BYTE_0 src1_sel:DWORD
	s_and_saveexec_b64 s[2:3], s[8:9]
	s_cbranch_execz .LBB80_66
; %bb.63:
	s_mov_b64 s[8:9], 0
	v_mov_b32_e32 v14, 0
.LBB80_64:                              ; =>This Inner Loop Header: Depth=1
	global_load_dword v79, v[16:17], off glc
	s_waitcnt vmcnt(0)
	v_lshrrev_b32_e32 v64, 16, v79
	v_cmp_ne_u16_sdwa s[10:11], v64, v14 src0_sel:BYTE_0 src1_sel:DWORD
	s_or_b64 s[8:9], s[10:11], s[8:9]
	s_andn2_b64 exec, exec, s[8:9]
	s_cbranch_execnz .LBB80_64
; %bb.65:
	s_or_b64 exec, exec, s[8:9]
.LBB80_66:
	s_or_b64 exec, exec, s[2:3]
	v_and_b32_e32 v74, 63, v18
	v_cmp_ne_u32_e32 vcc, 63, v74
	v_addc_co_u32_e32 v66, vcc, 0, v18, vcc
	v_mov_b32_e32 v65, 2
	v_lshlrev_b64 v[15:16], v18, -1
	v_lshlrev_b32_e32 v66, 2, v66
	v_and_b32_e32 v68, 0xffff, v79
	v_cmp_eq_u16_sdwa s[2:3], v64, v65 src0_sel:BYTE_0 src1_sel:DWORD
	ds_bpermute_b32 v69, v66, v68
	v_and_b32_e32 v14, s3, v16
	v_or_b32_e32 v14, 0x80000000, v14
	v_and_b32_e32 v17, s2, v15
	v_ffbl_b32_e32 v14, v14
	v_add_u32_e32 v14, 32, v14
	v_ffbl_b32_e32 v17, v17
	v_min_u32_e32 v81, v17, v14
	s_waitcnt lgkmcnt(0)
	v_lshlrev_b32_e32 v14, 16, v69
	v_lshlrev_b32_e32 v17, 16, v79
	v_cmp_lt_f32_e32 vcc, v14, v17
	v_add_u32_e32 v67, 1, v18
	v_cndmask_b32_e32 v14, v69, v79, vcc
	v_and_b32_e32 v17, 0xffff, v14
	v_cmp_le_u32_e32 vcc, v67, v81
	v_cmp_gt_u32_e64 s[2:3], 62, v74
	v_cndmask_b32_e32 v17, v68, v17, vcc
	v_cndmask_b32_e64 v68, 0, 2, s[2:3]
	v_add_lshl_u32 v68, v68, v18, 2
	ds_bpermute_b32 v70, v68, v17
	v_lshlrev_b32_e32 v72, 16, v17
	v_cndmask_b32_e32 v14, v79, v14, vcc
	v_add_u32_e32 v69, 2, v18
	v_cmp_gt_u32_e64 s[8:9], 60, v74
	s_waitcnt lgkmcnt(0)
	v_lshlrev_b32_e32 v71, 16, v70
	v_cmp_lt_f32_e64 s[2:3], v71, v72
	v_cndmask_b32_e64 v71, v70, v14, s[2:3]
	v_and_b32_e32 v70, 0xffff, v71
	v_cmp_le_u32_e64 s[2:3], v69, v81
	v_cndmask_b32_e64 v17, v17, v70, s[2:3]
	v_cndmask_b32_e64 v70, 0, 4, s[8:9]
	v_add_lshl_u32 v70, v70, v18, 2
	ds_bpermute_b32 v72, v70, v17
	v_lshlrev_b32_e32 v75, 16, v17
	v_cndmask_b32_e64 v14, v14, v71, s[2:3]
	v_add_u32_e32 v71, 4, v18
	v_cmp_gt_u32_e64 s[10:11], 56, v74
	s_waitcnt lgkmcnt(0)
	v_lshlrev_b32_e32 v73, 16, v72
	v_cmp_lt_f32_e64 s[8:9], v73, v75
	v_cndmask_b32_e64 v73, v72, v14, s[8:9]
	v_and_b32_e32 v72, 0xffff, v73
	v_cmp_le_u32_e64 s[8:9], v71, v81
	v_cndmask_b32_e64 v17, v17, v72, s[8:9]
	v_cndmask_b32_e64 v72, 0, 8, s[10:11]
	v_add_lshl_u32 v72, v72, v18, 2
	ds_bpermute_b32 v75, v72, v17
	v_lshlrev_b32_e32 v77, 16, v17
	s_or_b64 s[2:3], vcc, s[2:3]
	v_cndmask_b32_e64 v14, v14, v73, s[8:9]
	v_add_u32_e32 v73, 8, v18
	s_waitcnt lgkmcnt(0)
	v_lshlrev_b32_e32 v76, 16, v75
	v_cmp_lt_f32_e32 vcc, v76, v77
	v_cndmask_b32_e32 v75, v75, v14, vcc
	s_or_b64 s[8:9], s[8:9], s[2:3]
	v_and_b32_e32 v76, 0xffff, v75
	v_cmp_le_u32_e32 vcc, v73, v81
	v_cmp_gt_u32_e64 s[2:3], 48, v74
	v_cndmask_b32_e32 v76, v17, v76, vcc
	v_cndmask_b32_e64 v17, 0, 16, s[2:3]
	v_add_lshl_u32 v74, v17, v18, 2
	ds_bpermute_b32 v17, v74, v76
	v_lshlrev_b32_e32 v78, 16, v76
	v_cndmask_b32_e32 v14, v14, v75, vcc
	v_add_u32_e32 v75, 16, v18
	s_or_b64 s[8:9], vcc, s[8:9]
	s_waitcnt lgkmcnt(0)
	v_lshlrev_b32_e32 v77, 16, v17
	v_cmp_lt_f32_e64 s[2:3], v77, v78
	v_cmp_le_u32_e32 vcc, v75, v81
	v_cndmask_b32_e64 v17, v17, v14, s[2:3]
	v_mov_b32_e32 v77, 0x80
	v_cndmask_b32_sdwa v76, v76, v17, vcc dst_sel:DWORD dst_unused:UNUSED_PAD src0_sel:DWORD src1_sel:WORD_0
	v_lshl_or_b32 v77, v18, 2, v77
	ds_bpermute_b32 v80, v77, v76
	v_add_u32_e32 v78, 32, v18
	s_or_b64 s[8:9], vcc, s[8:9]
	v_cmp_le_u32_e64 s[2:3], v78, v81
	s_or_b64 s[10:11], s[2:3], s[8:9]
	s_and_saveexec_b64 s[8:9], s[10:11]
	s_cbranch_execz .LBB80_68
; %bb.67:
	s_waitcnt lgkmcnt(0)
	v_lshlrev_b32_e32 v18, 16, v80
	v_lshlrev_b32_e32 v76, 16, v76
	v_cndmask_b32_e32 v14, v14, v17, vcc
	v_cmp_lt_f32_e32 vcc, v18, v76
	v_cndmask_b32_e32 v17, v80, v14, vcc
	v_cndmask_b32_e64 v79, v14, v17, s[2:3]
.LBB80_68:
	s_or_b64 exec, exec, s[8:9]
	v_mov_b32_e32 v14, 0
	s_branch .LBB80_71
.LBB80_69:                              ;   in Loop: Header=BB80_71 Depth=1
	s_or_b64 exec, exec, s[8:9]
	v_lshlrev_b32_e32 v17, 16, v79
	v_lshlrev_b32_e32 v18, 16, v76
	v_cmp_lt_f32_e32 vcc, v17, v18
	v_subrev_u32_e32 v13, 64, v13
	v_cndmask_b32_e32 v79, v79, v76, vcc
	s_mov_b64 s[2:3], 0
.LBB80_70:                              ;   in Loop: Header=BB80_71 Depth=1
	s_and_b64 vcc, exec, s[2:3]
	s_cbranch_vccnz .LBB80_79
.LBB80_71:                              ; =>This Loop Header: Depth=1
                                        ;     Child Loop BB80_74 Depth 2
	v_cmp_ne_u16_sdwa s[2:3], v64, v65 src0_sel:BYTE_0 src1_sel:DWORD
	v_mov_b32_e32 v76, v79
	s_cmp_lg_u64 s[2:3], exec
	s_mov_b64 s[2:3], -1
                                        ; implicit-def: $vgpr79
                                        ; implicit-def: $vgpr64
	s_cbranch_scc1 .LBB80_70
; %bb.72:                               ;   in Loop: Header=BB80_71 Depth=1
	v_lshlrev_b64 v[17:18], 2, v[13:14]
	v_mov_b32_e32 v64, s21
	v_add_co_u32_e32 v17, vcc, s20, v17
	v_addc_co_u32_e32 v18, vcc, v64, v18, vcc
	global_load_dword v79, v[17:18], off glc
	s_waitcnt vmcnt(0)
	v_lshrrev_b32_e32 v64, 16, v79
	v_cmp_eq_u16_sdwa s[8:9], v64, v14 src0_sel:BYTE_0 src1_sel:DWORD
	s_and_saveexec_b64 s[2:3], s[8:9]
	s_cbranch_execz .LBB80_76
; %bb.73:                               ;   in Loop: Header=BB80_71 Depth=1
	s_mov_b64 s[8:9], 0
.LBB80_74:                              ;   Parent Loop BB80_71 Depth=1
                                        ; =>  This Inner Loop Header: Depth=2
	global_load_dword v79, v[17:18], off glc
	s_waitcnt vmcnt(0)
	v_lshrrev_b32_e32 v64, 16, v79
	v_cmp_ne_u16_sdwa s[10:11], v64, v14 src0_sel:BYTE_0 src1_sel:DWORD
	s_or_b64 s[8:9], s[10:11], s[8:9]
	s_andn2_b64 exec, exec, s[8:9]
	s_cbranch_execnz .LBB80_74
; %bb.75:                               ;   in Loop: Header=BB80_71 Depth=1
	s_or_b64 exec, exec, s[8:9]
.LBB80_76:                              ;   in Loop: Header=BB80_71 Depth=1
	s_or_b64 exec, exec, s[2:3]
	s_waitcnt lgkmcnt(0)
	v_and_b32_e32 v80, 0xffff, v79
	v_cmp_eq_u16_sdwa s[2:3], v64, v65 src0_sel:BYTE_0 src1_sel:DWORD
	ds_bpermute_b32 v81, v66, v80
	v_and_b32_e32 v17, s3, v16
	v_or_b32_e32 v17, 0x80000000, v17
	v_and_b32_e32 v18, s2, v15
	v_ffbl_b32_e32 v17, v17
	v_add_u32_e32 v17, 32, v17
	v_ffbl_b32_e32 v18, v18
	v_min_u32_e32 v82, v18, v17
	s_waitcnt lgkmcnt(0)
	v_lshlrev_b32_e32 v17, 16, v81
	v_lshlrev_b32_e32 v18, 16, v79
	v_cmp_lt_f32_e32 vcc, v17, v18
	v_cndmask_b32_e32 v17, v81, v79, vcc
	v_and_b32_e32 v18, 0xffff, v17
	v_cmp_le_u32_e32 vcc, v67, v82
	v_cndmask_b32_e32 v18, v80, v18, vcc
	ds_bpermute_b32 v80, v68, v18
	v_lshlrev_b32_e32 v83, 16, v18
	v_cndmask_b32_e32 v17, v79, v17, vcc
	s_waitcnt lgkmcnt(0)
	v_lshlrev_b32_e32 v81, 16, v80
	v_cmp_lt_f32_e64 s[2:3], v81, v83
	v_cndmask_b32_e64 v80, v80, v17, s[2:3]
	v_and_b32_e32 v81, 0xffff, v80
	v_cmp_le_u32_e64 s[2:3], v69, v82
	v_cndmask_b32_e64 v18, v18, v81, s[2:3]
	ds_bpermute_b32 v81, v70, v18
	v_cndmask_b32_e64 v17, v17, v80, s[2:3]
	v_lshlrev_b32_e32 v83, 16, v18
	s_or_b64 s[2:3], vcc, s[2:3]
	v_cmp_le_u32_e32 vcc, v75, v82
	s_waitcnt lgkmcnt(0)
	v_lshlrev_b32_e32 v80, 16, v81
	v_cmp_lt_f32_e64 s[8:9], v80, v83
	v_cndmask_b32_e64 v80, v81, v17, s[8:9]
	v_and_b32_e32 v81, 0xffff, v80
	v_cmp_le_u32_e64 s[8:9], v71, v82
	v_cndmask_b32_e64 v18, v18, v81, s[8:9]
	ds_bpermute_b32 v81, v72, v18
	v_cndmask_b32_e64 v17, v17, v80, s[8:9]
	v_lshlrev_b32_e32 v83, 16, v18
	s_or_b64 s[8:9], s[8:9], s[2:3]
	s_waitcnt lgkmcnt(0)
	v_lshlrev_b32_e32 v80, 16, v81
	v_cmp_lt_f32_e64 s[10:11], v80, v83
	v_cndmask_b32_e64 v80, v81, v17, s[10:11]
	v_and_b32_e32 v81, 0xffff, v80
	v_cmp_le_u32_e64 s[10:11], v73, v82
	v_cndmask_b32_e64 v81, v18, v81, s[10:11]
	ds_bpermute_b32 v18, v74, v81
	v_cndmask_b32_e64 v17, v17, v80, s[10:11]
	v_lshlrev_b32_e32 v83, 16, v81
	s_waitcnt lgkmcnt(0)
	v_lshlrev_b32_e32 v80, 16, v18
	v_cmp_lt_f32_e64 s[2:3], v80, v83
	v_cndmask_b32_e64 v18, v18, v17, s[2:3]
	v_cndmask_b32_sdwa v81, v81, v18, vcc dst_sel:DWORD dst_unused:UNUSED_PAD src0_sel:DWORD src1_sel:WORD_0
	ds_bpermute_b32 v80, v77, v81
	s_or_b64 s[2:3], s[10:11], s[8:9]
	s_or_b64 s[8:9], vcc, s[2:3]
	v_cmp_le_u32_e64 s[2:3], v78, v82
	s_or_b64 s[10:11], s[2:3], s[8:9]
	s_and_saveexec_b64 s[8:9], s[10:11]
	s_cbranch_execz .LBB80_69
; %bb.77:                               ;   in Loop: Header=BB80_71 Depth=1
	s_waitcnt lgkmcnt(0)
	v_lshlrev_b32_e32 v79, 16, v80
	v_lshlrev_b32_e32 v81, 16, v81
	v_cndmask_b32_e32 v17, v17, v18, vcc
	v_cmp_lt_f32_e32 vcc, v79, v81
	v_cndmask_b32_e32 v18, v80, v17, vcc
	v_cndmask_b32_e64 v79, v17, v18, s[2:3]
	s_branch .LBB80_69
.LBB80_78:
                                        ; implicit-def: $vgpr14
                                        ; implicit-def: $vgpr13
                                        ; implicit-def: $vgpr15
                                        ; implicit-def: $vgpr16
                                        ; implicit-def: $vgpr17
                                        ; implicit-def: $vgpr18
                                        ; implicit-def: $vgpr60
                                        ; implicit-def: $vgpr62
                                        ; implicit-def: $vgpr61
                                        ; implicit-def: $vgpr63
                                        ; implicit-def: $vgpr64
                                        ; implicit-def: $vgpr65
                                        ; implicit-def: $vgpr66
                                        ; implicit-def: $vgpr67
                                        ; implicit-def: $vgpr68
                                        ; implicit-def: $vgpr71
                                        ; implicit-def: $vgpr69
                                        ; implicit-def: $vgpr72
                                        ; implicit-def: $vgpr73
                                        ; implicit-def: $vgpr74
                                        ; implicit-def: $vgpr75
                                        ; implicit-def: $vgpr76
                                        ; implicit-def: $vgpr77
                                        ; implicit-def: $vgpr70
	s_load_dwordx4 s[0:3], s[4:5], 0x30
	s_cbranch_execnz .LBB80_84
	s_branch .LBB80_97
.LBB80_79:
	s_and_saveexec_b64 s[2:3], s[0:1]
	s_cbranch_execz .LBB80_81
; %bb.80:
	v_lshlrev_b32_e32 v13, 16, v76
	v_lshlrev_b32_e32 v14, 16, v63
	s_add_i32 s6, s6, 64
	s_mov_b32 s7, 0
	v_cmp_lt_f32_e32 vcc, v13, v14
	s_lshl_b64 s[6:7], s[6:7], 2
	v_cndmask_b32_e32 v13, v76, v62, vcc
	s_add_u32 s6, s20, s6
	s_mov_b32 s8, 0x20000
	s_addc_u32 s7, s21, s7
	v_mov_b32_e32 v14, 0
	v_or_b32_sdwa v13, v13, s8 dst_sel:DWORD dst_unused:UNUSED_PAD src0_sel:WORD_0 src1_sel:DWORD
	global_store_dword v14, v13, s[6:7]
.LBB80_81:
	s_or_b64 exec, exec, s[2:3]
	v_cmp_eq_u32_e32 vcc, 0, v0
	s_and_b64 exec, exec, vcc
; %bb.82:
	v_mov_b32_e32 v13, 0
	ds_write_b16 v13, v76 offset:6
.LBB80_83:
	s_or_b64 exec, exec, s[22:23]
	v_mov_b32_e32 v13, 0
	s_waitcnt vmcnt(0) lgkmcnt(0)
	s_barrier
	ds_read_u16 v13, v13 offset:6
	v_cndmask_b32_e64 v14, v61, v60, s[0:1]
	v_lshlrev_b32_e32 v15, 16, v14
	s_waitcnt lgkmcnt(0)
	v_lshlrev_b32_e32 v16, 16, v13
	v_cmp_lt_f32_e32 vcc, v16, v15
	v_cndmask_b32_e32 v14, v13, v14, vcc
	v_cmp_eq_u32_e32 vcc, 0, v0
	v_cndmask_b32_e32 v14, v14, v13, vcc
	v_lshlrev_b32_e32 v13, 16, v14
	v_cmp_lt_f32_e32 vcc, v13, v54
	v_cndmask_b32_sdwa v13, v14, v9, vcc dst_sel:DWORD dst_unused:UNUSED_PAD src0_sel:DWORD src1_sel:WORD_0
	v_lshlrev_b32_e32 v15, 16, v13
	v_cmp_lt_f32_e32 vcc, v15, v53
	v_cndmask_b32_sdwa v15, v13, v46, vcc dst_sel:DWORD dst_unused:UNUSED_PAD src0_sel:DWORD src1_sel:WORD_0
	;; [unrolled: 3-line block ×23, first 2 shown]
	s_load_dwordx4 s[0:3], s[4:5], 0x30
	s_branch .LBB80_97
.LBB80_84:
	s_load_dword s6, s[4:5], 0x40
	s_load_dword s7, s[4:5], 0x18
	s_waitcnt lgkmcnt(0)
	s_bitcmp0_b32 s6, 0
	v_mov_b32_e32 v70, s7
	s_cbranch_scc1 .LBB80_86
; %bb.85:
	v_mov_b32_e32 v13, 0
	global_load_ushort v14, v13, s[12:13] offset:-2
	global_load_ushort v15, v13, s[0:1]
	s_waitcnt vmcnt(1)
	v_lshlrev_b32_e32 v13, 16, v14
	s_waitcnt vmcnt(0)
	v_lshlrev_b32_e32 v16, 16, v15
	v_cmp_lt_f32_e32 vcc, v16, v13
	v_cndmask_b32_e32 v70, v15, v14, vcc
.LBB80_86:
	v_cmp_lt_f32_e32 vcc, v54, v53
	v_cndmask_b32_e32 v13, v9, v46, vcc
	v_lshlrev_b32_e32 v14, 16, v13
	v_cmp_lt_f32_e32 vcc, v14, v52
	v_cndmask_b32_e32 v13, v13, v10, vcc
	v_lshlrev_b32_e32 v14, 16, v13
	;; [unrolled: 3-line block ×22, first 2 shown]
	v_cmp_lt_f32_e32 vcc, v14, v59
	v_cndmask_b32_e32 v14, v13, v57, vcc
	v_and_b32_e32 v16, 0xffff, v14
	v_lshlrev_b32_e32 v57, 16, v14
	v_mbcnt_hi_u32_b32 v13, -1, v58
	v_mov_b32_dpp v17, v16 row_shr:1 row_mask:0xf bank_mask:0xf
	v_lshlrev_b32_e32 v18, 16, v17
	v_cmp_lt_f32_e32 vcc, v18, v57
	v_and_b32_e32 v15, 15, v13
	v_cndmask_b32_e32 v17, v17, v14, vcc
	v_and_b32_e32 v18, 0xffff, v17
	v_cmp_eq_u32_e32 vcc, 0, v15
	v_cndmask_b32_e32 v16, v18, v16, vcc
	v_cndmask_b32_e32 v14, v17, v14, vcc
	v_lshlrev_b32_e32 v57, 16, v16
	v_mov_b32_dpp v17, v16 row_shr:2 row_mask:0xf bank_mask:0xf
	v_lshlrev_b32_e32 v18, 16, v17
	v_cmp_lt_f32_e32 vcc, v18, v57
	v_cndmask_b32_e32 v17, v17, v14, vcc
	v_and_b32_e32 v18, 0xffff, v17
	v_cmp_lt_u32_e32 vcc, 1, v15
	v_cndmask_b32_e32 v16, v16, v18, vcc
	v_cndmask_b32_e32 v14, v14, v17, vcc
	v_lshlrev_b32_e32 v57, 16, v16
	v_mov_b32_dpp v17, v16 row_shr:4 row_mask:0xf bank_mask:0xf
	v_lshlrev_b32_e32 v18, 16, v17
	v_cmp_lt_f32_e32 vcc, v18, v57
	v_cndmask_b32_e32 v17, v17, v14, vcc
	v_and_b32_e32 v18, 0xffff, v17
	v_cmp_lt_u32_e32 vcc, 3, v15
	;; [unrolled: 9-line block ×3, first 2 shown]
	v_cndmask_b32_e32 v15, v16, v18, vcc
	v_lshlrev_b32_e32 v57, 16, v15
	v_cndmask_b32_e32 v14, v14, v17, vcc
	v_mov_b32_dpp v16, v15 row_bcast:15 row_mask:0xf bank_mask:0xf
	v_lshlrev_b32_e32 v18, 16, v16
	v_cmp_lt_f32_e32 vcc, v18, v57
	v_and_b32_e32 v17, 16, v13
	v_cndmask_b32_e32 v16, v16, v14, vcc
	v_and_b32_e32 v18, 0xffff, v16
	v_cmp_eq_u32_e32 vcc, 0, v17
	v_cndmask_b32_e32 v15, v18, v15, vcc
	v_cndmask_b32_e32 v14, v16, v14, vcc
	s_nop 0
	v_mov_b32_dpp v16, v15 row_bcast:31 row_mask:0xf bank_mask:0xf
	v_lshlrev_b32_e32 v17, 16, v16
	v_lshlrev_b32_e32 v15, 16, v15
	v_cmp_lt_f32_e32 vcc, v17, v15
	v_cndmask_b32_e32 v15, v16, v14, vcc
	v_cmp_lt_u32_e32 vcc, 31, v13
	v_cndmask_b32_e32 v14, v14, v15, vcc
	v_cmp_eq_u32_e32 vcc, v0, v56
	s_and_saveexec_b64 s[0:1], vcc
; %bb.87:
	v_lshlrev_b32_e32 v15, 1, v55
	ds_write_b16 v15, v14
; %bb.88:
	s_or_b64 exec, exec, s[0:1]
	v_cmp_gt_u32_e32 vcc, 4, v0
	s_waitcnt lgkmcnt(0)
	s_barrier
	s_and_saveexec_b64 s[0:1], vcc
	s_cbranch_execz .LBB80_90
; %bb.89:
	s_movk_i32 s6, 0xffd2
	v_mad_i32_i24 v15, v0, s6, v20
	ds_read_u16 v16, v15
	v_and_b32_e32 v17, 3, v13
	s_waitcnt lgkmcnt(0)
	v_and_b32_e32 v18, 0xffff, v16
	s_nop 1
	v_mov_b32_dpp v57, v18 row_shr:1 row_mask:0xf bank_mask:0xf
	v_lshlrev_b32_e32 v56, 16, v16
	v_lshlrev_b32_e32 v58, 16, v57
	v_cmp_lt_f32_e32 vcc, v58, v56
	v_cndmask_b32_e32 v56, v57, v16, vcc
	v_and_b32_e32 v57, 0xffff, v56
	v_cmp_eq_u32_e32 vcc, 0, v17
	v_cndmask_b32_e32 v18, v57, v18, vcc
	v_cndmask_b32_e32 v16, v56, v16, vcc
	s_nop 0
	v_mov_b32_dpp v56, v18 row_shr:2 row_mask:0xf bank_mask:0xf
	v_lshlrev_b32_e32 v57, 16, v56
	v_lshlrev_b32_e32 v18, 16, v18
	v_cmp_lt_f32_e32 vcc, v57, v18
	v_cndmask_b32_e32 v18, v56, v16, vcc
	v_cmp_lt_u32_e32 vcc, 1, v17
	v_cndmask_b32_e32 v16, v16, v18, vcc
	ds_write_b16 v15, v16
.LBB80_90:
	s_or_b64 exec, exec, s[0:1]
	v_cmp_lt_u32_e32 vcc, 63, v0
	v_lshlrev_b32_e32 v16, 16, v70
	s_waitcnt lgkmcnt(0)
	s_barrier
                                        ; implicit-def: $vgpr15
                                        ; implicit-def: $vgpr56
	s_and_saveexec_b64 s[0:1], vcc
	s_xor_b64 s[0:1], exec, s[0:1]
	s_cbranch_execz .LBB80_92
; %bb.91:
	v_lshl_add_u32 v15, v55, 1, -2
	ds_read_u16 v15, v15
	v_lshlrev_b32_e32 v56, 16, v70
	s_waitcnt lgkmcnt(0)
	v_lshlrev_b32_e32 v16, 16, v15
	v_cmp_lt_f32_e32 vcc, v56, v16
	v_cndmask_b32_e32 v15, v70, v15, vcc
	v_lshlrev_b32_e32 v16, 16, v15
.LBB80_92:
	s_andn2_saveexec_b64 s[0:1], s[0:1]
; %bb.93:
	v_mov_b32_e32 v56, v16
	v_mov_b32_e32 v15, v70
; %bb.94:
	s_or_b64 exec, exec, s[0:1]
	v_lshlrev_b32_e32 v17, 16, v14
	v_cmp_lt_f32_e32 vcc, v16, v17
	v_cndmask_b32_e32 v14, v15, v14, vcc
	v_subrev_co_u32_e32 v16, vcc, 1, v13
	v_and_b32_e32 v17, 64, v13
	v_cmp_lt_i32_e64 s[0:1], v16, v17
	v_cndmask_b32_e64 v13, v16, v13, s[0:1]
	v_lshlrev_b32_e32 v13, 2, v13
	v_and_b32_e32 v14, 0xffff, v14
	ds_bpermute_b32 v13, v13, v14
	v_cmp_eq_u32_e64 s[0:1], 0, v0
	s_waitcnt lgkmcnt(0)
	v_cndmask_b32_e32 v14, v13, v15, vcc
	v_cndmask_b32_e64 v13, v14, v70, s[0:1]
	v_lshlrev_b32_e32 v15, 16, v13
	v_cmp_lt_f32_e32 vcc, v15, v54
	v_cndmask_b32_sdwa v13, v13, v9, vcc dst_sel:DWORD dst_unused:UNUSED_PAD src0_sel:DWORD src1_sel:WORD_0
	v_lshlrev_b32_e32 v9, 16, v13
	v_cmp_lt_f32_e32 vcc, v9, v53
	v_cndmask_b32_sdwa v15, v13, v46, vcc dst_sel:DWORD dst_unused:UNUSED_PAD src0_sel:DWORD src1_sel:WORD_0
	;; [unrolled: 3-line block ×22, first 2 shown]
	v_lshlrev_b32_e32 v1, 16, v77
	v_cmp_lt_f32_e32 vcc, v1, v26
	s_and_saveexec_b64 s[6:7], s[0:1]
	s_cbranch_execz .LBB80_96
; %bb.95:
	v_mov_b32_e32 v1, 0
	ds_read_u16 v2, v1 offset:6
	s_mov_b32 s8, 0x20000
	v_mov_b32_e32 v14, v70
	s_waitcnt lgkmcnt(0)
	v_lshlrev_b32_e32 v3, 16, v2
	v_cmp_lt_f32_e64 s[0:1], v56, v3
	v_cndmask_b32_e64 v2, v70, v2, s[0:1]
	v_or_b32_sdwa v2, v2, s8 dst_sel:DWORD dst_unused:UNUSED_PAD src0_sel:WORD_0 src1_sel:DWORD
	global_store_dword v1, v2, s[20:21] offset:256
.LBB80_96:
	s_or_b64 exec, exec, s[6:7]
	v_cndmask_b32_sdwa v70, v77, v4, vcc dst_sel:DWORD dst_unused:UNUSED_PAD src0_sel:DWORD src1_sel:WORD_0
.LBB80_97:
	s_waitcnt lgkmcnt(0)
	s_add_u32 s0, s14, s18
	s_addc_u32 s1, s15, s19
	s_mov_b64 s[6:7], -1
	s_and_b64 vcc, exec, s[16:17]
	s_waitcnt vmcnt(0)
	s_barrier
	s_cbranch_vccz .LBB80_99
; %bb.98:
	s_mov_b32 s6, 0x5040100
	v_perm_b32 v4, v62, v60, s6
	v_perm_b32 v3, v18, v17, s6
	v_perm_b32 v2, v16, v15, s6
	v_perm_b32 v1, v13, v14, s6
	ds_write_b128 v20, v[1:4]
	v_perm_b32 v4, v71, v68, s6
	v_perm_b32 v3, v67, v66, s6
	;; [unrolled: 1-line block ×4, first 2 shown]
	ds_write_b128 v20, v[1:4] offset:16
	v_perm_b32 v4, v70, v77, s6
	v_perm_b32 v3, v76, v75, s6
	;; [unrolled: 1-line block ×4, first 2 shown]
	v_mov_b32_e32 v33, s1
	v_add_co_u32_e32 v34, vcc, s0, v19
	ds_write_b128 v20, v[1:4] offset:32
	s_waitcnt lgkmcnt(0)
	s_barrier
	ds_read_u16 v1, v19
	ds_read_u16 v2, v19 offset:512
	ds_read_u16 v3, v19 offset:1024
	;; [unrolled: 1-line block ×23, first 2 shown]
	v_addc_co_u32_e32 v33, vcc, 0, v33, vcc
	s_movk_i32 s6, 0x1000
	s_waitcnt lgkmcnt(14)
	global_store_short v19, v1, s[0:1]
	global_store_short v19, v2, s[0:1] offset:512
	global_store_short v19, v3, s[0:1] offset:1024
	;; [unrolled: 1-line block ×7, first 2 shown]
	v_add_co_u32_e32 v1, vcc, s6, v34
	v_addc_co_u32_e32 v2, vcc, 0, v33, vcc
	global_store_short v[1:2], v9, off
	global_store_short v[1:2], v10, off offset:512
	s_waitcnt lgkmcnt(13)
	global_store_short v[1:2], v11, off offset:1024
	s_waitcnt lgkmcnt(12)
	;; [unrolled: 2-line block ×6, first 2 shown]
	global_store_short v[1:2], v24, off offset:3584
	v_add_co_u32_e32 v1, vcc, 0x2000, v34
	v_addc_co_u32_e32 v2, vcc, 0, v33, vcc
	s_waitcnt lgkmcnt(7)
	global_store_short v[1:2], v25, off
	s_waitcnt lgkmcnt(6)
	global_store_short v[1:2], v26, off offset:512
	s_waitcnt lgkmcnt(5)
	global_store_short v[1:2], v27, off offset:1024
	s_waitcnt lgkmcnt(4)
	global_store_short v[1:2], v28, off offset:1536
	s_waitcnt lgkmcnt(3)
	global_store_short v[1:2], v29, off offset:2048
	s_waitcnt lgkmcnt(2)
	global_store_short v[1:2], v30, off offset:2560
	s_waitcnt lgkmcnt(1)
	global_store_short v[1:2], v31, off offset:3072
	s_waitcnt lgkmcnt(0)
	global_store_short v[1:2], v32, off offset:3584
	s_mov_b64 s[6:7], 0
.LBB80_99:
	s_andn2_b64 vcc, exec, s[6:7]
	s_cbranch_vccnz .LBB80_156
; %bb.100:
	s_mov_b32 s6, 0x5040100
	v_perm_b32 v4, v62, v60, s6
	v_perm_b32 v3, v18, v17, s6
	;; [unrolled: 1-line block ×4, first 2 shown]
	ds_write_b128 v20, v[1:4]
	v_perm_b32 v4, v71, v68, s6
	v_perm_b32 v3, v67, v66, s6
	;; [unrolled: 1-line block ×4, first 2 shown]
	ds_write_b128 v20, v[1:4] offset:16
	v_perm_b32 v4, v70, v77, s6
	v_perm_b32 v3, v76, v75, s6
	;; [unrolled: 1-line block ×4, first 2 shown]
	s_movk_i32 s6, 0xffd2
	ds_write_b128 v20, v[1:4] offset:32
	v_mad_i32_i24 v2, v0, s6, v20
	s_waitcnt vmcnt(0) lgkmcnt(0)
	s_barrier
	ds_read_u16 v5, v2
	ds_read_u16 v4, v2 offset:512
	ds_read_u16 v7, v2 offset:1024
	;; [unrolled: 1-line block ×23, first 2 shown]
	v_mov_b32_e32 v3, s1
	v_add_co_u32_e32 v2, vcc, s0, v19
	v_addc_co_u32_e32 v3, vcc, 0, v3, vcc
	v_mov_b32_e32 v1, 0
	v_cmp_gt_u32_e32 vcc, s24, v0
	s_and_saveexec_b64 s[0:1], vcc
	s_cbranch_execz .LBB80_102
; %bb.101:
	s_waitcnt lgkmcnt(14)
	global_store_short v[2:3], v5, off
.LBB80_102:
	s_or_b64 exec, exec, s[0:1]
	v_or_b32_e32 v19, 0x100, v0
	v_cmp_gt_u32_e32 vcc, s24, v19
	s_and_saveexec_b64 s[0:1], vcc
	s_cbranch_execz .LBB80_104
; %bb.103:
	s_waitcnt lgkmcnt(14)
	global_store_short v[2:3], v4, off offset:512
.LBB80_104:
	s_or_b64 exec, exec, s[0:1]
	v_or_b32_e32 v19, 0x200, v0
	v_cmp_gt_u32_e32 vcc, s24, v19
	s_and_saveexec_b64 s[0:1], vcc
	s_cbranch_execz .LBB80_106
; %bb.105:
	s_waitcnt lgkmcnt(14)
	global_store_short v[2:3], v7, off offset:1024
.LBB80_106:
	;; [unrolled: 9-line block ×7, first 2 shown]
	s_or_b64 exec, exec, s[0:1]
	v_or_b32_e32 v19, 0x800, v0
	v_cmp_gt_u32_e32 vcc, s24, v19
	s_and_saveexec_b64 s[0:1], vcc
	s_cbranch_execz .LBB80_118
; %bb.117:
	v_add_co_u32_e32 v29, vcc, 0x1000, v2
	v_addc_co_u32_e32 v30, vcc, 0, v3, vcc
	s_waitcnt lgkmcnt(14)
	global_store_short v[29:30], v18, off
.LBB80_118:
	s_or_b64 exec, exec, s[0:1]
	v_or_b32_e32 v19, 0x900, v0
	v_cmp_gt_u32_e32 vcc, s24, v19
	s_and_saveexec_b64 s[0:1], vcc
	s_cbranch_execz .LBB80_120
; %bb.119:
	v_add_co_u32_e32 v29, vcc, 0x1000, v2
	v_addc_co_u32_e32 v30, vcc, 0, v3, vcc
	s_waitcnt lgkmcnt(14)
	global_store_short v[29:30], v23, off offset:512
.LBB80_120:
	s_or_b64 exec, exec, s[0:1]
	v_or_b32_e32 v19, 0xa00, v0
	v_cmp_gt_u32_e32 vcc, s24, v19
	s_and_saveexec_b64 s[0:1], vcc
	s_cbranch_execz .LBB80_122
; %bb.121:
	v_add_co_u32_e32 v29, vcc, 0x1000, v2
	v_addc_co_u32_e32 v30, vcc, 0, v3, vcc
	s_waitcnt lgkmcnt(13)
	global_store_short v[29:30], v22, off offset:1024
.LBB80_122:
	;; [unrolled: 11-line block ×7, first 2 shown]
	s_or_b64 exec, exec, s[0:1]
	v_or_b32_e32 v19, 0x1000, v0
	v_cmp_gt_u32_e32 vcc, s24, v19
	s_and_saveexec_b64 s[0:1], vcc
	s_cbranch_execz .LBB80_134
; %bb.133:
	v_add_co_u32_e32 v29, vcc, 0x2000, v2
	v_addc_co_u32_e32 v30, vcc, 0, v3, vcc
	s_waitcnt lgkmcnt(7)
	global_store_short v[29:30], v24, off
.LBB80_134:
	s_or_b64 exec, exec, s[0:1]
	v_or_b32_e32 v19, 0x1100, v0
	v_cmp_gt_u32_e32 vcc, s24, v19
	s_and_saveexec_b64 s[0:1], vcc
	s_cbranch_execz .LBB80_136
; %bb.135:
	v_add_co_u32_e32 v29, vcc, 0x2000, v2
	v_addc_co_u32_e32 v30, vcc, 0, v3, vcc
	s_waitcnt lgkmcnt(6)
	global_store_short v[29:30], v26, off offset:512
.LBB80_136:
	s_or_b64 exec, exec, s[0:1]
	v_or_b32_e32 v19, 0x1200, v0
	v_cmp_gt_u32_e32 vcc, s24, v19
	s_and_saveexec_b64 s[0:1], vcc
	s_cbranch_execz .LBB80_138
; %bb.137:
	v_add_co_u32_e32 v29, vcc, 0x2000, v2
	v_addc_co_u32_e32 v30, vcc, 0, v3, vcc
	s_waitcnt lgkmcnt(5)
	global_store_short v[29:30], v27, off offset:1024
.LBB80_138:
	s_or_b64 exec, exec, s[0:1]
	v_or_b32_e32 v19, 0x1300, v0
	v_cmp_gt_u32_e32 vcc, s24, v19
	s_and_saveexec_b64 s[0:1], vcc
	s_cbranch_execz .LBB80_140
; %bb.139:
	v_add_co_u32_e32 v29, vcc, 0x2000, v2
	v_addc_co_u32_e32 v30, vcc, 0, v3, vcc
	s_waitcnt lgkmcnt(4)
	global_store_short v[29:30], v25, off offset:1536
.LBB80_140:
	s_or_b64 exec, exec, s[0:1]
	v_or_b32_e32 v19, 0x1400, v0
	v_cmp_gt_u32_e32 vcc, s24, v19
	s_and_saveexec_b64 s[0:1], vcc
	s_cbranch_execz .LBB80_142
; %bb.141:
	v_add_co_u32_e32 v29, vcc, 0x2000, v2
	v_addc_co_u32_e32 v30, vcc, 0, v3, vcc
	s_waitcnt lgkmcnt(3)
	global_store_short v[29:30], v10, off offset:2048
.LBB80_142:
	s_or_b64 exec, exec, s[0:1]
	v_or_b32_e32 v19, 0x1500, v0
	v_cmp_gt_u32_e32 vcc, s24, v19
	s_and_saveexec_b64 s[0:1], vcc
	s_cbranch_execz .LBB80_144
; %bb.143:
	v_add_co_u32_e32 v29, vcc, 0x2000, v2
	v_addc_co_u32_e32 v30, vcc, 0, v3, vcc
	s_waitcnt lgkmcnt(2)
	global_store_short v[29:30], v11, off offset:2560
.LBB80_144:
	s_or_b64 exec, exec, s[0:1]
	v_or_b32_e32 v19, 0x1600, v0
	v_cmp_gt_u32_e32 vcc, s24, v19
	s_and_saveexec_b64 s[0:1], vcc
	s_cbranch_execz .LBB80_146
; %bb.145:
	v_add_co_u32_e32 v29, vcc, 0x2000, v2
	v_addc_co_u32_e32 v30, vcc, 0, v3, vcc
	s_waitcnt lgkmcnt(1)
	global_store_short v[29:30], v12, off offset:3072
.LBB80_146:
	s_or_b64 exec, exec, s[0:1]
	v_or_b32_e32 v19, 0x1700, v0
	v_cmp_gt_u32_e32 vcc, s24, v19
	s_and_saveexec_b64 s[0:1], vcc
	s_cbranch_execz .LBB80_148
; %bb.147:
	v_add_co_u32_e32 v2, vcc, 0x2000, v2
	v_addc_co_u32_e32 v3, vcc, 0, v3, vcc
	s_waitcnt lgkmcnt(0)
	global_store_short v[2:3], v28, off offset:3584
.LBB80_148:
	s_or_b64 exec, exec, s[0:1]
	s_load_dword s0, s[4:5], 0x40
	s_waitcnt lgkmcnt(0)
	s_bfe_u32 s0, s0, 0x10008
	s_cmp_eq_u32 s0, 0
	s_cbranch_scc1 .LBB80_156
; %bb.149:
	s_add_u32 s0, s24, -1
	s_addc_u32 s1, s25, -1
	s_mul_i32 s7, s1, 0xaaaaaaab
	s_mul_hi_u32 s8, s0, 0xaaaaaaab
	s_mul_hi_u32 s6, s1, 0xaaaaaaab
	s_add_u32 s7, s7, s8
	s_mul_i32 s5, s0, 0xaaaaaaaa
	s_addc_u32 s6, s6, 0
	s_mul_hi_u32 s4, s0, 0xaaaaaaaa
	s_add_u32 s5, s5, s7
	s_addc_u32 s4, s4, 0
	s_add_u32 s4, s6, s4
	s_addc_u32 s5, 0, 0
	s_mul_i32 s7, s1, 0xaaaaaaaa
	s_mul_hi_u32 s6, s1, 0xaaaaaaaa
	s_add_u32 s4, s7, s4
	s_addc_u32 s5, s6, s5
	s_lshr_b64 s[4:5], s[4:5], 4
	v_cmp_eq_u64_e32 vcc, s[4:5], v[0:1]
	s_and_saveexec_b64 s[4:5], vcc
	s_cbranch_execz .LBB80_156
; %bb.150:
	v_mul_hi_u32_u24_e32 v1, 24, v0
	v_mul_u32_u24_e32 v0, 24, v0
	v_mov_b32_e32 v2, s1
	v_sub_co_u32_e32 v0, vcc, s0, v0
	v_subb_co_u32_e32 v1, vcc, v2, v1, vcc
	v_cmp_lt_i64_e32 vcc, 11, v[0:1]
	s_mov_b64 s[0:1], 0
	s_mov_b64 s[10:11], 0
	;; [unrolled: 1-line block ×4, first 2 shown]
	s_and_saveexec_b64 s[4:5], vcc
	s_xor_b64 s[4:5], exec, s[4:5]
	s_cbranch_execnz .LBB80_157
; %bb.151:
	s_andn2_saveexec_b64 s[4:5], s[4:5]
	s_cbranch_execnz .LBB80_202
.LBB80_152:
	s_or_b64 exec, exec, s[4:5]
	s_and_saveexec_b64 s[4:5], s[10:11]
	s_cbranch_execnz .LBB80_219
.LBB80_153:
	s_or_b64 exec, exec, s[4:5]
	s_and_saveexec_b64 s[4:5], s[8:9]
	s_cbranch_execnz .LBB80_220
.LBB80_154:
	s_or_b64 exec, exec, s[4:5]
	s_and_saveexec_b64 s[4:5], s[6:7]
	s_xor_b64 s[4:5], exec, s[4:5]
	s_cbranch_execnz .LBB80_221
.LBB80_155:
	s_or_b64 exec, exec, s[4:5]
	s_and_b64 exec, exec, s[0:1]
	s_cbranch_execnz .LBB80_222
.LBB80_156:
	s_endpgm
.LBB80_157:
	v_cmp_lt_i64_e32 vcc, 17, v[0:1]
	s_and_saveexec_b64 s[12:13], vcc
	s_xor_b64 s[12:13], exec, s[12:13]
	s_cbranch_execz .LBB80_179
; %bb.158:
	v_cmp_lt_i64_e32 vcc, 20, v[0:1]
	s_and_saveexec_b64 s[14:15], vcc
	s_xor_b64 s[14:15], exec, s[14:15]
	s_cbranch_execz .LBB80_168
; %bb.159:
	v_cmp_lt_i64_e32 vcc, 21, v[0:1]
	s_mov_b64 s[16:17], 0
	s_and_saveexec_b64 s[6:7], vcc
	s_xor_b64 s[6:7], exec, s[6:7]
	s_cbranch_execz .LBB80_165
; %bb.160:
	v_cmp_lt_i64_e32 vcc, 22, v[0:1]
	s_and_saveexec_b64 s[16:17], vcc
	s_xor_b64 s[16:17], exec, s[16:17]
	s_cbranch_execz .LBB80_162
; %bb.161:
	v_mov_b32_e32 v2, 0
	global_store_short v2, v28, s[2:3]
.LBB80_162:
	s_or_saveexec_b64 s[16:17], s[16:17]
	s_mov_b64 s[18:19], 0
	s_xor_b64 exec, exec, s[16:17]
; %bb.163:
	s_mov_b64 s[18:19], exec
; %bb.164:
	s_or_b64 exec, exec, s[16:17]
	s_and_b64 s[16:17], s[18:19], exec
.LBB80_165:
	s_andn2_saveexec_b64 s[6:7], s[6:7]
; %bb.166:
	s_mov_b64 s[8:9], exec
; %bb.167:
	s_or_b64 exec, exec, s[6:7]
	s_and_b64 s[6:7], s[16:17], exec
	s_and_b64 s[8:9], s[8:9], exec
                                        ; implicit-def: $vgpr27
                                        ; implicit-def: $vgpr25
.LBB80_168:
	s_andn2_saveexec_b64 s[14:15], s[14:15]
	s_cbranch_execz .LBB80_178
; %bb.169:
	v_cmp_lt_i64_e32 vcc, 18, v[0:1]
	s_mov_b64 s[16:17], 0
	s_and_saveexec_b64 s[10:11], vcc
	s_xor_b64 s[10:11], exec, s[10:11]
	s_cbranch_execz .LBB80_175
; %bb.170:
	v_cmp_lt_i64_e32 vcc, 19, v[0:1]
	s_and_saveexec_b64 s[18:19], vcc
	s_xor_b64 s[18:19], exec, s[18:19]
; %bb.171:
	s_mov_b64 s[16:17], exec
                                        ; implicit-def: $vgpr25
; %bb.172:
	s_andn2_saveexec_b64 s[18:19], s[18:19]
	s_cbranch_execz .LBB80_174
; %bb.173:
	v_mov_b32_e32 v2, 0
	global_store_short v2, v25, s[2:3]
.LBB80_174:
	s_or_b64 exec, exec, s[18:19]
	s_and_b64 s[16:17], s[16:17], exec
                                        ; implicit-def: $vgpr27
.LBB80_175:
	s_andn2_saveexec_b64 s[10:11], s[10:11]
	s_cbranch_execz .LBB80_177
; %bb.176:
	v_mov_b32_e32 v2, 0
	global_store_short v2, v27, s[2:3]
.LBB80_177:
	s_or_b64 exec, exec, s[10:11]
	s_and_b64 s[10:11], s[16:17], exec
.LBB80_178:
	s_or_b64 exec, exec, s[14:15]
	s_and_b64 s[6:7], s[6:7], exec
	s_and_b64 s[8:9], s[8:9], exec
	;; [unrolled: 1-line block ×3, first 2 shown]
                                        ; implicit-def: $vgpr17
                                        ; implicit-def: $vgpr15
                                        ; implicit-def: $vgpr16
                                        ; implicit-def: $vgpr21
                                        ; implicit-def: $vgpr24
                                        ; implicit-def: $vgpr26
.LBB80_179:
	s_andn2_saveexec_b64 s[12:13], s[12:13]
	s_cbranch_execz .LBB80_201
; %bb.180:
	v_cmp_lt_i64_e32 vcc, 14, v[0:1]
	s_mov_b64 s[14:15], s[6:7]
	s_and_saveexec_b64 s[16:17], vcc
	s_xor_b64 s[16:17], exec, s[16:17]
	s_cbranch_execz .LBB80_190
; %bb.181:
	v_cmp_lt_i64_e32 vcc, 15, v[0:1]
	s_and_saveexec_b64 s[14:15], vcc
	s_xor_b64 s[14:15], exec, s[14:15]
	s_cbranch_execz .LBB80_187
; %bb.182:
	v_cmp_lt_i64_e32 vcc, 16, v[0:1]
	s_and_saveexec_b64 s[18:19], vcc
	s_xor_b64 s[18:19], exec, s[18:19]
	s_cbranch_execz .LBB80_184
; %bb.183:
	v_mov_b32_e32 v2, 0
	global_store_short v2, v26, s[2:3]
                                        ; implicit-def: $vgpr24
.LBB80_184:
	s_andn2_saveexec_b64 s[18:19], s[18:19]
	s_cbranch_execz .LBB80_186
; %bb.185:
	v_mov_b32_e32 v2, 0
	global_store_short v2, v24, s[2:3]
.LBB80_186:
	s_or_b64 exec, exec, s[18:19]
.LBB80_187:
	s_or_saveexec_b64 s[14:15], s[14:15]
	s_mov_b64 s[18:19], s[6:7]
	s_xor_b64 exec, exec, s[14:15]
; %bb.188:
	s_or_b64 s[18:19], s[6:7], exec
; %bb.189:
	s_or_b64 exec, exec, s[14:15]
	s_andn2_b64 s[14:15], s[6:7], exec
	s_and_b64 s[18:19], s[18:19], exec
	s_or_b64 s[14:15], s[14:15], s[18:19]
                                        ; implicit-def: $vgpr16
                                        ; implicit-def: $vgpr21
                                        ; implicit-def: $vgpr15
.LBB80_190:
	s_or_saveexec_b64 s[16:17], s[16:17]
	s_mov_b64 s[18:19], s[8:9]
                                        ; implicit-def: $vgpr11
	s_xor_b64 exec, exec, s[16:17]
	s_cbranch_execz .LBB80_200
; %bb.191:
	v_cmp_lt_i64_e32 vcc, 12, v[0:1]
	s_mov_b64 s[20:21], s[8:9]
	s_mov_b64 s[22:23], s[14:15]
	s_and_saveexec_b64 s[18:19], vcc
	s_xor_b64 s[18:19], exec, s[18:19]
	s_cbranch_execz .LBB80_197
; %bb.192:
	v_cmp_lt_i64_e32 vcc, 13, v[0:1]
	s_mov_b64 s[20:21], s[14:15]
	s_and_saveexec_b64 s[22:23], vcc
	s_xor_b64 s[22:23], exec, s[22:23]
; %bb.193:
	s_or_b64 s[20:21], s[14:15], exec
; %bb.194:
	s_or_saveexec_b64 s[22:23], s[22:23]
	s_mov_b64 s[24:25], s[8:9]
	s_xor_b64 exec, exec, s[22:23]
; %bb.195:
	s_or_b64 s[24:25], s[8:9], exec
; %bb.196:
	s_or_b64 exec, exec, s[22:23]
	s_andn2_b64 s[22:23], s[14:15], exec
	s_and_b64 s[20:21], s[20:21], exec
	s_or_b64 s[22:23], s[22:23], s[20:21]
	s_andn2_b64 s[20:21], s[8:9], exec
	s_and_b64 s[24:25], s[24:25], exec
	s_or_b64 s[20:21], s[20:21], s[24:25]
                                        ; implicit-def: $vgpr21
.LBB80_197:
	s_andn2_saveexec_b64 s[18:19], s[18:19]
; %bb.198:
	s_or_b64 s[20:21], s[20:21], exec
	v_mov_b32_e32 v16, v21
; %bb.199:
	s_or_b64 exec, exec, s[18:19]
	s_andn2_b64 s[14:15], s[14:15], exec
	s_and_b64 s[18:19], s[22:23], exec
	s_or_b64 s[14:15], s[14:15], s[18:19]
	s_andn2_b64 s[18:19], s[8:9], exec
	s_and_b64 s[20:21], s[20:21], exec
	s_or_b64 s[18:19], s[18:19], s[20:21]
	v_mov_b32_e32 v17, v15
	v_mov_b32_e32 v11, v16
.LBB80_200:
	s_or_b64 exec, exec, s[16:17]
	s_andn2_b64 s[6:7], s[6:7], exec
	s_and_b64 s[14:15], s[14:15], exec
	s_or_b64 s[6:7], s[6:7], s[14:15]
	s_andn2_b64 s[8:9], s[8:9], exec
	s_and_b64 s[14:15], s[18:19], exec
	s_or_b64 s[8:9], s[8:9], s[14:15]
	v_mov_b32_e32 v12, v17
.LBB80_201:
	s_or_b64 exec, exec, s[12:13]
	s_and_b64 s[6:7], s[6:7], exec
	s_and_b64 s[8:9], s[8:9], exec
	;; [unrolled: 1-line block ×3, first 2 shown]
                                        ; implicit-def: $vgpr18
                                        ; implicit-def: $vgpr23
                                        ; implicit-def: $vgpr20
                                        ; implicit-def: $vgpr22
                                        ; implicit-def: $vgpr13
                                        ; implicit-def: $vgpr14
	s_andn2_saveexec_b64 s[4:5], s[4:5]
	s_cbranch_execz .LBB80_152
.LBB80_202:
	v_cmp_lt_i64_e32 vcc, 5, v[0:1]
	s_mov_b64 s[14:15], -1
	s_mov_b64 s[12:13], s[10:11]
	s_mov_b64 s[16:17], s[8:9]
	;; [unrolled: 1-line block ×3, first 2 shown]
                                        ; implicit-def: $vgpr10
	s_and_saveexec_b64 s[0:1], vcc
	s_cbranch_execz .LBB80_218
; %bb.203:
	v_cmp_lt_i64_e32 vcc, 8, v[0:1]
	s_mov_b64 s[12:13], s[10:11]
                                        ; implicit-def: $vgpr10
	s_and_saveexec_b64 s[14:15], vcc
	s_xor_b64 s[14:15], exec, s[14:15]
	s_cbranch_execz .LBB80_213
; %bb.204:
	v_cmp_lt_i64_e32 vcc, 9, v[0:1]
	s_and_saveexec_b64 s[12:13], vcc
	s_xor_b64 s[12:13], exec, s[12:13]
	s_cbranch_execz .LBB80_210
; %bb.205:
	v_cmp_lt_i64_e32 vcc, 10, v[0:1]
	s_and_saveexec_b64 s[16:17], vcc
	s_xor_b64 s[16:17], exec, s[16:17]
; %bb.206:
                                        ; implicit-def: $vgpr22
; %bb.207:
	s_andn2_saveexec_b64 s[16:17], s[16:17]
; %bb.208:
	v_mov_b32_e32 v20, v22
; %bb.209:
	s_or_b64 exec, exec, s[16:17]
                                        ; implicit-def: $vgpr23
.LBB80_210:
	s_andn2_saveexec_b64 s[12:13], s[12:13]
; %bb.211:
	v_mov_b32_e32 v20, v23
; %bb.212:
	s_or_b64 exec, exec, s[12:13]
	s_or_b64 s[12:13], s[10:11], exec
	v_mov_b32_e32 v10, v20
                                        ; implicit-def: $vgpr18
.LBB80_213:
	s_or_saveexec_b64 s[14:15], s[14:15]
	s_mov_b64 s[16:17], s[8:9]
	s_mov_b64 s[20:21], s[6:7]
	s_xor_b64 exec, exec, s[14:15]
	s_cbranch_execz .LBB80_217
; %bb.214:
	v_cmp_lt_i64_e32 vcc, 6, v[0:1]
	s_mov_b64 s[20:21], -1
	s_mov_b64 s[18:19], s[12:13]
	s_mov_b64 s[16:17], s[8:9]
	s_and_saveexec_b64 s[22:23], vcc
; %bb.215:
	v_cmp_lt_i64_e32 vcc, 7, v[0:1]
	s_andn2_b64 s[18:19], s[12:13], exec
	s_and_b64 s[24:25], vcc, exec
	s_xor_b64 s[20:21], exec, -1
	s_or_b64 s[16:17], s[8:9], exec
	s_or_b64 s[18:19], s[18:19], s[24:25]
; %bb.216:
	s_or_b64 exec, exec, s[22:23]
	s_andn2_b64 s[22:23], s[6:7], exec
	s_and_b64 s[20:21], s[20:21], exec
	s_or_b64 s[20:21], s[22:23], s[20:21]
	s_andn2_b64 s[22:23], s[8:9], exec
	s_and_b64 s[16:17], s[16:17], exec
	s_andn2_b64 s[12:13], s[12:13], exec
	s_and_b64 s[18:19], s[18:19], exec
	s_or_b64 s[16:17], s[22:23], s[16:17]
	s_or_b64 s[12:13], s[12:13], s[18:19]
	v_mov_b32_e32 v10, v18
.LBB80_217:
	s_or_b64 exec, exec, s[14:15]
	s_andn2_b64 s[18:19], s[6:7], exec
	s_and_b64 s[20:21], s[20:21], exec
	s_or_b64 s[18:19], s[18:19], s[20:21]
	s_andn2_b64 s[20:21], s[8:9], exec
	s_and_b64 s[16:17], s[16:17], exec
	s_or_b64 s[16:17], s[20:21], s[16:17]
	s_andn2_b64 s[20:21], s[10:11], exec
	s_and_b64 s[12:13], s[12:13], exec
	s_xor_b64 s[14:15], exec, -1
	s_or_b64 s[12:13], s[20:21], s[12:13]
.LBB80_218:
	s_or_b64 exec, exec, s[0:1]
	s_and_b64 s[0:1], s[14:15], exec
	s_andn2_b64 s[6:7], s[6:7], exec
	s_and_b64 s[14:15], s[18:19], exec
	s_or_b64 s[6:7], s[6:7], s[14:15]
	s_andn2_b64 s[8:9], s[8:9], exec
	s_and_b64 s[14:15], s[16:17], exec
	s_andn2_b64 s[10:11], s[10:11], exec
	s_and_b64 s[12:13], s[12:13], exec
	s_or_b64 s[8:9], s[8:9], s[14:15]
	s_or_b64 s[10:11], s[10:11], s[12:13]
	v_mov_b32_e32 v12, v13
	v_mov_b32_e32 v11, v14
	s_or_b64 exec, exec, s[4:5]
	s_and_saveexec_b64 s[4:5], s[10:11]
	s_cbranch_execz .LBB80_153
.LBB80_219:
	v_mov_b32_e32 v2, 0
	s_andn2_b64 s[8:9], s[8:9], exec
	global_store_short v2, v10, s[2:3]
	s_or_b64 exec, exec, s[4:5]
	s_and_saveexec_b64 s[4:5], s[8:9]
	s_cbranch_execz .LBB80_154
.LBB80_220:
	v_mov_b32_e32 v2, 0
	global_store_short v2, v11, s[2:3]
	s_or_b64 exec, exec, s[4:5]
	s_and_saveexec_b64 s[4:5], s[6:7]
	s_xor_b64 s[4:5], exec, s[4:5]
	s_cbranch_execz .LBB80_155
.LBB80_221:
	v_mov_b32_e32 v2, 0
	global_store_short v2, v12, s[2:3]
	s_or_b64 exec, exec, s[4:5]
	s_and_b64 exec, exec, s[0:1]
	s_cbranch_execz .LBB80_156
.LBB80_222:
	v_cmp_lt_i64_e32 vcc, 2, v[0:1]
	s_and_saveexec_b64 s[0:1], vcc
	s_xor_b64 s[0:1], exec, s[0:1]
	s_cbranch_execz .LBB80_232
; %bb.223:
	v_cmp_lt_i64_e32 vcc, 3, v[0:1]
	s_and_saveexec_b64 s[4:5], vcc
	s_xor_b64 s[4:5], exec, s[4:5]
	s_cbranch_execz .LBB80_229
; %bb.224:
	;; [unrolled: 5-line block ×3, first 2 shown]
	v_mov_b32_e32 v0, 0
	global_store_short v0, v9, s[2:3]
                                        ; implicit-def: $vgpr6
.LBB80_226:
	s_andn2_saveexec_b64 s[6:7], s[6:7]
	s_cbranch_execz .LBB80_228
; %bb.227:
	v_mov_b32_e32 v0, 0
	global_store_short v0, v6, s[2:3]
.LBB80_228:
	s_or_b64 exec, exec, s[6:7]
                                        ; implicit-def: $vgpr8
.LBB80_229:
	s_andn2_saveexec_b64 s[4:5], s[4:5]
	s_cbranch_execz .LBB80_231
; %bb.230:
	v_mov_b32_e32 v0, 0
	global_store_short v0, v8, s[2:3]
.LBB80_231:
	s_or_b64 exec, exec, s[4:5]
                                        ; implicit-def: $vgpr0_vgpr1
                                        ; implicit-def: $vgpr7
                                        ; implicit-def: $vgpr4
                                        ; implicit-def: $vgpr5
.LBB80_232:
	s_andn2_saveexec_b64 s[0:1], s[0:1]
	s_cbranch_execz .LBB80_156
; %bb.233:
	v_cmp_lt_i64_e32 vcc, 1, v[0:1]
	s_and_saveexec_b64 s[0:1], vcc
	s_xor_b64 s[0:1], exec, s[0:1]
	s_cbranch_execz .LBB80_235
; %bb.234:
	v_mov_b32_e32 v0, 0
	global_store_short v0, v7, s[2:3]
                                        ; implicit-def: $vgpr4
                                        ; implicit-def: $vgpr0_vgpr1
                                        ; implicit-def: $vgpr5
.LBB80_235:
	s_andn2_saveexec_b64 s[0:1], s[0:1]
	s_cbranch_execz .LBB80_156
; %bb.236:
	v_cmp_ne_u64_e32 vcc, 1, v[0:1]
	s_and_saveexec_b64 s[0:1], vcc
	s_xor_b64 s[0:1], exec, s[0:1]
	s_cbranch_execz .LBB80_238
; %bb.237:
	v_mov_b32_e32 v0, 0
	global_store_short v0, v5, s[2:3]
                                        ; implicit-def: $vgpr4
.LBB80_238:
	s_andn2_saveexec_b64 s[0:1], s[0:1]
	s_cbranch_execz .LBB80_156
; %bb.239:
	v_mov_b32_e32 v0, 0
	global_store_short v0, v4, s[2:3]
	s_endpgm
	.section	.rodata,"a",@progbits
	.p2align	6, 0x0
	.amdhsa_kernel _ZN7rocprim6detail20lookback_scan_kernelILNS0_25lookback_scan_determinismE0ELb1ENS0_19wrapped_scan_configINS_14default_configE12hip_bfloat16EEPS5_S7_N6hipcub3MaxES5_S5_NS0_19lookback_scan_stateIS5_Lb0ELb1EEEEEvT2_T3_mT5_T4_T7_jPT6_SI_bb
		.amdhsa_group_segment_fixed_size 12288
		.amdhsa_private_segment_fixed_size 0
		.amdhsa_kernarg_size 68
		.amdhsa_user_sgpr_count 6
		.amdhsa_user_sgpr_private_segment_buffer 1
		.amdhsa_user_sgpr_dispatch_ptr 0
		.amdhsa_user_sgpr_queue_ptr 0
		.amdhsa_user_sgpr_kernarg_segment_ptr 1
		.amdhsa_user_sgpr_dispatch_id 0
		.amdhsa_user_sgpr_flat_scratch_init 0
		.amdhsa_user_sgpr_private_segment_size 0
		.amdhsa_uses_dynamic_stack 0
		.amdhsa_system_sgpr_private_segment_wavefront_offset 0
		.amdhsa_system_sgpr_workgroup_id_x 1
		.amdhsa_system_sgpr_workgroup_id_y 0
		.amdhsa_system_sgpr_workgroup_id_z 0
		.amdhsa_system_sgpr_workgroup_info 0
		.amdhsa_system_vgpr_workitem_id 0
		.amdhsa_next_free_vgpr 84
		.amdhsa_next_free_sgpr 98
		.amdhsa_reserve_vcc 1
		.amdhsa_reserve_flat_scratch 0
		.amdhsa_float_round_mode_32 0
		.amdhsa_float_round_mode_16_64 0
		.amdhsa_float_denorm_mode_32 3
		.amdhsa_float_denorm_mode_16_64 3
		.amdhsa_dx10_clamp 1
		.amdhsa_ieee_mode 1
		.amdhsa_fp16_overflow 0
		.amdhsa_exception_fp_ieee_invalid_op 0
		.amdhsa_exception_fp_denorm_src 0
		.amdhsa_exception_fp_ieee_div_zero 0
		.amdhsa_exception_fp_ieee_overflow 0
		.amdhsa_exception_fp_ieee_underflow 0
		.amdhsa_exception_fp_ieee_inexact 0
		.amdhsa_exception_int_div_zero 0
	.end_amdhsa_kernel
	.section	.text._ZN7rocprim6detail20lookback_scan_kernelILNS0_25lookback_scan_determinismE0ELb1ENS0_19wrapped_scan_configINS_14default_configE12hip_bfloat16EEPS5_S7_N6hipcub3MaxES5_S5_NS0_19lookback_scan_stateIS5_Lb0ELb1EEEEEvT2_T3_mT5_T4_T7_jPT6_SI_bb,"axG",@progbits,_ZN7rocprim6detail20lookback_scan_kernelILNS0_25lookback_scan_determinismE0ELb1ENS0_19wrapped_scan_configINS_14default_configE12hip_bfloat16EEPS5_S7_N6hipcub3MaxES5_S5_NS0_19lookback_scan_stateIS5_Lb0ELb1EEEEEvT2_T3_mT5_T4_T7_jPT6_SI_bb,comdat
.Lfunc_end80:
	.size	_ZN7rocprim6detail20lookback_scan_kernelILNS0_25lookback_scan_determinismE0ELb1ENS0_19wrapped_scan_configINS_14default_configE12hip_bfloat16EEPS5_S7_N6hipcub3MaxES5_S5_NS0_19lookback_scan_stateIS5_Lb0ELb1EEEEEvT2_T3_mT5_T4_T7_jPT6_SI_bb, .Lfunc_end80-_ZN7rocprim6detail20lookback_scan_kernelILNS0_25lookback_scan_determinismE0ELb1ENS0_19wrapped_scan_configINS_14default_configE12hip_bfloat16EEPS5_S7_N6hipcub3MaxES5_S5_NS0_19lookback_scan_stateIS5_Lb0ELb1EEEEEvT2_T3_mT5_T4_T7_jPT6_SI_bb
                                        ; -- End function
	.set _ZN7rocprim6detail20lookback_scan_kernelILNS0_25lookback_scan_determinismE0ELb1ENS0_19wrapped_scan_configINS_14default_configE12hip_bfloat16EEPS5_S7_N6hipcub3MaxES5_S5_NS0_19lookback_scan_stateIS5_Lb0ELb1EEEEEvT2_T3_mT5_T4_T7_jPT6_SI_bb.num_vgpr, 84
	.set _ZN7rocprim6detail20lookback_scan_kernelILNS0_25lookback_scan_determinismE0ELb1ENS0_19wrapped_scan_configINS_14default_configE12hip_bfloat16EEPS5_S7_N6hipcub3MaxES5_S5_NS0_19lookback_scan_stateIS5_Lb0ELb1EEEEEvT2_T3_mT5_T4_T7_jPT6_SI_bb.num_agpr, 0
	.set _ZN7rocprim6detail20lookback_scan_kernelILNS0_25lookback_scan_determinismE0ELb1ENS0_19wrapped_scan_configINS_14default_configE12hip_bfloat16EEPS5_S7_N6hipcub3MaxES5_S5_NS0_19lookback_scan_stateIS5_Lb0ELb1EEEEEvT2_T3_mT5_T4_T7_jPT6_SI_bb.numbered_sgpr, 26
	.set _ZN7rocprim6detail20lookback_scan_kernelILNS0_25lookback_scan_determinismE0ELb1ENS0_19wrapped_scan_configINS_14default_configE12hip_bfloat16EEPS5_S7_N6hipcub3MaxES5_S5_NS0_19lookback_scan_stateIS5_Lb0ELb1EEEEEvT2_T3_mT5_T4_T7_jPT6_SI_bb.num_named_barrier, 0
	.set _ZN7rocprim6detail20lookback_scan_kernelILNS0_25lookback_scan_determinismE0ELb1ENS0_19wrapped_scan_configINS_14default_configE12hip_bfloat16EEPS5_S7_N6hipcub3MaxES5_S5_NS0_19lookback_scan_stateIS5_Lb0ELb1EEEEEvT2_T3_mT5_T4_T7_jPT6_SI_bb.private_seg_size, 0
	.set _ZN7rocprim6detail20lookback_scan_kernelILNS0_25lookback_scan_determinismE0ELb1ENS0_19wrapped_scan_configINS_14default_configE12hip_bfloat16EEPS5_S7_N6hipcub3MaxES5_S5_NS0_19lookback_scan_stateIS5_Lb0ELb1EEEEEvT2_T3_mT5_T4_T7_jPT6_SI_bb.uses_vcc, 1
	.set _ZN7rocprim6detail20lookback_scan_kernelILNS0_25lookback_scan_determinismE0ELb1ENS0_19wrapped_scan_configINS_14default_configE12hip_bfloat16EEPS5_S7_N6hipcub3MaxES5_S5_NS0_19lookback_scan_stateIS5_Lb0ELb1EEEEEvT2_T3_mT5_T4_T7_jPT6_SI_bb.uses_flat_scratch, 0
	.set _ZN7rocprim6detail20lookback_scan_kernelILNS0_25lookback_scan_determinismE0ELb1ENS0_19wrapped_scan_configINS_14default_configE12hip_bfloat16EEPS5_S7_N6hipcub3MaxES5_S5_NS0_19lookback_scan_stateIS5_Lb0ELb1EEEEEvT2_T3_mT5_T4_T7_jPT6_SI_bb.has_dyn_sized_stack, 0
	.set _ZN7rocprim6detail20lookback_scan_kernelILNS0_25lookback_scan_determinismE0ELb1ENS0_19wrapped_scan_configINS_14default_configE12hip_bfloat16EEPS5_S7_N6hipcub3MaxES5_S5_NS0_19lookback_scan_stateIS5_Lb0ELb1EEEEEvT2_T3_mT5_T4_T7_jPT6_SI_bb.has_recursion, 0
	.set _ZN7rocprim6detail20lookback_scan_kernelILNS0_25lookback_scan_determinismE0ELb1ENS0_19wrapped_scan_configINS_14default_configE12hip_bfloat16EEPS5_S7_N6hipcub3MaxES5_S5_NS0_19lookback_scan_stateIS5_Lb0ELb1EEEEEvT2_T3_mT5_T4_T7_jPT6_SI_bb.has_indirect_call, 0
	.section	.AMDGPU.csdata,"",@progbits
; Kernel info:
; codeLenInByte = 9800
; TotalNumSgprs: 30
; NumVgprs: 84
; ScratchSize: 0
; MemoryBound: 0
; FloatMode: 240
; IeeeMode: 1
; LDSByteSize: 12288 bytes/workgroup (compile time only)
; SGPRBlocks: 12
; VGPRBlocks: 20
; NumSGPRsForWavesPerEU: 102
; NumVGPRsForWavesPerEU: 84
; Occupancy: 3
; WaveLimiterHint : 1
; COMPUTE_PGM_RSRC2:SCRATCH_EN: 0
; COMPUTE_PGM_RSRC2:USER_SGPR: 6
; COMPUTE_PGM_RSRC2:TRAP_HANDLER: 0
; COMPUTE_PGM_RSRC2:TGID_X_EN: 1
; COMPUTE_PGM_RSRC2:TGID_Y_EN: 0
; COMPUTE_PGM_RSRC2:TGID_Z_EN: 0
; COMPUTE_PGM_RSRC2:TIDIG_COMP_CNT: 0
	.section	.text._ZN7rocprim6detail18single_scan_kernelILb1ENS0_19wrapped_scan_configINS_14default_configE12hip_bfloat16EEPS4_S6_N6hipcub3MaxES4_S4_EEvT1_mT4_T2_T3_,"axG",@progbits,_ZN7rocprim6detail18single_scan_kernelILb1ENS0_19wrapped_scan_configINS_14default_configE12hip_bfloat16EEPS4_S6_N6hipcub3MaxES4_S4_EEvT1_mT4_T2_T3_,comdat
	.protected	_ZN7rocprim6detail18single_scan_kernelILb1ENS0_19wrapped_scan_configINS_14default_configE12hip_bfloat16EEPS4_S6_N6hipcub3MaxES4_S4_EEvT1_mT4_T2_T3_ ; -- Begin function _ZN7rocprim6detail18single_scan_kernelILb1ENS0_19wrapped_scan_configINS_14default_configE12hip_bfloat16EEPS4_S6_N6hipcub3MaxES4_S4_EEvT1_mT4_T2_T3_
	.globl	_ZN7rocprim6detail18single_scan_kernelILb1ENS0_19wrapped_scan_configINS_14default_configE12hip_bfloat16EEPS4_S6_N6hipcub3MaxES4_S4_EEvT1_mT4_T2_T3_
	.p2align	8
	.type	_ZN7rocprim6detail18single_scan_kernelILb1ENS0_19wrapped_scan_configINS_14default_configE12hip_bfloat16EEPS4_S6_N6hipcub3MaxES4_S4_EEvT1_mT4_T2_T3_,@function
_ZN7rocprim6detail18single_scan_kernelILb1ENS0_19wrapped_scan_configINS_14default_configE12hip_bfloat16EEPS4_S6_N6hipcub3MaxES4_S4_EEvT1_mT4_T2_T3_: ; @_ZN7rocprim6detail18single_scan_kernelILb1ENS0_19wrapped_scan_configINS_14default_configE12hip_bfloat16EEPS4_S6_N6hipcub3MaxES4_S4_EEvT1_mT4_T2_T3_
; %bb.0:
	s_load_dwordx4 s[52:55], s[4:5], 0x0
	v_mov_b32_e32 v1, 0
	v_lshlrev_b32_e32 v13, 1, v0
	s_waitcnt lgkmcnt(0)
	global_load_ushort v3, v1, s[52:53]
	v_mov_b32_e32 v2, s53
	v_add_co_u32_e32 v1, vcc, s52, v13
	v_addc_co_u32_e32 v2, vcc, 0, v2, vcc
	v_cmp_gt_u32_e64 s[0:1], s54, v0
	s_waitcnt vmcnt(0)
	v_mov_b32_e32 v4, v3
	s_and_saveexec_b64 s[2:3], s[0:1]
	s_cbranch_execz .LBB81_2
; %bb.1:
	global_load_ushort v4, v[1:2], off
.LBB81_2:
	s_or_b64 exec, exec, s[2:3]
	v_or_b32_e32 v5, 0x100, v0
	v_cmp_gt_u32_e64 s[2:3], s54, v5
	v_mov_b32_e32 v5, v3
	s_and_saveexec_b64 s[6:7], s[2:3]
	s_cbranch_execz .LBB81_4
; %bb.3:
	global_load_ushort v5, v[1:2], off offset:512
.LBB81_4:
	s_or_b64 exec, exec, s[6:7]
	v_or_b32_e32 v6, 0x200, v0
	v_cmp_gt_u32_e64 s[50:51], s54, v6
	v_mov_b32_e32 v6, v3
	s_and_saveexec_b64 s[6:7], s[50:51]
	s_cbranch_execz .LBB81_6
; %bb.5:
	global_load_ushort v6, v[1:2], off offset:1024
.LBB81_6:
	;; [unrolled: 9-line block ×7, first 2 shown]
	s_or_b64 exec, exec, s[16:17]
	v_or_b32_e32 v12, 0x800, v0
	v_cmp_gt_u32_e64 s[16:17], s54, v12
	v_mov_b32_e32 v12, v3
	s_and_saveexec_b64 s[18:19], s[16:17]
	s_cbranch_execz .LBB81_18
; %bb.17:
	v_add_co_u32_e32 v14, vcc, 0x1000, v1
	v_addc_co_u32_e32 v15, vcc, 0, v2, vcc
	global_load_ushort v12, v[14:15], off
.LBB81_18:
	s_or_b64 exec, exec, s[18:19]
	v_or_b32_e32 v14, 0x900, v0
	v_cmp_gt_u32_e64 s[18:19], s54, v14
	v_mov_b32_e32 v14, v3
	s_and_saveexec_b64 s[20:21], s[18:19]
	s_cbranch_execz .LBB81_20
; %bb.19:
	v_add_co_u32_e32 v14, vcc, 0x1000, v1
	v_addc_co_u32_e32 v15, vcc, 0, v2, vcc
	global_load_ushort v14, v[14:15], off offset:512
.LBB81_20:
	s_or_b64 exec, exec, s[20:21]
	v_or_b32_e32 v15, 0xa00, v0
	v_cmp_gt_u32_e64 s[20:21], s54, v15
	v_mov_b32_e32 v15, v3
	s_and_saveexec_b64 s[22:23], s[20:21]
	s_cbranch_execz .LBB81_22
; %bb.21:
	v_add_co_u32_e32 v15, vcc, 0x1000, v1
	v_addc_co_u32_e32 v16, vcc, 0, v2, vcc
	global_load_ushort v15, v[15:16], off offset:1024
.LBB81_22:
	;; [unrolled: 11-line block ×7, first 2 shown]
	s_or_b64 exec, exec, s[34:35]
	v_or_b32_e32 v21, 0x1000, v0
	v_cmp_gt_u32_e64 s[34:35], s54, v21
	v_mov_b32_e32 v21, v3
	s_and_saveexec_b64 s[36:37], s[34:35]
	s_cbranch_execz .LBB81_34
; %bb.33:
	v_add_co_u32_e32 v21, vcc, 0x2000, v1
	v_addc_co_u32_e32 v22, vcc, 0, v2, vcc
	global_load_ushort v21, v[21:22], off
.LBB81_34:
	s_or_b64 exec, exec, s[36:37]
	v_or_b32_e32 v22, 0x1100, v0
	v_cmp_gt_u32_e64 s[36:37], s54, v22
	v_mov_b32_e32 v22, v3
	s_and_saveexec_b64 s[38:39], s[36:37]
	s_cbranch_execz .LBB81_36
; %bb.35:
	v_add_co_u32_e32 v22, vcc, 0x2000, v1
	v_addc_co_u32_e32 v23, vcc, 0, v2, vcc
	global_load_ushort v22, v[22:23], off offset:512
.LBB81_36:
	s_or_b64 exec, exec, s[38:39]
	v_or_b32_e32 v23, 0x1200, v0
	v_cmp_gt_u32_e64 s[38:39], s54, v23
	v_mov_b32_e32 v23, v3
	s_and_saveexec_b64 s[40:41], s[38:39]
	s_cbranch_execz .LBB81_38
; %bb.37:
	v_add_co_u32_e32 v23, vcc, 0x2000, v1
	v_addc_co_u32_e32 v24, vcc, 0, v2, vcc
	global_load_ushort v23, v[23:24], off offset:1024
.LBB81_38:
	;; [unrolled: 11-line block ×6, first 2 shown]
	s_or_b64 exec, exec, s[48:49]
	v_or_b32_e32 v28, 0x1700, v0
	v_cmp_gt_u32_e64 s[48:49], s54, v28
	s_and_saveexec_b64 s[52:53], s[48:49]
	s_cbranch_execz .LBB81_48
; %bb.47:
	v_add_co_u32_e32 v1, vcc, 0x2000, v1
	v_addc_co_u32_e32 v2, vcc, 0, v2, vcc
	global_load_ushort v3, v[1:2], off offset:3584
.LBB81_48:
	s_or_b64 exec, exec, s[52:53]
	s_waitcnt vmcnt(0)
	ds_write_b16 v13, v4
	ds_write_b16 v13, v5 offset:512
	ds_write_b16 v13, v6 offset:1024
	;; [unrolled: 1-line block ×23, first 2 shown]
	v_mad_u32_u24 v9, v0, 46, v13
	s_waitcnt lgkmcnt(0)
	s_barrier
	ds_read_b128 v[5:8], v9
	ds_read_b128 v[1:4], v9 offset:16
	s_waitcnt lgkmcnt(1)
	v_and_b32_e32 v21, 0xffff0000, v5
	v_lshlrev_b32_e32 v23, 16, v5
	v_lshrrev_b32_e32 v22, 16, v5
	v_cmp_lt_f32_e32 vcc, v23, v21
	v_cndmask_b32_e32 v10, v5, v22, vcc
	v_lshlrev_b32_e32 v11, 16, v10
	v_lshlrev_b32_e32 v24, 16, v6
	v_cmp_lt_f32_e32 vcc, v11, v24
	v_cndmask_b32_e32 v10, v10, v6, vcc
	v_lshlrev_b32_e32 v11, 16, v10
	v_and_b32_e32 v25, 0xffff0000, v6
	v_lshrrev_b32_e32 v20, 16, v6
	v_cmp_lt_f32_e32 vcc, v11, v25
	v_cndmask_b32_e32 v10, v10, v20, vcc
	v_lshlrev_b32_e32 v11, 16, v10
	v_lshlrev_b32_e32 v26, 16, v7
	v_cmp_lt_f32_e32 vcc, v11, v26
	v_cndmask_b32_e32 v10, v10, v7, vcc
	v_lshlrev_b32_e32 v11, 16, v10
	v_and_b32_e32 v27, 0xffff0000, v7
	;; [unrolled: 9-line block ×3, first 2 shown]
	v_lshrrev_b32_e32 v18, 16, v8
	v_cmp_lt_f32_e32 vcc, v11, v29
	v_cndmask_b32_e32 v10, v10, v18, vcc
	v_lshlrev_b32_e32 v11, 16, v10
	s_waitcnt lgkmcnt(0)
	v_lshlrev_b32_e32 v30, 16, v1
	v_cmp_lt_f32_e32 vcc, v11, v30
	v_cndmask_b32_e32 v10, v10, v1, vcc
	v_lshlrev_b32_e32 v11, 16, v10
	v_and_b32_e32 v31, 0xffff0000, v1
	v_lshrrev_b32_e32 v17, 16, v1
	v_cmp_lt_f32_e32 vcc, v11, v31
	v_cndmask_b32_e32 v10, v10, v17, vcc
	v_lshlrev_b32_e32 v11, 16, v10
	v_lshlrev_b32_e32 v32, 16, v2
	v_cmp_lt_f32_e32 vcc, v11, v32
	v_cndmask_b32_e32 v10, v10, v2, vcc
	v_lshlrev_b32_e32 v11, 16, v10
	v_and_b32_e32 v33, 0xffff0000, v2
	v_lshrrev_b32_e32 v16, 16, v2
	v_cmp_lt_f32_e32 vcc, v11, v33
	v_cndmask_b32_e32 v10, v10, v16, vcc
	v_lshlrev_b32_e32 v11, 16, v10
	v_lshlrev_b32_e32 v34, 16, v3
	v_cmp_lt_f32_e32 vcc, v11, v34
	v_cndmask_b32_e32 v10, v10, v3, vcc
	v_lshlrev_b32_e32 v11, 16, v10
	v_and_b32_e32 v35, 0xffff0000, v3
	v_lshrrev_b32_e32 v15, 16, v3
	v_cmp_lt_f32_e32 vcc, v11, v35
	v_cndmask_b32_e32 v10, v10, v15, vcc
	v_lshlrev_b32_e32 v11, 16, v10
	v_lshlrev_b32_e32 v36, 16, v4
	v_cmp_lt_f32_e32 vcc, v11, v36
	v_cndmask_b32_e32 v38, v10, v4, vcc
	ds_read_b128 v[9:12], v9 offset:32
	v_lshlrev_b32_e32 v39, 16, v38
	v_and_b32_e32 v37, 0xffff0000, v4
	v_lshrrev_b32_e32 v14, 16, v4
	v_cmp_lt_f32_e32 vcc, v39, v37
	v_cndmask_b32_e32 v39, v38, v14, vcc
	v_lshlrev_b32_e32 v40, 16, v39
	s_waitcnt lgkmcnt(0)
	v_lshlrev_b32_e32 v38, 16, v9
	v_cmp_lt_f32_e32 vcc, v40, v38
	v_cndmask_b32_e32 v41, v39, v9, vcc
	v_lshlrev_b32_e32 v42, 16, v41
	v_and_b32_e32 v39, 0xffff0000, v9
	v_lshrrev_b32_e32 v40, 16, v9
	v_cmp_lt_f32_e32 vcc, v42, v39
	v_cndmask_b32_e32 v42, v41, v40, vcc
	v_lshlrev_b32_e32 v43, 16, v42
	v_lshlrev_b32_e32 v41, 16, v10
	v_cmp_lt_f32_e32 vcc, v43, v41
	v_cndmask_b32_e32 v44, v42, v10, vcc
	v_lshlrev_b32_e32 v45, 16, v44
	v_and_b32_e32 v42, 0xffff0000, v10
	v_lshrrev_b32_e32 v43, 16, v10
	v_cmp_lt_f32_e32 vcc, v45, v42
	v_cndmask_b32_e32 v45, v44, v43, vcc
	v_lshlrev_b32_e32 v46, 16, v45
	;; [unrolled: 9-line block ×3, first 2 shown]
	v_lshlrev_b32_e32 v47, 16, v12
	v_cmp_lt_f32_e32 vcc, v49, v47
	v_cndmask_b32_e32 v48, v48, v12, vcc
	v_lshlrev_b32_e32 v49, 16, v48
	v_and_b32_e32 v50, 0xffff0000, v12
	v_lshrrev_b32_e32 v51, 16, v12
	v_cmp_lt_f32_e32 vcc, v49, v50
	v_cndmask_b32_e32 v49, v48, v51, vcc
	v_and_b32_e32 v50, 0xffff, v49
	v_lshlrev_b32_e32 v53, 16, v49
	v_mbcnt_lo_u32_b32 v48, -1, 0
	v_mov_b32_dpp v51, v50 row_shr:1 row_mask:0xf bank_mask:0xf
	v_lshlrev_b32_e32 v52, 16, v51
	v_mbcnt_hi_u32_b32 v48, -1, v48
	v_cmp_lt_f32_e32 vcc, v52, v53
	v_cndmask_b32_e32 v51, v51, v49, vcc
	v_and_b32_e32 v52, 15, v48
	v_and_b32_e32 v53, 0xffff, v51
	v_cmp_eq_u32_e32 vcc, 0, v52
	v_cndmask_b32_e32 v50, v53, v50, vcc
	v_lshlrev_b32_e32 v55, 16, v50
	v_cndmask_b32_e32 v49, v51, v49, vcc
	v_mov_b32_dpp v53, v50 row_shr:2 row_mask:0xf bank_mask:0xf
	v_lshlrev_b32_e32 v54, 16, v53
	v_cmp_lt_f32_e32 vcc, v54, v55
	v_cndmask_b32_e32 v51, v53, v49, vcc
	v_and_b32_e32 v53, 0xffff, v51
	v_cmp_lt_u32_e32 vcc, 1, v52
	v_cndmask_b32_e32 v50, v50, v53, vcc
	v_lshlrev_b32_e32 v55, 16, v50
	v_cndmask_b32_e32 v49, v49, v51, vcc
	v_mov_b32_dpp v53, v50 row_shr:4 row_mask:0xf bank_mask:0xf
	v_lshlrev_b32_e32 v54, 16, v53
	v_cmp_lt_f32_e32 vcc, v54, v55
	v_cndmask_b32_e32 v51, v53, v49, vcc
	v_and_b32_e32 v53, 0xffff, v51
	v_cmp_lt_u32_e32 vcc, 3, v52
	;; [unrolled: 9-line block ×3, first 2 shown]
	v_cndmask_b32_e32 v50, v50, v53, vcc
	v_lshlrev_b32_e32 v54, 16, v50
	v_cndmask_b32_e32 v49, v49, v51, vcc
	v_mov_b32_dpp v52, v50 row_bcast:15 row_mask:0xf bank_mask:0xf
	v_lshlrev_b32_e32 v53, 16, v52
	v_cmp_lt_f32_e32 vcc, v53, v54
	v_and_b32_e32 v51, 16, v48
	v_cndmask_b32_e32 v52, v52, v49, vcc
	v_and_b32_e32 v53, 0xffff, v52
	v_cmp_eq_u32_e32 vcc, 0, v51
	v_cndmask_b32_e32 v50, v53, v50, vcc
	v_cndmask_b32_e32 v49, v52, v49, vcc
	s_nop 0
	v_mov_b32_dpp v51, v50 row_bcast:31 row_mask:0xf bank_mask:0xf
	v_lshlrev_b32_e32 v50, 16, v50
	v_lshlrev_b32_e32 v53, 16, v51
	v_cmp_lt_f32_e32 vcc, v53, v50
	v_cndmask_b32_e32 v50, v51, v49, vcc
	v_cmp_lt_u32_e32 vcc, 31, v48
	v_cndmask_b32_e32 v50, v49, v50, vcc
	v_or_b32_e32 v49, 63, v0
	v_cmp_eq_u32_e32 vcc, v0, v49
	v_lshrrev_b32_e32 v51, 6, v0
	s_barrier
	s_and_saveexec_b64 s[52:53], vcc
; %bb.49:
	v_lshlrev_b32_e32 v49, 1, v51
	ds_write_b16 v49, v50
; %bb.50:
	s_or_b64 exec, exec, s[52:53]
	v_cmp_gt_u32_e32 vcc, 4, v0
	s_waitcnt lgkmcnt(0)
	s_barrier
	s_and_saveexec_b64 s[52:53], vcc
	s_cbranch_execz .LBB81_52
; %bb.51:
	ds_read_u16 v49, v13
	v_and_b32_e32 v52, 3, v48
	s_waitcnt lgkmcnt(0)
	v_and_b32_e32 v53, 0xffff, v49
	s_nop 1
	v_mov_b32_dpp v55, v53 row_shr:1 row_mask:0xf bank_mask:0xf
	v_lshlrev_b32_e32 v54, 16, v49
	v_lshlrev_b32_e32 v56, 16, v55
	v_cmp_lt_f32_e32 vcc, v56, v54
	v_cndmask_b32_e32 v54, v55, v49, vcc
	v_and_b32_e32 v55, 0xffff, v54
	v_cmp_eq_u32_e32 vcc, 0, v52
	v_cndmask_b32_e32 v53, v55, v53, vcc
	v_cndmask_b32_e32 v49, v54, v49, vcc
	s_nop 0
	v_mov_b32_dpp v54, v53 row_shr:2 row_mask:0xf bank_mask:0xf
	v_lshlrev_b32_e32 v55, 16, v54
	v_lshlrev_b32_e32 v53, 16, v53
	v_cmp_lt_f32_e32 vcc, v55, v53
	v_cndmask_b32_e32 v53, v54, v49, vcc
	v_cmp_lt_u32_e32 vcc, 1, v52
	v_cndmask_b32_e32 v49, v49, v53, vcc
	ds_write_b16 v13, v49
.LBB81_52:
	s_or_b64 exec, exec, s[52:53]
	s_load_dword s33, s[4:5], 0x10
	v_mul_u32_u24_e32 v49, 46, v0
	v_cmp_lt_u32_e32 vcc, 63, v0
	s_waitcnt lgkmcnt(0)
	s_barrier
	v_mov_b32_e32 v52, s33
	s_and_saveexec_b64 s[52:53], vcc
	s_cbranch_execz .LBB81_54
; %bb.53:
	v_lshl_add_u32 v51, v51, 1, -2
	ds_read_u16 v51, v51
	s_lshl_b32 s54, s33, 16
	v_mov_b32_e32 v52, s33
	s_waitcnt lgkmcnt(0)
	v_lshlrev_b32_e32 v53, 16, v51
	v_cmp_lt_f32_e32 vcc, s54, v53
	v_cndmask_b32_e32 v52, v52, v51, vcc
.LBB81_54:
	s_or_b64 exec, exec, s[52:53]
	v_lshlrev_b32_e32 v51, 16, v50
	v_lshlrev_b32_e32 v53, 16, v52
	v_cmp_lt_f32_e32 vcc, v53, v51
	v_cndmask_b32_e32 v50, v52, v50, vcc
	v_subrev_co_u32_e32 v51, vcc, 1, v48
	v_and_b32_e32 v53, 64, v48
	v_cmp_lt_i32_e64 s[52:53], v51, v53
	v_cndmask_b32_e64 v48, v51, v48, s[52:53]
	v_lshlrev_b32_e32 v48, 2, v48
	v_and_b32_e32 v50, 0xffff, v50
	ds_bpermute_b32 v48, v48, v50
	v_mov_b32_e32 v50, s33
	s_mov_b32 s33, 0x5040100
	s_waitcnt lgkmcnt(0)
	s_barrier
	v_cndmask_b32_e32 v48, v48, v52, vcc
	v_cmp_eq_u32_e32 vcc, 0, v0
	v_cndmask_b32_e32 v0, v48, v50, vcc
	v_lshlrev_b32_e32 v48, 16, v0
	v_cmp_gt_f32_e32 vcc, v23, v48
	v_cndmask_b32_e32 v5, v0, v5, vcc
	v_lshlrev_b32_e32 v23, 16, v5
	v_cmp_gt_f32_e32 vcc, v21, v23
	;; [unrolled: 3-line block ×23, first 2 shown]
	v_add_u32_e32 v28, v13, v49
	v_perm_b32 v3, v8, v19, s33
	v_perm_b32 v2, v7, v20, s33
	;; [unrolled: 1-line block ×4, first 2 shown]
	v_cndmask_b32_e32 v12, v27, v12, vcc
	ds_write_b128 v28, v[0:3]
	v_perm_b32 v3, v4, v15, s33
	v_perm_b32 v2, v24, v16, s33
	;; [unrolled: 1-line block ×4, first 2 shown]
	ds_write_b128 v28, v[0:3] offset:16
	v_perm_b32 v3, v12, v27, s33
	v_perm_b32 v2, v11, v26, s33
	;; [unrolled: 1-line block ×4, first 2 shown]
	ds_write_b128 v28, v[0:3] offset:32
	s_waitcnt lgkmcnt(0)
	s_barrier
	ds_read_u16 v25, v13 offset:512
	ds_read_u16 v24, v13 offset:1024
	;; [unrolled: 1-line block ×23, first 2 shown]
	s_load_dwordx2 s[4:5], s[4:5], 0x18
	s_waitcnt lgkmcnt(0)
	v_mov_b32_e32 v1, s5
	v_add_co_u32_e32 v0, vcc, s4, v13
	v_addc_co_u32_e32 v1, vcc, 0, v1, vcc
	s_and_saveexec_b64 s[4:5], s[0:1]
	s_cbranch_execnz .LBB81_79
; %bb.55:
	s_or_b64 exec, exec, s[4:5]
	s_and_saveexec_b64 s[0:1], s[2:3]
	s_cbranch_execnz .LBB81_80
.LBB81_56:
	s_or_b64 exec, exec, s[0:1]
	s_and_saveexec_b64 s[0:1], s[50:51]
	s_cbranch_execnz .LBB81_81
.LBB81_57:
	s_or_b64 exec, exec, s[0:1]
	s_and_saveexec_b64 s[0:1], s[6:7]
	s_cbranch_execnz .LBB81_82
.LBB81_58:
	s_or_b64 exec, exec, s[0:1]
	s_and_saveexec_b64 s[0:1], s[8:9]
	s_cbranch_execnz .LBB81_83
.LBB81_59:
	s_or_b64 exec, exec, s[0:1]
	s_and_saveexec_b64 s[0:1], s[10:11]
	s_cbranch_execnz .LBB81_84
.LBB81_60:
	s_or_b64 exec, exec, s[0:1]
	s_and_saveexec_b64 s[0:1], s[12:13]
	s_cbranch_execnz .LBB81_85
.LBB81_61:
	s_or_b64 exec, exec, s[0:1]
	s_and_saveexec_b64 s[0:1], s[14:15]
	s_cbranch_execnz .LBB81_86
.LBB81_62:
	s_or_b64 exec, exec, s[0:1]
	s_and_saveexec_b64 s[0:1], s[16:17]
	s_cbranch_execnz .LBB81_87
.LBB81_63:
	s_or_b64 exec, exec, s[0:1]
	s_and_saveexec_b64 s[0:1], s[18:19]
	s_cbranch_execnz .LBB81_88
.LBB81_64:
	s_or_b64 exec, exec, s[0:1]
	s_and_saveexec_b64 s[0:1], s[20:21]
	s_cbranch_execnz .LBB81_89
.LBB81_65:
	s_or_b64 exec, exec, s[0:1]
	s_and_saveexec_b64 s[0:1], s[22:23]
	s_cbranch_execnz .LBB81_90
.LBB81_66:
	s_or_b64 exec, exec, s[0:1]
	s_and_saveexec_b64 s[0:1], s[24:25]
	s_cbranch_execnz .LBB81_91
.LBB81_67:
	s_or_b64 exec, exec, s[0:1]
	s_and_saveexec_b64 s[0:1], s[26:27]
	s_cbranch_execnz .LBB81_92
.LBB81_68:
	s_or_b64 exec, exec, s[0:1]
	s_and_saveexec_b64 s[0:1], s[28:29]
	s_cbranch_execnz .LBB81_93
.LBB81_69:
	s_or_b64 exec, exec, s[0:1]
	s_and_saveexec_b64 s[0:1], s[30:31]
	s_cbranch_execnz .LBB81_94
.LBB81_70:
	s_or_b64 exec, exec, s[0:1]
	s_and_saveexec_b64 s[0:1], s[34:35]
	s_cbranch_execnz .LBB81_95
.LBB81_71:
	s_or_b64 exec, exec, s[0:1]
	s_and_saveexec_b64 s[0:1], s[36:37]
	s_cbranch_execnz .LBB81_96
.LBB81_72:
	s_or_b64 exec, exec, s[0:1]
	s_and_saveexec_b64 s[0:1], s[38:39]
	s_cbranch_execnz .LBB81_97
.LBB81_73:
	s_or_b64 exec, exec, s[0:1]
	s_and_saveexec_b64 s[0:1], s[40:41]
	s_cbranch_execnz .LBB81_98
.LBB81_74:
	s_or_b64 exec, exec, s[0:1]
	s_and_saveexec_b64 s[0:1], s[42:43]
	s_cbranch_execnz .LBB81_99
.LBB81_75:
	s_or_b64 exec, exec, s[0:1]
	s_and_saveexec_b64 s[0:1], s[44:45]
	s_cbranch_execnz .LBB81_100
.LBB81_76:
	s_or_b64 exec, exec, s[0:1]
	s_and_saveexec_b64 s[0:1], s[46:47]
	s_cbranch_execnz .LBB81_101
.LBB81_77:
	s_or_b64 exec, exec, s[0:1]
	s_and_saveexec_b64 s[0:1], s[48:49]
	s_cbranch_execnz .LBB81_102
.LBB81_78:
	s_endpgm
.LBB81_79:
	ds_read_u16 v13, v13
	s_waitcnt lgkmcnt(0)
	global_store_short v[0:1], v13, off
	s_or_b64 exec, exec, s[4:5]
	s_and_saveexec_b64 s[0:1], s[2:3]
	s_cbranch_execz .LBB81_56
.LBB81_80:
	global_store_short v[0:1], v25, off offset:512
	s_or_b64 exec, exec, s[0:1]
	s_and_saveexec_b64 s[0:1], s[50:51]
	s_cbranch_execz .LBB81_57
.LBB81_81:
	global_store_short v[0:1], v24, off offset:1024
	s_or_b64 exec, exec, s[0:1]
	s_and_saveexec_b64 s[0:1], s[6:7]
	s_cbranch_execz .LBB81_58
.LBB81_82:
	global_store_short v[0:1], v23, off offset:1536
	s_or_b64 exec, exec, s[0:1]
	s_and_saveexec_b64 s[0:1], s[8:9]
	s_cbranch_execz .LBB81_59
.LBB81_83:
	global_store_short v[0:1], v22, off offset:2048
	s_or_b64 exec, exec, s[0:1]
	s_and_saveexec_b64 s[0:1], s[10:11]
	s_cbranch_execz .LBB81_60
.LBB81_84:
	global_store_short v[0:1], v21, off offset:2560
	s_or_b64 exec, exec, s[0:1]
	s_and_saveexec_b64 s[0:1], s[12:13]
	s_cbranch_execz .LBB81_61
.LBB81_85:
	global_store_short v[0:1], v20, off offset:3072
	s_or_b64 exec, exec, s[0:1]
	s_and_saveexec_b64 s[0:1], s[14:15]
	s_cbranch_execz .LBB81_62
.LBB81_86:
	global_store_short v[0:1], v19, off offset:3584
	s_or_b64 exec, exec, s[0:1]
	s_and_saveexec_b64 s[0:1], s[16:17]
	s_cbranch_execz .LBB81_63
.LBB81_87:
	v_add_co_u32_e32 v19, vcc, 0x1000, v0
	v_addc_co_u32_e32 v20, vcc, 0, v1, vcc
	global_store_short v[19:20], v18, off
	s_or_b64 exec, exec, s[0:1]
	s_and_saveexec_b64 s[0:1], s[18:19]
	s_cbranch_execz .LBB81_64
.LBB81_88:
	v_add_co_u32_e32 v18, vcc, 0x1000, v0
	v_addc_co_u32_e32 v19, vcc, 0, v1, vcc
	global_store_short v[18:19], v17, off offset:512
	s_or_b64 exec, exec, s[0:1]
	s_and_saveexec_b64 s[0:1], s[20:21]
	s_cbranch_execz .LBB81_65
.LBB81_89:
	v_add_co_u32_e32 v17, vcc, 0x1000, v0
	v_addc_co_u32_e32 v18, vcc, 0, v1, vcc
	global_store_short v[17:18], v16, off offset:1024
	s_or_b64 exec, exec, s[0:1]
	s_and_saveexec_b64 s[0:1], s[22:23]
	s_cbranch_execz .LBB81_66
.LBB81_90:
	v_add_co_u32_e32 v16, vcc, 0x1000, v0
	v_addc_co_u32_e32 v17, vcc, 0, v1, vcc
	global_store_short v[16:17], v15, off offset:1536
	s_or_b64 exec, exec, s[0:1]
	s_and_saveexec_b64 s[0:1], s[24:25]
	s_cbranch_execz .LBB81_67
.LBB81_91:
	v_add_co_u32_e32 v15, vcc, 0x1000, v0
	v_addc_co_u32_e32 v16, vcc, 0, v1, vcc
	global_store_short v[15:16], v14, off offset:2048
	s_or_b64 exec, exec, s[0:1]
	s_and_saveexec_b64 s[0:1], s[26:27]
	s_cbranch_execz .LBB81_68
.LBB81_92:
	v_add_co_u32_e32 v13, vcc, 0x1000, v0
	v_addc_co_u32_e32 v14, vcc, 0, v1, vcc
	global_store_short v[13:14], v12, off offset:2560
	s_or_b64 exec, exec, s[0:1]
	s_and_saveexec_b64 s[0:1], s[28:29]
	s_cbranch_execz .LBB81_69
.LBB81_93:
	v_add_co_u32_e32 v12, vcc, 0x1000, v0
	v_addc_co_u32_e32 v13, vcc, 0, v1, vcc
	global_store_short v[12:13], v11, off offset:3072
	s_or_b64 exec, exec, s[0:1]
	s_and_saveexec_b64 s[0:1], s[30:31]
	s_cbranch_execz .LBB81_70
.LBB81_94:
	v_add_co_u32_e32 v11, vcc, 0x1000, v0
	v_addc_co_u32_e32 v12, vcc, 0, v1, vcc
	global_store_short v[11:12], v10, off offset:3584
	s_or_b64 exec, exec, s[0:1]
	s_and_saveexec_b64 s[0:1], s[34:35]
	s_cbranch_execz .LBB81_71
.LBB81_95:
	v_add_co_u32_e32 v10, vcc, 0x2000, v0
	v_addc_co_u32_e32 v11, vcc, 0, v1, vcc
	global_store_short v[10:11], v9, off
	s_or_b64 exec, exec, s[0:1]
	s_and_saveexec_b64 s[0:1], s[36:37]
	s_cbranch_execz .LBB81_72
.LBB81_96:
	v_add_co_u32_e32 v9, vcc, 0x2000, v0
	v_addc_co_u32_e32 v10, vcc, 0, v1, vcc
	global_store_short v[9:10], v8, off offset:512
	s_or_b64 exec, exec, s[0:1]
	s_and_saveexec_b64 s[0:1], s[38:39]
	s_cbranch_execz .LBB81_73
.LBB81_97:
	v_add_co_u32_e32 v8, vcc, 0x2000, v0
	v_addc_co_u32_e32 v9, vcc, 0, v1, vcc
	global_store_short v[8:9], v7, off offset:1024
	s_or_b64 exec, exec, s[0:1]
	s_and_saveexec_b64 s[0:1], s[40:41]
	s_cbranch_execz .LBB81_74
.LBB81_98:
	v_add_co_u32_e32 v7, vcc, 0x2000, v0
	v_addc_co_u32_e32 v8, vcc, 0, v1, vcc
	global_store_short v[7:8], v6, off offset:1536
	s_or_b64 exec, exec, s[0:1]
	s_and_saveexec_b64 s[0:1], s[42:43]
	s_cbranch_execz .LBB81_75
.LBB81_99:
	v_add_co_u32_e32 v6, vcc, 0x2000, v0
	v_addc_co_u32_e32 v7, vcc, 0, v1, vcc
	global_store_short v[6:7], v5, off offset:2048
	s_or_b64 exec, exec, s[0:1]
	s_and_saveexec_b64 s[0:1], s[44:45]
	s_cbranch_execz .LBB81_76
.LBB81_100:
	v_add_co_u32_e32 v5, vcc, 0x2000, v0
	v_addc_co_u32_e32 v6, vcc, 0, v1, vcc
	global_store_short v[5:6], v4, off offset:2560
	s_or_b64 exec, exec, s[0:1]
	s_and_saveexec_b64 s[0:1], s[46:47]
	s_cbranch_execz .LBB81_77
.LBB81_101:
	v_add_co_u32_e32 v4, vcc, 0x2000, v0
	v_addc_co_u32_e32 v5, vcc, 0, v1, vcc
	global_store_short v[4:5], v3, off offset:3072
	s_or_b64 exec, exec, s[0:1]
	s_and_saveexec_b64 s[0:1], s[48:49]
	s_cbranch_execz .LBB81_78
.LBB81_102:
	v_add_co_u32_e32 v0, vcc, 0x2000, v0
	v_addc_co_u32_e32 v1, vcc, 0, v1, vcc
	global_store_short v[0:1], v2, off offset:3584
	s_endpgm
	.section	.rodata,"a",@progbits
	.p2align	6, 0x0
	.amdhsa_kernel _ZN7rocprim6detail18single_scan_kernelILb1ENS0_19wrapped_scan_configINS_14default_configE12hip_bfloat16EEPS4_S6_N6hipcub3MaxES4_S4_EEvT1_mT4_T2_T3_
		.amdhsa_group_segment_fixed_size 12288
		.amdhsa_private_segment_fixed_size 0
		.amdhsa_kernarg_size 36
		.amdhsa_user_sgpr_count 6
		.amdhsa_user_sgpr_private_segment_buffer 1
		.amdhsa_user_sgpr_dispatch_ptr 0
		.amdhsa_user_sgpr_queue_ptr 0
		.amdhsa_user_sgpr_kernarg_segment_ptr 1
		.amdhsa_user_sgpr_dispatch_id 0
		.amdhsa_user_sgpr_flat_scratch_init 0
		.amdhsa_user_sgpr_private_segment_size 0
		.amdhsa_uses_dynamic_stack 0
		.amdhsa_system_sgpr_private_segment_wavefront_offset 0
		.amdhsa_system_sgpr_workgroup_id_x 1
		.amdhsa_system_sgpr_workgroup_id_y 0
		.amdhsa_system_sgpr_workgroup_id_z 0
		.amdhsa_system_sgpr_workgroup_info 0
		.amdhsa_system_vgpr_workitem_id 0
		.amdhsa_next_free_vgpr 57
		.amdhsa_next_free_sgpr 98
		.amdhsa_reserve_vcc 1
		.amdhsa_reserve_flat_scratch 0
		.amdhsa_float_round_mode_32 0
		.amdhsa_float_round_mode_16_64 0
		.amdhsa_float_denorm_mode_32 3
		.amdhsa_float_denorm_mode_16_64 3
		.amdhsa_dx10_clamp 1
		.amdhsa_ieee_mode 1
		.amdhsa_fp16_overflow 0
		.amdhsa_exception_fp_ieee_invalid_op 0
		.amdhsa_exception_fp_denorm_src 0
		.amdhsa_exception_fp_ieee_div_zero 0
		.amdhsa_exception_fp_ieee_overflow 0
		.amdhsa_exception_fp_ieee_underflow 0
		.amdhsa_exception_fp_ieee_inexact 0
		.amdhsa_exception_int_div_zero 0
	.end_amdhsa_kernel
	.section	.text._ZN7rocprim6detail18single_scan_kernelILb1ENS0_19wrapped_scan_configINS_14default_configE12hip_bfloat16EEPS4_S6_N6hipcub3MaxES4_S4_EEvT1_mT4_T2_T3_,"axG",@progbits,_ZN7rocprim6detail18single_scan_kernelILb1ENS0_19wrapped_scan_configINS_14default_configE12hip_bfloat16EEPS4_S6_N6hipcub3MaxES4_S4_EEvT1_mT4_T2_T3_,comdat
.Lfunc_end81:
	.size	_ZN7rocprim6detail18single_scan_kernelILb1ENS0_19wrapped_scan_configINS_14default_configE12hip_bfloat16EEPS4_S6_N6hipcub3MaxES4_S4_EEvT1_mT4_T2_T3_, .Lfunc_end81-_ZN7rocprim6detail18single_scan_kernelILb1ENS0_19wrapped_scan_configINS_14default_configE12hip_bfloat16EEPS4_S6_N6hipcub3MaxES4_S4_EEvT1_mT4_T2_T3_
                                        ; -- End function
	.set _ZN7rocprim6detail18single_scan_kernelILb1ENS0_19wrapped_scan_configINS_14default_configE12hip_bfloat16EEPS4_S6_N6hipcub3MaxES4_S4_EEvT1_mT4_T2_T3_.num_vgpr, 57
	.set _ZN7rocprim6detail18single_scan_kernelILb1ENS0_19wrapped_scan_configINS_14default_configE12hip_bfloat16EEPS4_S6_N6hipcub3MaxES4_S4_EEvT1_mT4_T2_T3_.num_agpr, 0
	.set _ZN7rocprim6detail18single_scan_kernelILb1ENS0_19wrapped_scan_configINS_14default_configE12hip_bfloat16EEPS4_S6_N6hipcub3MaxES4_S4_EEvT1_mT4_T2_T3_.numbered_sgpr, 56
	.set _ZN7rocprim6detail18single_scan_kernelILb1ENS0_19wrapped_scan_configINS_14default_configE12hip_bfloat16EEPS4_S6_N6hipcub3MaxES4_S4_EEvT1_mT4_T2_T3_.num_named_barrier, 0
	.set _ZN7rocprim6detail18single_scan_kernelILb1ENS0_19wrapped_scan_configINS_14default_configE12hip_bfloat16EEPS4_S6_N6hipcub3MaxES4_S4_EEvT1_mT4_T2_T3_.private_seg_size, 0
	.set _ZN7rocprim6detail18single_scan_kernelILb1ENS0_19wrapped_scan_configINS_14default_configE12hip_bfloat16EEPS4_S6_N6hipcub3MaxES4_S4_EEvT1_mT4_T2_T3_.uses_vcc, 1
	.set _ZN7rocprim6detail18single_scan_kernelILb1ENS0_19wrapped_scan_configINS_14default_configE12hip_bfloat16EEPS4_S6_N6hipcub3MaxES4_S4_EEvT1_mT4_T2_T3_.uses_flat_scratch, 0
	.set _ZN7rocprim6detail18single_scan_kernelILb1ENS0_19wrapped_scan_configINS_14default_configE12hip_bfloat16EEPS4_S6_N6hipcub3MaxES4_S4_EEvT1_mT4_T2_T3_.has_dyn_sized_stack, 0
	.set _ZN7rocprim6detail18single_scan_kernelILb1ENS0_19wrapped_scan_configINS_14default_configE12hip_bfloat16EEPS4_S6_N6hipcub3MaxES4_S4_EEvT1_mT4_T2_T3_.has_recursion, 0
	.set _ZN7rocprim6detail18single_scan_kernelILb1ENS0_19wrapped_scan_configINS_14default_configE12hip_bfloat16EEPS4_S6_N6hipcub3MaxES4_S4_EEvT1_mT4_T2_T3_.has_indirect_call, 0
	.section	.AMDGPU.csdata,"",@progbits
; Kernel info:
; codeLenInByte = 4112
; TotalNumSgprs: 60
; NumVgprs: 57
; ScratchSize: 0
; MemoryBound: 0
; FloatMode: 240
; IeeeMode: 1
; LDSByteSize: 12288 bytes/workgroup (compile time only)
; SGPRBlocks: 12
; VGPRBlocks: 14
; NumSGPRsForWavesPerEU: 102
; NumVGPRsForWavesPerEU: 57
; Occupancy: 4
; WaveLimiterHint : 0
; COMPUTE_PGM_RSRC2:SCRATCH_EN: 0
; COMPUTE_PGM_RSRC2:USER_SGPR: 6
; COMPUTE_PGM_RSRC2:TRAP_HANDLER: 0
; COMPUTE_PGM_RSRC2:TGID_X_EN: 1
; COMPUTE_PGM_RSRC2:TGID_Y_EN: 0
; COMPUTE_PGM_RSRC2:TGID_Z_EN: 0
; COMPUTE_PGM_RSRC2:TIDIG_COMP_CNT: 0
	.section	.text._ZN7rocprim6detail20lookback_scan_kernelILNS0_25lookback_scan_determinismE0ELb1ENS0_19wrapped_scan_configINS_14default_configEiEEN6hipcub22TransformInputIteratorIiNS6_6CastOpIiEEPilEEPdNS6_3SumEiiNS0_19lookback_scan_stateIiLb1ELb1EEEEEvT2_T3_mT5_T4_T7_jPT6_SM_bb,"axG",@progbits,_ZN7rocprim6detail20lookback_scan_kernelILNS0_25lookback_scan_determinismE0ELb1ENS0_19wrapped_scan_configINS_14default_configEiEEN6hipcub22TransformInputIteratorIiNS6_6CastOpIiEEPilEEPdNS6_3SumEiiNS0_19lookback_scan_stateIiLb1ELb1EEEEEvT2_T3_mT5_T4_T7_jPT6_SM_bb,comdat
	.protected	_ZN7rocprim6detail20lookback_scan_kernelILNS0_25lookback_scan_determinismE0ELb1ENS0_19wrapped_scan_configINS_14default_configEiEEN6hipcub22TransformInputIteratorIiNS6_6CastOpIiEEPilEEPdNS6_3SumEiiNS0_19lookback_scan_stateIiLb1ELb1EEEEEvT2_T3_mT5_T4_T7_jPT6_SM_bb ; -- Begin function _ZN7rocprim6detail20lookback_scan_kernelILNS0_25lookback_scan_determinismE0ELb1ENS0_19wrapped_scan_configINS_14default_configEiEEN6hipcub22TransformInputIteratorIiNS6_6CastOpIiEEPilEEPdNS6_3SumEiiNS0_19lookback_scan_stateIiLb1ELb1EEEEEvT2_T3_mT5_T4_T7_jPT6_SM_bb
	.globl	_ZN7rocprim6detail20lookback_scan_kernelILNS0_25lookback_scan_determinismE0ELb1ENS0_19wrapped_scan_configINS_14default_configEiEEN6hipcub22TransformInputIteratorIiNS6_6CastOpIiEEPilEEPdNS6_3SumEiiNS0_19lookback_scan_stateIiLb1ELb1EEEEEvT2_T3_mT5_T4_T7_jPT6_SM_bb
	.p2align	8
	.type	_ZN7rocprim6detail20lookback_scan_kernelILNS0_25lookback_scan_determinismE0ELb1ENS0_19wrapped_scan_configINS_14default_configEiEEN6hipcub22TransformInputIteratorIiNS6_6CastOpIiEEPilEEPdNS6_3SumEiiNS0_19lookback_scan_stateIiLb1ELb1EEEEEvT2_T3_mT5_T4_T7_jPT6_SM_bb,@function
_ZN7rocprim6detail20lookback_scan_kernelILNS0_25lookback_scan_determinismE0ELb1ENS0_19wrapped_scan_configINS_14default_configEiEEN6hipcub22TransformInputIteratorIiNS6_6CastOpIiEEPilEEPdNS6_3SumEiiNS0_19lookback_scan_stateIiLb1ELb1EEEEEvT2_T3_mT5_T4_T7_jPT6_SM_bb: ; @_ZN7rocprim6detail20lookback_scan_kernelILNS0_25lookback_scan_determinismE0ELb1ENS0_19wrapped_scan_configINS_14default_configEiEEN6hipcub22TransformInputIteratorIiNS6_6CastOpIiEEPilEEPdNS6_3SumEiiNS0_19lookback_scan_stateIiLb1ELb1EEEEEvT2_T3_mT5_T4_T7_jPT6_SM_bb
; %bb.0:
	s_endpgm
	.section	.rodata,"a",@progbits
	.p2align	6, 0x0
	.amdhsa_kernel _ZN7rocprim6detail20lookback_scan_kernelILNS0_25lookback_scan_determinismE0ELb1ENS0_19wrapped_scan_configINS_14default_configEiEEN6hipcub22TransformInputIteratorIiNS6_6CastOpIiEEPilEEPdNS6_3SumEiiNS0_19lookback_scan_stateIiLb1ELb1EEEEEvT2_T3_mT5_T4_T7_jPT6_SM_bb
		.amdhsa_group_segment_fixed_size 0
		.amdhsa_private_segment_fixed_size 0
		.amdhsa_kernarg_size 76
		.amdhsa_user_sgpr_count 6
		.amdhsa_user_sgpr_private_segment_buffer 1
		.amdhsa_user_sgpr_dispatch_ptr 0
		.amdhsa_user_sgpr_queue_ptr 0
		.amdhsa_user_sgpr_kernarg_segment_ptr 1
		.amdhsa_user_sgpr_dispatch_id 0
		.amdhsa_user_sgpr_flat_scratch_init 0
		.amdhsa_user_sgpr_private_segment_size 0
		.amdhsa_uses_dynamic_stack 0
		.amdhsa_system_sgpr_private_segment_wavefront_offset 0
		.amdhsa_system_sgpr_workgroup_id_x 1
		.amdhsa_system_sgpr_workgroup_id_y 0
		.amdhsa_system_sgpr_workgroup_id_z 0
		.amdhsa_system_sgpr_workgroup_info 0
		.amdhsa_system_vgpr_workitem_id 0
		.amdhsa_next_free_vgpr 1
		.amdhsa_next_free_sgpr 0
		.amdhsa_reserve_vcc 0
		.amdhsa_reserve_flat_scratch 0
		.amdhsa_float_round_mode_32 0
		.amdhsa_float_round_mode_16_64 0
		.amdhsa_float_denorm_mode_32 3
		.amdhsa_float_denorm_mode_16_64 3
		.amdhsa_dx10_clamp 1
		.amdhsa_ieee_mode 1
		.amdhsa_fp16_overflow 0
		.amdhsa_exception_fp_ieee_invalid_op 0
		.amdhsa_exception_fp_denorm_src 0
		.amdhsa_exception_fp_ieee_div_zero 0
		.amdhsa_exception_fp_ieee_overflow 0
		.amdhsa_exception_fp_ieee_underflow 0
		.amdhsa_exception_fp_ieee_inexact 0
		.amdhsa_exception_int_div_zero 0
	.end_amdhsa_kernel
	.section	.text._ZN7rocprim6detail20lookback_scan_kernelILNS0_25lookback_scan_determinismE0ELb1ENS0_19wrapped_scan_configINS_14default_configEiEEN6hipcub22TransformInputIteratorIiNS6_6CastOpIiEEPilEEPdNS6_3SumEiiNS0_19lookback_scan_stateIiLb1ELb1EEEEEvT2_T3_mT5_T4_T7_jPT6_SM_bb,"axG",@progbits,_ZN7rocprim6detail20lookback_scan_kernelILNS0_25lookback_scan_determinismE0ELb1ENS0_19wrapped_scan_configINS_14default_configEiEEN6hipcub22TransformInputIteratorIiNS6_6CastOpIiEEPilEEPdNS6_3SumEiiNS0_19lookback_scan_stateIiLb1ELb1EEEEEvT2_T3_mT5_T4_T7_jPT6_SM_bb,comdat
.Lfunc_end82:
	.size	_ZN7rocprim6detail20lookback_scan_kernelILNS0_25lookback_scan_determinismE0ELb1ENS0_19wrapped_scan_configINS_14default_configEiEEN6hipcub22TransformInputIteratorIiNS6_6CastOpIiEEPilEEPdNS6_3SumEiiNS0_19lookback_scan_stateIiLb1ELb1EEEEEvT2_T3_mT5_T4_T7_jPT6_SM_bb, .Lfunc_end82-_ZN7rocprim6detail20lookback_scan_kernelILNS0_25lookback_scan_determinismE0ELb1ENS0_19wrapped_scan_configINS_14default_configEiEEN6hipcub22TransformInputIteratorIiNS6_6CastOpIiEEPilEEPdNS6_3SumEiiNS0_19lookback_scan_stateIiLb1ELb1EEEEEvT2_T3_mT5_T4_T7_jPT6_SM_bb
                                        ; -- End function
	.set _ZN7rocprim6detail20lookback_scan_kernelILNS0_25lookback_scan_determinismE0ELb1ENS0_19wrapped_scan_configINS_14default_configEiEEN6hipcub22TransformInputIteratorIiNS6_6CastOpIiEEPilEEPdNS6_3SumEiiNS0_19lookback_scan_stateIiLb1ELb1EEEEEvT2_T3_mT5_T4_T7_jPT6_SM_bb.num_vgpr, 0
	.set _ZN7rocprim6detail20lookback_scan_kernelILNS0_25lookback_scan_determinismE0ELb1ENS0_19wrapped_scan_configINS_14default_configEiEEN6hipcub22TransformInputIteratorIiNS6_6CastOpIiEEPilEEPdNS6_3SumEiiNS0_19lookback_scan_stateIiLb1ELb1EEEEEvT2_T3_mT5_T4_T7_jPT6_SM_bb.num_agpr, 0
	.set _ZN7rocprim6detail20lookback_scan_kernelILNS0_25lookback_scan_determinismE0ELb1ENS0_19wrapped_scan_configINS_14default_configEiEEN6hipcub22TransformInputIteratorIiNS6_6CastOpIiEEPilEEPdNS6_3SumEiiNS0_19lookback_scan_stateIiLb1ELb1EEEEEvT2_T3_mT5_T4_T7_jPT6_SM_bb.numbered_sgpr, 0
	.set _ZN7rocprim6detail20lookback_scan_kernelILNS0_25lookback_scan_determinismE0ELb1ENS0_19wrapped_scan_configINS_14default_configEiEEN6hipcub22TransformInputIteratorIiNS6_6CastOpIiEEPilEEPdNS6_3SumEiiNS0_19lookback_scan_stateIiLb1ELb1EEEEEvT2_T3_mT5_T4_T7_jPT6_SM_bb.num_named_barrier, 0
	.set _ZN7rocprim6detail20lookback_scan_kernelILNS0_25lookback_scan_determinismE0ELb1ENS0_19wrapped_scan_configINS_14default_configEiEEN6hipcub22TransformInputIteratorIiNS6_6CastOpIiEEPilEEPdNS6_3SumEiiNS0_19lookback_scan_stateIiLb1ELb1EEEEEvT2_T3_mT5_T4_T7_jPT6_SM_bb.private_seg_size, 0
	.set _ZN7rocprim6detail20lookback_scan_kernelILNS0_25lookback_scan_determinismE0ELb1ENS0_19wrapped_scan_configINS_14default_configEiEEN6hipcub22TransformInputIteratorIiNS6_6CastOpIiEEPilEEPdNS6_3SumEiiNS0_19lookback_scan_stateIiLb1ELb1EEEEEvT2_T3_mT5_T4_T7_jPT6_SM_bb.uses_vcc, 0
	.set _ZN7rocprim6detail20lookback_scan_kernelILNS0_25lookback_scan_determinismE0ELb1ENS0_19wrapped_scan_configINS_14default_configEiEEN6hipcub22TransformInputIteratorIiNS6_6CastOpIiEEPilEEPdNS6_3SumEiiNS0_19lookback_scan_stateIiLb1ELb1EEEEEvT2_T3_mT5_T4_T7_jPT6_SM_bb.uses_flat_scratch, 0
	.set _ZN7rocprim6detail20lookback_scan_kernelILNS0_25lookback_scan_determinismE0ELb1ENS0_19wrapped_scan_configINS_14default_configEiEEN6hipcub22TransformInputIteratorIiNS6_6CastOpIiEEPilEEPdNS6_3SumEiiNS0_19lookback_scan_stateIiLb1ELb1EEEEEvT2_T3_mT5_T4_T7_jPT6_SM_bb.has_dyn_sized_stack, 0
	.set _ZN7rocprim6detail20lookback_scan_kernelILNS0_25lookback_scan_determinismE0ELb1ENS0_19wrapped_scan_configINS_14default_configEiEEN6hipcub22TransformInputIteratorIiNS6_6CastOpIiEEPilEEPdNS6_3SumEiiNS0_19lookback_scan_stateIiLb1ELb1EEEEEvT2_T3_mT5_T4_T7_jPT6_SM_bb.has_recursion, 0
	.set _ZN7rocprim6detail20lookback_scan_kernelILNS0_25lookback_scan_determinismE0ELb1ENS0_19wrapped_scan_configINS_14default_configEiEEN6hipcub22TransformInputIteratorIiNS6_6CastOpIiEEPilEEPdNS6_3SumEiiNS0_19lookback_scan_stateIiLb1ELb1EEEEEvT2_T3_mT5_T4_T7_jPT6_SM_bb.has_indirect_call, 0
	.section	.AMDGPU.csdata,"",@progbits
; Kernel info:
; codeLenInByte = 4
; TotalNumSgprs: 4
; NumVgprs: 0
; ScratchSize: 0
; MemoryBound: 0
; FloatMode: 240
; IeeeMode: 1
; LDSByteSize: 0 bytes/workgroup (compile time only)
; SGPRBlocks: 0
; VGPRBlocks: 0
; NumSGPRsForWavesPerEU: 4
; NumVGPRsForWavesPerEU: 1
; Occupancy: 10
; WaveLimiterHint : 0
; COMPUTE_PGM_RSRC2:SCRATCH_EN: 0
; COMPUTE_PGM_RSRC2:USER_SGPR: 6
; COMPUTE_PGM_RSRC2:TRAP_HANDLER: 0
; COMPUTE_PGM_RSRC2:TGID_X_EN: 1
; COMPUTE_PGM_RSRC2:TGID_Y_EN: 0
; COMPUTE_PGM_RSRC2:TGID_Z_EN: 0
; COMPUTE_PGM_RSRC2:TIDIG_COMP_CNT: 0
	.section	.text._ZN7rocprim6detail20lookback_scan_kernelILNS0_25lookback_scan_determinismE0ELb1ENS0_19wrapped_scan_configINS_14default_configEiEEN6hipcub22TransformInputIteratorIiNS6_6CastOpIiEEPilEEPdNS6_3SumEiiNS0_19lookback_scan_stateIiLb0ELb1EEEEEvT2_T3_mT5_T4_T7_jPT6_SM_bb,"axG",@progbits,_ZN7rocprim6detail20lookback_scan_kernelILNS0_25lookback_scan_determinismE0ELb1ENS0_19wrapped_scan_configINS_14default_configEiEEN6hipcub22TransformInputIteratorIiNS6_6CastOpIiEEPilEEPdNS6_3SumEiiNS0_19lookback_scan_stateIiLb0ELb1EEEEEvT2_T3_mT5_T4_T7_jPT6_SM_bb,comdat
	.protected	_ZN7rocprim6detail20lookback_scan_kernelILNS0_25lookback_scan_determinismE0ELb1ENS0_19wrapped_scan_configINS_14default_configEiEEN6hipcub22TransformInputIteratorIiNS6_6CastOpIiEEPilEEPdNS6_3SumEiiNS0_19lookback_scan_stateIiLb0ELb1EEEEEvT2_T3_mT5_T4_T7_jPT6_SM_bb ; -- Begin function _ZN7rocprim6detail20lookback_scan_kernelILNS0_25lookback_scan_determinismE0ELb1ENS0_19wrapped_scan_configINS_14default_configEiEEN6hipcub22TransformInputIteratorIiNS6_6CastOpIiEEPilEEPdNS6_3SumEiiNS0_19lookback_scan_stateIiLb0ELb1EEEEEvT2_T3_mT5_T4_T7_jPT6_SM_bb
	.globl	_ZN7rocprim6detail20lookback_scan_kernelILNS0_25lookback_scan_determinismE0ELb1ENS0_19wrapped_scan_configINS_14default_configEiEEN6hipcub22TransformInputIteratorIiNS6_6CastOpIiEEPilEEPdNS6_3SumEiiNS0_19lookback_scan_stateIiLb0ELb1EEEEEvT2_T3_mT5_T4_T7_jPT6_SM_bb
	.p2align	8
	.type	_ZN7rocprim6detail20lookback_scan_kernelILNS0_25lookback_scan_determinismE0ELb1ENS0_19wrapped_scan_configINS_14default_configEiEEN6hipcub22TransformInputIteratorIiNS6_6CastOpIiEEPilEEPdNS6_3SumEiiNS0_19lookback_scan_stateIiLb0ELb1EEEEEvT2_T3_mT5_T4_T7_jPT6_SM_bb,@function
_ZN7rocprim6detail20lookback_scan_kernelILNS0_25lookback_scan_determinismE0ELb1ENS0_19wrapped_scan_configINS_14default_configEiEEN6hipcub22TransformInputIteratorIiNS6_6CastOpIiEEPilEEPdNS6_3SumEiiNS0_19lookback_scan_stateIiLb0ELb1EEEEEvT2_T3_mT5_T4_T7_jPT6_SM_bb: ; @_ZN7rocprim6detail20lookback_scan_kernelILNS0_25lookback_scan_determinismE0ELb1ENS0_19wrapped_scan_configINS_14default_configEiEEN6hipcub22TransformInputIteratorIiNS6_6CastOpIiEEPilEEPdNS6_3SumEiiNS0_19lookback_scan_stateIiLb0ELb1EEEEEvT2_T3_mT5_T4_T7_jPT6_SM_bb
; %bb.0:
	s_load_dword s0, s[4:5], 0x30
	s_load_dwordx2 s[30:31], s[4:5], 0x0
	s_load_dwordx4 s[24:27], s[4:5], 0x10
	s_mul_i32 s28, s6, 0xf00
	s_mov_b32 s29, 0
	s_waitcnt lgkmcnt(0)
	s_add_i32 s0, s0, -1
	s_mul_i32 s1, s0, 0xf00
	s_sub_u32 s23, s26, s1
	s_subb_u32 s33, s27, 0
	s_cmp_lg_u32 s6, s0
	s_cselect_b64 s[26:27], -1, 0
	s_lshl_b64 s[0:1], s[28:29], 2
	s_add_u32 s2, s30, s0
	s_addc_u32 s3, s31, s1
	s_mov_b64 s[0:1], -1
	s_and_b64 vcc, exec, s[26:27]
	v_lshlrev_b32_e32 v31, 2, v0
	s_cbranch_vccz .LBB83_2
; %bb.1:
	v_mov_b32_e32 v1, s3
	v_add_co_u32_e32 v5, vcc, s2, v31
	v_addc_co_u32_e32 v6, vcc, 0, v1, vcc
	v_add_co_u32_e32 v1, vcc, 0x1000, v5
	v_addc_co_u32_e32 v2, vcc, 0, v6, vcc
	;; [unrolled: 2-line block ×3, first 2 shown]
	global_load_dword v7, v31, s[2:3]
	global_load_dword v8, v31, s[2:3] offset:1024
	global_load_dword v9, v31, s[2:3] offset:2048
	;; [unrolled: 1-line block ×3, first 2 shown]
	global_load_dword v11, v[1:2], off
	global_load_dword v12, v[1:2], off offset:1024
	global_load_dword v13, v[1:2], off offset:2048
	;; [unrolled: 1-line block ×3, first 2 shown]
	global_load_dword v15, v[3:4], off
	global_load_dword v16, v[3:4], off offset:1024
	global_load_dword v17, v[3:4], off offset:2048
	;; [unrolled: 1-line block ×3, first 2 shown]
	v_add_co_u32_e32 v1, vcc, 0x3000, v5
	v_addc_co_u32_e32 v2, vcc, 0, v6, vcc
	global_load_dword v3, v[1:2], off
	global_load_dword v4, v[1:2], off offset:1024
	global_load_dword v5, v[1:2], off offset:2048
	s_mov_b64 s[0:1], 0
	s_waitcnt vmcnt(13)
	ds_write2st64_b32 v31, v7, v8 offset1:4
	s_waitcnt vmcnt(11)
	ds_write2st64_b32 v31, v9, v10 offset0:8 offset1:12
	s_waitcnt vmcnt(9)
	ds_write2st64_b32 v31, v11, v12 offset0:16 offset1:20
	;; [unrolled: 2-line block ×6, first 2 shown]
	s_waitcnt vmcnt(0)
	ds_write_b32 v31, v5 offset:14336
	s_waitcnt lgkmcnt(0)
	s_barrier
.LBB83_2:
	s_andn2_b64 vcc, exec, s[0:1]
	v_cmp_gt_u32_e64 s[0:1], s23, v0
	s_cbranch_vccnz .LBB83_34
; %bb.3:
	s_load_dword s8, s[2:3], 0x0
	v_mov_b32_e32 v1, s3
	v_add_co_u32_e32 v17, vcc, s2, v31
	v_addc_co_u32_e32 v18, vcc, 0, v1, vcc
	s_waitcnt lgkmcnt(0)
	s_mov_b32 s9, s8
	s_mov_b32 s10, s8
	;; [unrolled: 1-line block ×14, first 2 shown]
	v_mov_b32_e32 v1, s8
	v_mov_b32_e32 v2, s9
	;; [unrolled: 1-line block ×16, first 2 shown]
	s_and_saveexec_b64 s[2:3], s[0:1]
	s_cbranch_execz .LBB83_5
; %bb.4:
	global_load_dword v1, v[17:18], off
	v_mov_b32_e32 v2, s8
	v_mov_b32_e32 v3, s8
	v_mov_b32_e32 v4, s8
	v_mov_b32_e32 v5, s8
	v_mov_b32_e32 v6, s8
	v_mov_b32_e32 v7, s8
	v_mov_b32_e32 v8, s8
	v_mov_b32_e32 v9, s8
	v_mov_b32_e32 v10, s8
	v_mov_b32_e32 v11, s8
	v_mov_b32_e32 v12, s8
	v_mov_b32_e32 v13, s8
	v_mov_b32_e32 v14, s8
	v_mov_b32_e32 v15, s8
.LBB83_5:
	s_or_b64 exec, exec, s[2:3]
	v_or_b32_e32 v16, 0x100, v0
	v_cmp_gt_u32_e32 vcc, s23, v16
	s_and_saveexec_b64 s[0:1], vcc
	s_cbranch_execz .LBB83_7
; %bb.6:
	global_load_dword v2, v[17:18], off offset:1024
.LBB83_7:
	s_or_b64 exec, exec, s[0:1]
	v_or_b32_e32 v16, 0x200, v0
	v_cmp_gt_u32_e32 vcc, s23, v16
	s_and_saveexec_b64 s[0:1], vcc
	s_cbranch_execz .LBB83_9
; %bb.8:
	global_load_dword v3, v[17:18], off offset:2048
.LBB83_9:
	;; [unrolled: 8-line block ×3, first 2 shown]
	s_or_b64 exec, exec, s[0:1]
	v_or_b32_e32 v16, 0x400, v0
	v_cmp_gt_u32_e32 vcc, s23, v16
	s_and_saveexec_b64 s[0:1], vcc
	s_cbranch_execz .LBB83_13
; %bb.12:
	v_add_co_u32_e32 v19, vcc, 0x1000, v17
	v_addc_co_u32_e32 v20, vcc, 0, v18, vcc
	global_load_dword v5, v[19:20], off
.LBB83_13:
	s_or_b64 exec, exec, s[0:1]
	v_or_b32_e32 v16, 0x500, v0
	v_cmp_gt_u32_e32 vcc, s23, v16
	s_and_saveexec_b64 s[0:1], vcc
	s_cbranch_execz .LBB83_15
; %bb.14:
	v_add_co_u32_e32 v19, vcc, 0x1000, v17
	v_addc_co_u32_e32 v20, vcc, 0, v18, vcc
	global_load_dword v6, v[19:20], off offset:1024
.LBB83_15:
	s_or_b64 exec, exec, s[0:1]
	v_or_b32_e32 v16, 0x600, v0
	v_cmp_gt_u32_e32 vcc, s23, v16
	s_and_saveexec_b64 s[0:1], vcc
	s_cbranch_execz .LBB83_17
; %bb.16:
	v_add_co_u32_e32 v19, vcc, 0x1000, v17
	v_addc_co_u32_e32 v20, vcc, 0, v18, vcc
	global_load_dword v7, v[19:20], off offset:2048
.LBB83_17:
	s_or_b64 exec, exec, s[0:1]
	v_or_b32_e32 v16, 0x700, v0
	v_cmp_gt_u32_e32 vcc, s23, v16
	s_and_saveexec_b64 s[0:1], vcc
	s_cbranch_execz .LBB83_19
; %bb.18:
	v_add_co_u32_e32 v19, vcc, 0x1000, v17
	v_addc_co_u32_e32 v20, vcc, 0, v18, vcc
	global_load_dword v8, v[19:20], off offset:3072
.LBB83_19:
	s_or_b64 exec, exec, s[0:1]
	v_or_b32_e32 v16, 0x800, v0
	v_cmp_gt_u32_e32 vcc, s23, v16
	s_and_saveexec_b64 s[0:1], vcc
	s_cbranch_execz .LBB83_21
; %bb.20:
	v_add_co_u32_e32 v19, vcc, 0x2000, v17
	v_addc_co_u32_e32 v20, vcc, 0, v18, vcc
	global_load_dword v9, v[19:20], off
.LBB83_21:
	s_or_b64 exec, exec, s[0:1]
	v_or_b32_e32 v16, 0x900, v0
	v_cmp_gt_u32_e32 vcc, s23, v16
	s_and_saveexec_b64 s[0:1], vcc
	s_cbranch_execz .LBB83_23
; %bb.22:
	v_add_co_u32_e32 v19, vcc, 0x2000, v17
	v_addc_co_u32_e32 v20, vcc, 0, v18, vcc
	global_load_dword v10, v[19:20], off offset:1024
.LBB83_23:
	s_or_b64 exec, exec, s[0:1]
	v_or_b32_e32 v16, 0xa00, v0
	v_cmp_gt_u32_e32 vcc, s23, v16
	s_and_saveexec_b64 s[0:1], vcc
	s_cbranch_execz .LBB83_25
; %bb.24:
	v_add_co_u32_e32 v19, vcc, 0x2000, v17
	v_addc_co_u32_e32 v20, vcc, 0, v18, vcc
	global_load_dword v11, v[19:20], off offset:2048
.LBB83_25:
	;; [unrolled: 10-line block ×3, first 2 shown]
	s_or_b64 exec, exec, s[0:1]
	v_or_b32_e32 v16, 0xc00, v0
	v_cmp_gt_u32_e32 vcc, s23, v16
	s_and_saveexec_b64 s[0:1], vcc
	s_cbranch_execz .LBB83_29
; %bb.28:
	v_add_co_u32_e32 v19, vcc, 0x3000, v17
	v_addc_co_u32_e32 v20, vcc, 0, v18, vcc
	global_load_dword v13, v[19:20], off
.LBB83_29:
	s_or_b64 exec, exec, s[0:1]
	v_or_b32_e32 v16, 0xd00, v0
	v_cmp_gt_u32_e32 vcc, s23, v16
	s_and_saveexec_b64 s[0:1], vcc
	s_cbranch_execz .LBB83_31
; %bb.30:
	v_add_co_u32_e32 v19, vcc, 0x3000, v17
	v_addc_co_u32_e32 v20, vcc, 0, v18, vcc
	global_load_dword v14, v[19:20], off offset:1024
.LBB83_31:
	s_or_b64 exec, exec, s[0:1]
	v_or_b32_e32 v16, 0xe00, v0
	v_cmp_gt_u32_e32 vcc, s23, v16
	s_and_saveexec_b64 s[0:1], vcc
	s_cbranch_execz .LBB83_33
; %bb.32:
	v_add_co_u32_e32 v15, vcc, 0x3000, v17
	v_addc_co_u32_e32 v16, vcc, 0, v18, vcc
	global_load_dword v15, v[15:16], off offset:2048
.LBB83_33:
	s_or_b64 exec, exec, s[0:1]
	s_waitcnt vmcnt(0)
	ds_write2st64_b32 v31, v1, v2 offset1:4
	ds_write2st64_b32 v31, v3, v4 offset0:8 offset1:12
	ds_write2st64_b32 v31, v5, v6 offset0:16 offset1:20
	;; [unrolled: 1-line block ×6, first 2 shown]
	ds_write_b32 v31, v15 offset:14336
	s_waitcnt lgkmcnt(0)
	s_barrier
.LBB83_34:
	s_load_dwordx2 s[8:9], s[4:5], 0x28
	v_mul_u32_u24_e32 v32, 60, v0
	s_waitcnt lgkmcnt(0)
	ds_read2_b32 v[29:30], v32 offset1:1
	ds_read2_b32 v[27:28], v32 offset0:2 offset1:3
	ds_read2_b32 v[25:26], v32 offset0:4 offset1:5
	;; [unrolled: 1-line block ×6, first 2 shown]
	ds_read_b32 v33, v32 offset:56
	s_waitcnt lgkmcnt(6)
	v_add3_u32 v1, v30, v29, v27
	s_cmp_lg_u32 s6, 0
	s_waitcnt lgkmcnt(5)
	v_add3_u32 v35, v1, v28, v25
	v_lshrrev_b32_e32 v34, 3, v0
	v_cmp_gt_u32_e32 vcc, 64, v0
	s_waitcnt lgkmcnt(0)
	s_barrier
	s_cbranch_scc0 .LBB83_54
; %bb.35:
	v_add3_u32 v1, v35, v26, v23
	v_add3_u32 v1, v1, v24, v21
	;; [unrolled: 1-line block ×4, first 2 shown]
	v_and_b32_e32 v2, 28, v34
	v_add3_u32 v1, v1, v18, v33
	v_lshl_add_u32 v2, v0, 2, v2
	ds_write_b32 v2, v1
	s_waitcnt lgkmcnt(0)
	s_barrier
	s_and_saveexec_b64 s[2:3], vcc
	s_cbranch_execz .LBB83_37
; %bb.36:
	v_lshrrev_b32_e32 v2, 1, v0
	v_and_b32_e32 v2, 0x7c, v2
	v_lshl_add_u32 v6, v0, 4, v2
	ds_read2_b32 v[2:3], v6 offset1:1
	ds_read2_b32 v[4:5], v6 offset0:2 offset1:3
	v_mbcnt_lo_u32_b32 v7, -1, 0
	v_mbcnt_hi_u32_b32 v7, -1, v7
	v_and_b32_e32 v8, 15, v7
	s_waitcnt lgkmcnt(1)
	v_add_u32_e32 v9, v3, v2
	s_waitcnt lgkmcnt(0)
	v_add3_u32 v9, v9, v4, v5
	v_cmp_ne_u32_e64 s[0:1], 0, v8
	s_nop 0
	v_mov_b32_dpp v10, v9 row_shr:1 row_mask:0xf bank_mask:0xf
	v_cndmask_b32_e64 v10, 0, v10, s[0:1]
	v_add_u32_e32 v9, v10, v9
	v_cmp_lt_u32_e64 s[0:1], 1, v8
	s_nop 0
	v_mov_b32_dpp v10, v9 row_shr:2 row_mask:0xf bank_mask:0xf
	v_cndmask_b32_e64 v10, 0, v10, s[0:1]
	v_add_u32_e32 v9, v9, v10
	v_cmp_lt_u32_e64 s[0:1], 3, v8
	;; [unrolled: 5-line block ×3, first 2 shown]
	s_nop 0
	v_mov_b32_dpp v10, v9 row_shr:8 row_mask:0xf bank_mask:0xf
	v_cndmask_b32_e64 v8, 0, v10, s[0:1]
	v_add_u32_e32 v8, v9, v8
	v_bfe_i32 v10, v7, 4, 1
	v_cmp_lt_u32_e64 s[0:1], 31, v7
	v_mov_b32_dpp v9, v8 row_bcast:15 row_mask:0xf bank_mask:0xf
	v_and_b32_e32 v9, v10, v9
	v_add_u32_e32 v8, v8, v9
	v_and_b32_e32 v10, 64, v7
	s_nop 0
	v_mov_b32_dpp v9, v8 row_bcast:31 row_mask:0xf bank_mask:0xf
	v_cndmask_b32_e64 v9, 0, v9, s[0:1]
	v_add_u32_e32 v8, v8, v9
	v_add_u32_e32 v9, -1, v7
	v_cmp_lt_i32_e64 s[0:1], v9, v10
	v_cndmask_b32_e64 v7, v9, v7, s[0:1]
	v_lshlrev_b32_e32 v7, 2, v7
	ds_bpermute_b32 v7, v7, v8
	v_cmp_eq_u32_e64 s[0:1], 0, v0
	s_waitcnt lgkmcnt(0)
	v_add_u32_e32 v2, v7, v2
	v_cndmask_b32_e64 v1, v2, v1, s[0:1]
	v_add_u32_e32 v2, v1, v3
	ds_write2_b32 v6, v1, v2 offset1:1
	v_add_u32_e32 v1, v2, v4
	v_add_u32_e32 v2, v1, v5
	ds_write2_b32 v6, v1, v2 offset0:2 offset1:3
.LBB83_37:
	s_or_b64 exec, exec, s[2:3]
	v_mov_b32_e32 v10, 0
	v_cmp_eq_u32_e64 s[0:1], 0, v0
	v_cmp_ne_u32_e64 s[2:3], 0, v0
	s_waitcnt lgkmcnt(0)
	s_barrier
	s_and_saveexec_b64 s[10:11], s[2:3]
; %bb.38:
	v_add_u32_e32 v1, -1, v0
	v_lshrrev_b32_e32 v2, 3, v1
	v_and_b32_e32 v2, 0x1ffffffc, v2
	v_lshl_add_u32 v1, v1, 2, v2
	ds_read_b32 v10, v1
; %bb.39:
	s_or_b64 exec, exec, s[10:11]
	s_and_saveexec_b64 s[10:11], vcc
	s_cbranch_execz .LBB83_59
; %bb.40:
	v_mov_b32_e32 v6, 0
	ds_read_b32 v1, v6 offset:1048
	v_mbcnt_lo_u32_b32 v2, -1, 0
	v_mbcnt_hi_u32_b32 v3, -1, v2
	s_mov_b32 s15, 0
	v_cmp_eq_u32_e64 s[2:3], 0, v3
	s_and_saveexec_b64 s[12:13], s[2:3]
	s_cbranch_execz .LBB83_42
; %bb.41:
	s_add_i32 s14, s6, 64
	s_lshl_b64 s[14:15], s[14:15], 3
	s_add_u32 s14, s8, s14
	v_mov_b32_e32 v2, 1
	s_addc_u32 s15, s9, s15
	s_waitcnt lgkmcnt(0)
	global_store_dwordx2 v6, v[1:2], s[14:15]
.LBB83_42:
	s_or_b64 exec, exec, s[12:13]
	v_xad_u32 v2, v3, -1, s6
	v_add_u32_e32 v5, 64, v2
	v_lshlrev_b64 v[4:5], 3, v[5:6]
	v_mov_b32_e32 v8, s9
	v_add_co_u32_e32 v7, vcc, s8, v4
	v_addc_co_u32_e32 v8, vcc, v8, v5, vcc
	global_load_dwordx2 v[4:5], v[7:8], off glc
	s_waitcnt vmcnt(0)
	v_cmp_eq_u16_sdwa s[14:15], v5, v6 src0_sel:BYTE_0 src1_sel:DWORD
	s_and_saveexec_b64 s[12:13], s[14:15]
	s_cbranch_execz .LBB83_46
; %bb.43:
	s_mov_b64 s[14:15], 0
	v_mov_b32_e32 v6, 0
.LBB83_44:                              ; =>This Inner Loop Header: Depth=1
	global_load_dwordx2 v[4:5], v[7:8], off glc
	s_waitcnt vmcnt(0)
	v_cmp_ne_u16_sdwa s[16:17], v5, v6 src0_sel:BYTE_0 src1_sel:DWORD
	s_or_b64 s[14:15], s[16:17], s[14:15]
	s_andn2_b64 exec, exec, s[14:15]
	s_cbranch_execnz .LBB83_44
; %bb.45:
	s_or_b64 exec, exec, s[14:15]
.LBB83_46:
	s_or_b64 exec, exec, s[12:13]
	v_and_b32_e32 v37, 63, v3
	v_mov_b32_e32 v11, 2
	v_lshlrev_b64 v[6:7], v3, -1
	v_cmp_ne_u32_e32 vcc, 63, v37
	v_cmp_eq_u16_sdwa s[12:13], v5, v11 src0_sel:BYTE_0 src1_sel:DWORD
	v_addc_co_u32_e32 v12, vcc, 0, v3, vcc
	v_and_b32_e32 v8, s13, v7
	v_lshlrev_b32_e32 v12, 2, v12
	v_or_b32_e32 v8, 0x80000000, v8
	ds_bpermute_b32 v14, v12, v4
	v_and_b32_e32 v9, s12, v6
	v_ffbl_b32_e32 v8, v8
	v_add_u32_e32 v8, 32, v8
	v_ffbl_b32_e32 v9, v9
	v_min_u32_e32 v8, v9, v8
	v_add_u32_e32 v13, 1, v3
	v_cmp_le_u32_e32 vcc, v13, v8
	s_waitcnt lgkmcnt(0)
	v_cndmask_b32_e32 v9, 0, v14, vcc
	v_cmp_gt_u32_e32 vcc, 62, v37
	v_add_u32_e32 v4, v9, v4
	v_cndmask_b32_e64 v9, 0, 2, vcc
	v_add_lshl_u32 v14, v9, v3, 2
	ds_bpermute_b32 v9, v14, v4
	v_add_u32_e32 v15, 2, v3
	v_cmp_le_u32_e32 vcc, v15, v8
	v_add_u32_e32 v36, 4, v3
	v_add_u32_e32 v39, 8, v3
	s_waitcnt lgkmcnt(0)
	v_cndmask_b32_e32 v9, 0, v9, vcc
	v_cmp_gt_u32_e32 vcc, 60, v37
	v_add_u32_e32 v4, v4, v9
	v_cndmask_b32_e64 v9, 0, 4, vcc
	v_add_lshl_u32 v16, v9, v3, 2
	ds_bpermute_b32 v9, v16, v4
	v_cmp_le_u32_e32 vcc, v36, v8
	v_add_u32_e32 v41, 16, v3
	v_add_u32_e32 v43, 32, v3
	s_waitcnt lgkmcnt(0)
	v_cndmask_b32_e32 v9, 0, v9, vcc
	v_cmp_gt_u32_e32 vcc, 56, v37
	v_add_u32_e32 v4, v4, v9
	v_cndmask_b32_e64 v9, 0, 8, vcc
	v_add_lshl_u32 v38, v9, v3, 2
	ds_bpermute_b32 v9, v38, v4
	v_cmp_le_u32_e32 vcc, v39, v8
	s_waitcnt lgkmcnt(0)
	v_cndmask_b32_e32 v9, 0, v9, vcc
	v_cmp_gt_u32_e32 vcc, 48, v37
	v_add_u32_e32 v4, v4, v9
	v_cndmask_b32_e64 v9, 0, 16, vcc
	v_add_lshl_u32 v40, v9, v3, 2
	ds_bpermute_b32 v9, v40, v4
	v_cmp_le_u32_e32 vcc, v41, v8
	s_waitcnt lgkmcnt(0)
	v_cndmask_b32_e32 v9, 0, v9, vcc
	v_add_u32_e32 v4, v4, v9
	v_mov_b32_e32 v9, 0x80
	v_lshl_or_b32 v42, v3, 2, v9
	ds_bpermute_b32 v9, v42, v4
	v_cmp_le_u32_e32 vcc, v43, v8
	s_waitcnt lgkmcnt(0)
	v_cndmask_b32_e32 v3, 0, v9, vcc
	v_add_u32_e32 v4, v4, v3
	v_mov_b32_e32 v3, 0
	s_branch .LBB83_50
.LBB83_47:                              ;   in Loop: Header=BB83_50 Depth=1
	s_or_b64 exec, exec, s[14:15]
.LBB83_48:                              ;   in Loop: Header=BB83_50 Depth=1
	s_or_b64 exec, exec, s[12:13]
	v_cmp_eq_u16_sdwa s[12:13], v5, v11 src0_sel:BYTE_0 src1_sel:DWORD
	v_and_b32_e32 v8, s13, v7
	v_or_b32_e32 v8, 0x80000000, v8
	ds_bpermute_b32 v44, v12, v4
	v_and_b32_e32 v9, s12, v6
	v_ffbl_b32_e32 v8, v8
	v_add_u32_e32 v8, 32, v8
	v_ffbl_b32_e32 v9, v9
	v_min_u32_e32 v8, v9, v8
	v_cmp_le_u32_e32 vcc, v13, v8
	s_waitcnt lgkmcnt(0)
	v_cndmask_b32_e32 v9, 0, v44, vcc
	v_add_u32_e32 v4, v9, v4
	ds_bpermute_b32 v9, v14, v4
	v_cmp_le_u32_e32 vcc, v15, v8
	v_subrev_u32_e32 v2, 64, v2
	s_mov_b64 s[12:13], 0
	s_waitcnt lgkmcnt(0)
	v_cndmask_b32_e32 v9, 0, v9, vcc
	v_add_u32_e32 v4, v4, v9
	ds_bpermute_b32 v9, v16, v4
	v_cmp_le_u32_e32 vcc, v36, v8
	s_waitcnt lgkmcnt(0)
	v_cndmask_b32_e32 v9, 0, v9, vcc
	v_add_u32_e32 v4, v4, v9
	ds_bpermute_b32 v9, v38, v4
	v_cmp_le_u32_e32 vcc, v39, v8
	;; [unrolled: 5-line block ×4, first 2 shown]
	s_waitcnt lgkmcnt(0)
	v_cndmask_b32_e32 v8, 0, v9, vcc
	v_add3_u32 v4, v8, v37, v4
.LBB83_49:                              ;   in Loop: Header=BB83_50 Depth=1
	s_and_b64 vcc, exec, s[12:13]
	s_cbranch_vccnz .LBB83_55
.LBB83_50:                              ; =>This Loop Header: Depth=1
                                        ;     Child Loop BB83_53 Depth 2
	v_cmp_ne_u16_sdwa s[12:13], v5, v11 src0_sel:BYTE_0 src1_sel:DWORD
	v_mov_b32_e32 v37, v4
	s_cmp_lg_u64 s[12:13], exec
	s_mov_b64 s[12:13], -1
                                        ; implicit-def: $vgpr4
                                        ; implicit-def: $vgpr5
	s_cbranch_scc1 .LBB83_49
; %bb.51:                               ;   in Loop: Header=BB83_50 Depth=1
	v_lshlrev_b64 v[4:5], 3, v[2:3]
	v_mov_b32_e32 v9, s9
	v_add_co_u32_e32 v8, vcc, s8, v4
	v_addc_co_u32_e32 v9, vcc, v9, v5, vcc
	global_load_dwordx2 v[4:5], v[8:9], off glc
	s_waitcnt vmcnt(0)
	v_cmp_eq_u16_sdwa s[14:15], v5, v3 src0_sel:BYTE_0 src1_sel:DWORD
	s_and_saveexec_b64 s[12:13], s[14:15]
	s_cbranch_execz .LBB83_48
; %bb.52:                               ;   in Loop: Header=BB83_50 Depth=1
	s_mov_b64 s[14:15], 0
.LBB83_53:                              ;   Parent Loop BB83_50 Depth=1
                                        ; =>  This Inner Loop Header: Depth=2
	global_load_dwordx2 v[4:5], v[8:9], off glc
	s_waitcnt vmcnt(0)
	v_cmp_ne_u16_sdwa s[16:17], v5, v3 src0_sel:BYTE_0 src1_sel:DWORD
	s_or_b64 s[14:15], s[16:17], s[14:15]
	s_andn2_b64 exec, exec, s[14:15]
	s_cbranch_execnz .LBB83_53
	s_branch .LBB83_47
.LBB83_54:
                                        ; implicit-def: $vgpr1_vgpr2_vgpr3_vgpr4_vgpr5_vgpr6_vgpr7_vgpr8_vgpr9_vgpr10_vgpr11_vgpr12_vgpr13_vgpr14_vgpr15_vgpr16
	s_load_dwordx4 s[0:3], s[4:5], 0x38
	s_cbranch_execnz .LBB83_60
	s_branch .LBB83_69
.LBB83_55:
	s_and_saveexec_b64 s[12:13], s[2:3]
	s_cbranch_execz .LBB83_57
; %bb.56:
	s_add_i32 s2, s6, 64
	s_mov_b32 s3, 0
	s_lshl_b64 s[2:3], s[2:3], 3
	s_add_u32 s2, s8, s2
	v_add_u32_e32 v1, v37, v1
	v_mov_b32_e32 v2, 2
	s_addc_u32 s3, s9, s3
	v_mov_b32_e32 v3, 0
	global_store_dwordx2 v3, v[1:2], s[2:3]
.LBB83_57:
	s_or_b64 exec, exec, s[12:13]
	s_and_b64 exec, exec, s[0:1]
; %bb.58:
	v_mov_b32_e32 v1, 0
	ds_write_b32 v1, v37
.LBB83_59:
	s_or_b64 exec, exec, s[10:11]
	v_mov_b32_e32 v1, 0
	s_waitcnt vmcnt(0) lgkmcnt(0)
	s_barrier
	ds_read_b32 v1, v1
	s_waitcnt lgkmcnt(0)
	v_add_u32_e32 v1, v1, v10
	v_add_u32_e32 v2, v1, v29
	;; [unrolled: 1-line block ×15, first 2 shown]
	s_load_dwordx4 s[0:3], s[4:5], 0x38
	s_branch .LBB83_69
.LBB83_60:
	s_load_dword s6, s[4:5], 0x48
	s_load_dword s7, s[4:5], 0x20
	s_waitcnt lgkmcnt(0)
	s_bitcmp0_b32 s6, 0
	v_mov_b32_e32 v16, s7
	s_cbranch_scc1 .LBB83_62
; %bb.61:
	v_mov_b32_e32 v1, 0
	global_load_dword v2, v1, s[30:31] offset:-4
	global_load_dword v3, v1, s[0:1]
	s_waitcnt vmcnt(0)
	v_add_u32_e32 v16, v3, v2
.LBB83_62:
	v_add3_u32 v1, v35, v26, v23
	v_add3_u32 v1, v1, v24, v21
	;; [unrolled: 1-line block ×4, first 2 shown]
	v_and_b32_e32 v2, 28, v34
	v_add3_u32 v1, v1, v18, v33
	v_lshl_add_u32 v2, v0, 2, v2
	v_cmp_gt_u32_e32 vcc, 64, v0
	ds_write_b32 v2, v1
	s_waitcnt lgkmcnt(0)
	s_barrier
	s_and_saveexec_b64 s[0:1], vcc
	s_cbranch_execz .LBB83_64
; %bb.63:
	v_lshrrev_b32_e32 v2, 1, v0
	v_and_b32_e32 v2, 0x7c, v2
	v_lshl_add_u32 v6, v0, 4, v2
	ds_read2_b32 v[2:3], v6 offset1:1
	ds_read2_b32 v[4:5], v6 offset0:2 offset1:3
	v_mbcnt_lo_u32_b32 v7, -1, 0
	v_mbcnt_hi_u32_b32 v7, -1, v7
	v_and_b32_e32 v8, 15, v7
	s_waitcnt lgkmcnt(1)
	v_add_u32_e32 v9, v3, v2
	s_waitcnt lgkmcnt(0)
	v_add3_u32 v9, v9, v4, v5
	v_cmp_ne_u32_e32 vcc, 0, v8
	s_nop 0
	v_mov_b32_dpp v10, v9 row_shr:1 row_mask:0xf bank_mask:0xf
	v_cndmask_b32_e32 v10, 0, v10, vcc
	v_add_u32_e32 v9, v10, v9
	v_cmp_lt_u32_e32 vcc, 1, v8
	s_nop 0
	v_mov_b32_dpp v10, v9 row_shr:2 row_mask:0xf bank_mask:0xf
	v_cndmask_b32_e32 v10, 0, v10, vcc
	v_add_u32_e32 v9, v9, v10
	v_cmp_lt_u32_e32 vcc, 3, v8
	;; [unrolled: 5-line block ×3, first 2 shown]
	s_nop 0
	v_mov_b32_dpp v10, v9 row_shr:8 row_mask:0xf bank_mask:0xf
	v_cndmask_b32_e32 v8, 0, v10, vcc
	v_add_u32_e32 v8, v9, v8
	v_bfe_i32 v10, v7, 4, 1
	v_cmp_lt_u32_e32 vcc, 31, v7
	v_mov_b32_dpp v9, v8 row_bcast:15 row_mask:0xf bank_mask:0xf
	v_and_b32_e32 v9, v10, v9
	v_add_u32_e32 v8, v8, v9
	v_and_b32_e32 v10, 64, v7
	s_nop 0
	v_mov_b32_dpp v9, v8 row_bcast:31 row_mask:0xf bank_mask:0xf
	v_cndmask_b32_e32 v9, 0, v9, vcc
	v_add_u32_e32 v8, v8, v9
	v_add_u32_e32 v9, -1, v7
	v_cmp_lt_i32_e32 vcc, v9, v10
	v_cndmask_b32_e32 v7, v9, v7, vcc
	v_lshlrev_b32_e32 v7, 2, v7
	ds_bpermute_b32 v7, v7, v8
	v_cmp_eq_u32_e32 vcc, 0, v0
	s_waitcnt lgkmcnt(0)
	v_add_u32_e32 v2, v7, v2
	v_cndmask_b32_e32 v1, v2, v1, vcc
	v_add_u32_e32 v2, v1, v3
	ds_write2_b32 v6, v1, v2 offset1:1
	v_add_u32_e32 v1, v2, v4
	v_add_u32_e32 v2, v1, v5
	ds_write2_b32 v6, v1, v2 offset0:2 offset1:3
.LBB83_64:
	s_or_b64 exec, exec, s[0:1]
	v_cmp_eq_u32_e32 vcc, 0, v0
	v_cmp_ne_u32_e64 s[0:1], 0, v0
	v_mov_b32_e32 v1, v16
	s_waitcnt lgkmcnt(0)
	s_barrier
	s_and_saveexec_b64 s[6:7], s[0:1]
	s_cbranch_execz .LBB83_66
; %bb.65:
	v_add_u32_e32 v1, -1, v0
	v_lshrrev_b32_e32 v2, 3, v1
	v_and_b32_e32 v2, 0x1ffffffc, v2
	v_lshl_add_u32 v1, v1, 2, v2
	ds_read_b32 v1, v1
	s_waitcnt lgkmcnt(0)
	v_add_u32_e32 v1, v1, v16
.LBB83_66:
	s_or_b64 exec, exec, s[6:7]
	v_add_u32_e32 v2, v1, v29
	v_add_u32_e32 v3, v2, v30
	;; [unrolled: 1-line block ×14, first 2 shown]
	s_and_saveexec_b64 s[0:1], vcc
	s_cbranch_execz .LBB83_68
; %bb.67:
	v_mov_b32_e32 v18, 0
	ds_read_b32 v17, v18 offset:1048
	s_waitcnt lgkmcnt(0)
	v_add_u32_e32 v16, v17, v16
	v_mov_b32_e32 v17, 2
	global_store_dwordx2 v18, v[16:17], s[8:9] offset:512
.LBB83_68:
	s_or_b64 exec, exec, s[0:1]
.LBB83_69:
	s_waitcnt lgkmcnt(0)
	s_lshl_b64 s[0:1], s[28:29], 3
	s_add_u32 s0, s24, s0
	s_addc_u32 s1, s25, s1
	s_mov_b64 s[6:7], -1
	s_and_b64 vcc, exec, s[26:27]
	v_lshlrev_b32_e32 v16, 3, v0
	s_waitcnt vmcnt(0)
	s_barrier
	s_cbranch_vccz .LBB83_71
; %bb.70:
	ds_write2_b32 v32, v1, v2 offset1:1
	ds_write2_b32 v32, v3, v4 offset0:2 offset1:3
	ds_write2_b32 v32, v5, v6 offset0:4 offset1:5
	;; [unrolled: 1-line block ×6, first 2 shown]
	ds_write_b32 v32, v15 offset:56
	s_waitcnt lgkmcnt(0)
	s_barrier
	ds_read2st64_b32 v[17:18], v31 offset1:4
	ds_read2st64_b32 v[19:20], v31 offset0:8 offset1:12
	ds_read2st64_b32 v[21:22], v31 offset0:16 offset1:20
	;; [unrolled: 1-line block ×6, first 2 shown]
	ds_read_b32 v39, v31 offset:14336
	s_waitcnt lgkmcnt(7)
	v_cvt_f64_i32_e32 v[33:34], v17
	v_cvt_f64_i32_e32 v[17:18], v18
	v_mov_b32_e32 v35, s1
	v_add_co_u32_e32 v40, vcc, s0, v16
	v_addc_co_u32_e32 v41, vcc, 0, v35, vcc
	s_movk_i32 s6, 0x1000
	global_store_dwordx2 v16, v[33:34], s[0:1]
	global_store_dwordx2 v16, v[17:18], s[0:1] offset:2048
	s_waitcnt lgkmcnt(6)
	v_cvt_f64_i32_e32 v[17:18], v19
	v_add_co_u32_e32 v33, vcc, s6, v40
	v_addc_co_u32_e32 v34, vcc, 0, v41, vcc
	s_movk_i32 s6, 0x2000
	v_cvt_f64_i32_e32 v[19:20], v20
	v_add_co_u32_e32 v35, vcc, s6, v40
	s_waitcnt lgkmcnt(5)
	v_cvt_f64_i32_e32 v[37:38], v21
	v_addc_co_u32_e32 v36, vcc, 0, v41, vcc
	v_cvt_f64_i32_e32 v[21:22], v22
	s_movk_i32 s6, 0x3000
	global_store_dwordx2 v[35:36], v[17:18], off offset:-4096
	global_store_dwordx2 v[33:34], v[19:20], off offset:2048
	global_store_dwordx2 v[35:36], v[37:38], off
	global_store_dwordx2 v[35:36], v[21:22], off offset:2048
	s_waitcnt lgkmcnt(4)
	v_cvt_f64_i32_e32 v[17:18], v23
	v_add_co_u32_e32 v19, vcc, s6, v40
	v_addc_co_u32_e32 v20, vcc, 0, v41, vcc
	s_movk_i32 s6, 0x4000
	v_cvt_f64_i32_e32 v[23:24], v24
	v_add_co_u32_e32 v21, vcc, s6, v40
	s_waitcnt lgkmcnt(3)
	v_cvt_f64_i32_e32 v[33:34], v25
	v_addc_co_u32_e32 v22, vcc, 0, v41, vcc
	v_cvt_f64_i32_e32 v[25:26], v26
	global_store_dwordx2 v[21:22], v[17:18], off offset:-4096
	global_store_dwordx2 v[19:20], v[23:24], off offset:2048
	global_store_dwordx2 v[21:22], v[33:34], off
	global_store_dwordx2 v[21:22], v[25:26], off offset:2048
	s_waitcnt lgkmcnt(2)
	v_cvt_f64_i32_e32 v[17:18], v27
	s_movk_i32 s6, 0x5000
	v_cvt_f64_i32_e32 v[21:22], v28
	v_add_co_u32_e32 v19, vcc, s6, v40
	v_addc_co_u32_e32 v20, vcc, 0, v41, vcc
	global_store_dwordx2 v[19:20], v[17:18], off
	global_store_dwordx2 v[19:20], v[21:22], off offset:2048
	s_waitcnt lgkmcnt(1)
	v_cvt_f64_i32_e32 v[17:18], v29
	v_cvt_f64_i32_e32 v[21:22], v30
	v_add_co_u32_e32 v19, vcc, 0x6000, v40
	v_addc_co_u32_e32 v20, vcc, 0, v41, vcc
	global_store_dwordx2 v[19:20], v[17:18], off
	global_store_dwordx2 v[19:20], v[21:22], off offset:2048
	s_waitcnt lgkmcnt(0)
	v_cvt_f64_i32_e32 v[17:18], v39
	v_add_co_u32_e32 v19, vcc, 0x7000, v40
	v_addc_co_u32_e32 v20, vcc, 0, v41, vcc
	global_store_dwordx2 v[19:20], v[17:18], off
	s_mov_b64 s[6:7], 0
.LBB83_71:
	s_andn2_b64 vcc, exec, s[6:7]
	s_cbranch_vccnz .LBB83_157
; %bb.72:
	ds_write2_b32 v32, v1, v2 offset1:1
	ds_write2_b32 v32, v3, v4 offset0:2 offset1:3
	ds_write2_b32 v32, v5, v6 offset0:4 offset1:5
	;; [unrolled: 1-line block ×6, first 2 shown]
	ds_write_b32 v32, v15 offset:56
	s_waitcnt vmcnt(0) lgkmcnt(0)
	s_barrier
	ds_read2st64_b32 v[4:5], v31 offset1:4
	ds_read2st64_b32 v[8:9], v31 offset0:8 offset1:12
	ds_read2st64_b32 v[6:7], v31 offset0:16 offset1:20
	;; [unrolled: 1-line block ×6, first 2 shown]
	ds_read_b32 v18, v31 offset:14336
	v_mov_b32_e32 v17, s1
	v_add_co_u32_e32 v16, vcc, s0, v16
	v_addc_co_u32_e32 v17, vcc, 0, v17, vcc
	v_mov_b32_e32 v1, 0
	v_cmp_gt_u32_e32 vcc, s23, v0
	s_and_saveexec_b64 s[0:1], vcc
	s_cbranch_execz .LBB83_74
; %bb.73:
	s_waitcnt lgkmcnt(7)
	v_cvt_f64_i32_e32 v[19:20], v4
	global_store_dwordx2 v[16:17], v[19:20], off
.LBB83_74:
	s_or_b64 exec, exec, s[0:1]
	v_or_b32_e32 v19, 0x100, v0
	v_cmp_gt_u32_e32 vcc, s23, v19
	s_and_saveexec_b64 s[0:1], vcc
	s_cbranch_execz .LBB83_76
; %bb.75:
	s_waitcnt lgkmcnt(7)
	v_cvt_f64_i32_e32 v[19:20], v5
	global_store_dwordx2 v[16:17], v[19:20], off offset:2048
.LBB83_76:
	s_or_b64 exec, exec, s[0:1]
	v_or_b32_e32 v19, 0x200, v0
	v_cmp_gt_u32_e32 vcc, s23, v19
	s_and_saveexec_b64 s[0:1], vcc
	s_cbranch_execz .LBB83_78
; %bb.77:
	s_waitcnt lgkmcnt(6)
	v_cvt_f64_i32_e32 v[19:20], v8
	v_add_co_u32_e32 v21, vcc, 0x1000, v16
	v_addc_co_u32_e32 v22, vcc, 0, v17, vcc
	global_store_dwordx2 v[21:22], v[19:20], off
.LBB83_78:
	s_or_b64 exec, exec, s[0:1]
	v_or_b32_e32 v19, 0x300, v0
	v_cmp_gt_u32_e32 vcc, s23, v19
	s_and_saveexec_b64 s[0:1], vcc
	s_cbranch_execz .LBB83_80
; %bb.79:
	s_waitcnt lgkmcnt(6)
	v_cvt_f64_i32_e32 v[19:20], v9
	v_add_co_u32_e32 v21, vcc, 0x1000, v16
	v_addc_co_u32_e32 v22, vcc, 0, v17, vcc
	global_store_dwordx2 v[21:22], v[19:20], off offset:2048
.LBB83_80:
	s_or_b64 exec, exec, s[0:1]
	v_or_b32_e32 v19, 0x400, v0
	v_cmp_gt_u32_e32 vcc, s23, v19
	s_and_saveexec_b64 s[0:1], vcc
	s_cbranch_execz .LBB83_82
; %bb.81:
	s_waitcnt lgkmcnt(5)
	v_cvt_f64_i32_e32 v[19:20], v6
	v_add_co_u32_e32 v21, vcc, 0x2000, v16
	v_addc_co_u32_e32 v22, vcc, 0, v17, vcc
	global_store_dwordx2 v[21:22], v[19:20], off
.LBB83_82:
	s_or_b64 exec, exec, s[0:1]
	v_or_b32_e32 v19, 0x500, v0
	v_cmp_gt_u32_e32 vcc, s23, v19
	s_and_saveexec_b64 s[0:1], vcc
	s_cbranch_execz .LBB83_84
; %bb.83:
	s_waitcnt lgkmcnt(5)
	v_cvt_f64_i32_e32 v[19:20], v7
	v_add_co_u32_e32 v21, vcc, 0x2000, v16
	v_addc_co_u32_e32 v22, vcc, 0, v17, vcc
	global_store_dwordx2 v[21:22], v[19:20], off offset:2048
.LBB83_84:
	;; [unrolled: 24-line block ×6, first 2 shown]
	s_or_b64 exec, exec, s[0:1]
	v_or_b32_e32 v19, 0xe00, v0
	v_cmp_gt_u32_e32 vcc, s23, v19
	s_and_saveexec_b64 s[0:1], vcc
	s_cbranch_execz .LBB83_102
; %bb.101:
	s_waitcnt lgkmcnt(0)
	v_cvt_f64_i32_e32 v[19:20], v18
	v_add_co_u32_e32 v16, vcc, 0x7000, v16
	v_addc_co_u32_e32 v17, vcc, 0, v17, vcc
	global_store_dwordx2 v[16:17], v[19:20], off
.LBB83_102:
	s_or_b64 exec, exec, s[0:1]
	s_load_dword s0, s[4:5], 0x48
	s_waitcnt lgkmcnt(0)
	s_bfe_u32 s0, s0, 0x10008
	s_cmp_eq_u32 s0, 0
	s_cbranch_scc1 .LBB83_157
; %bb.103:
	s_add_u32 s0, s23, -1
	s_addc_u32 s1, s33, -1
	s_mul_i32 s7, s1, 0x88888889
	s_mul_hi_u32 s8, s0, 0x88888889
	s_mul_hi_u32 s6, s1, 0x88888889
	s_add_u32 s7, s7, s8
	s_mul_i32 s5, s0, 0x88888888
	s_addc_u32 s6, s6, 0
	s_mul_hi_u32 s4, s0, 0x88888888
	s_add_u32 s5, s5, s7
	s_addc_u32 s4, s4, 0
	s_add_u32 s4, s6, s4
	s_addc_u32 s5, 0, 0
	s_mul_i32 s7, s1, 0x88888888
	s_mul_hi_u32 s6, s1, 0x88888888
	s_add_u32 s4, s7, s4
	s_addc_u32 s5, s6, s5
	s_lshr_b64 s[4:5], s[4:5], 3
	v_cmp_eq_u64_e32 vcc, s[4:5], v[0:1]
	s_and_saveexec_b64 s[4:5], vcc
	s_cbranch_execz .LBB83_157
; %bb.104:
	v_mul_hi_u32_u24_e32 v1, 15, v0
	v_mul_u32_u24_e32 v0, 15, v0
	v_mov_b32_e32 v16, s1
	v_sub_co_u32_e32 v0, vcc, s0, v0
	v_subb_co_u32_e32 v1, vcc, v16, v1, vcc
	v_cmp_lt_i64_e32 vcc, 7, v[0:1]
	s_and_saveexec_b64 s[0:1], vcc
	s_xor_b64 s[0:1], exec, s[0:1]
	s_cbranch_execz .LBB83_130
; %bb.105:
	v_cmp_lt_i64_e32 vcc, 10, v[0:1]
	s_and_saveexec_b64 s[4:5], vcc
	s_xor_b64 s[4:5], exec, s[4:5]
	s_cbranch_execz .LBB83_119
; %bb.106:
	;; [unrolled: 5-line block ×4, first 2 shown]
	v_mov_b32_e32 v0, 0
	global_store_dword v0, v18, s[2:3]
                                        ; implicit-def: $vgpr12_vgpr13
.LBB83_109:
	s_andn2_saveexec_b64 s[8:9], s[8:9]
	s_cbranch_execz .LBB83_111
; %bb.110:
	v_mov_b32_e32 v0, 0
	global_store_dword v0, v13, s[2:3]
.LBB83_111:
	s_or_b64 exec, exec, s[8:9]
                                        ; implicit-def: $vgpr2_vgpr3
                                        ; implicit-def: $vgpr0_vgpr1
                                        ; implicit-def: $vgpr12_vgpr13
.LBB83_112:
	s_andn2_saveexec_b64 s[6:7], s[6:7]
	s_cbranch_execz .LBB83_118
; %bb.113:
	v_cmp_lt_i64_e32 vcc, 11, v[0:1]
	s_and_saveexec_b64 s[8:9], vcc
	s_xor_b64 s[8:9], exec, s[8:9]
	s_cbranch_execz .LBB83_115
; %bb.114:
	v_mov_b32_e32 v0, 0
	global_store_dword v0, v12, s[2:3]
                                        ; implicit-def: $vgpr2_vgpr3
.LBB83_115:
	s_andn2_saveexec_b64 s[8:9], s[8:9]
	s_cbranch_execz .LBB83_117
; %bb.116:
	v_mov_b32_e32 v0, 0
	global_store_dword v0, v3, s[2:3]
.LBB83_117:
	s_or_b64 exec, exec, s[8:9]
.LBB83_118:
	s_or_b64 exec, exec, s[6:7]
                                        ; implicit-def: $vgpr10_vgpr11
                                        ; implicit-def: $vgpr0_vgpr1
                                        ; implicit-def: $vgpr2_vgpr3
.LBB83_119:
	s_andn2_saveexec_b64 s[4:5], s[4:5]
	s_cbranch_execz .LBB83_129
; %bb.120:
	v_cmp_lt_i64_e32 vcc, 8, v[0:1]
	s_and_saveexec_b64 s[6:7], vcc
	s_xor_b64 s[6:7], exec, s[6:7]
	s_cbranch_execz .LBB83_126
; %bb.121:
	v_cmp_lt_i64_e32 vcc, 9, v[0:1]
	s_and_saveexec_b64 s[8:9], vcc
	s_xor_b64 s[8:9], exec, s[8:9]
	s_cbranch_execz .LBB83_123
; %bb.122:
	v_mov_b32_e32 v0, 0
	global_store_dword v0, v2, s[2:3]
                                        ; implicit-def: $vgpr10_vgpr11
.LBB83_123:
	s_andn2_saveexec_b64 s[8:9], s[8:9]
	s_cbranch_execz .LBB83_125
; %bb.124:
	v_mov_b32_e32 v0, 0
	global_store_dword v0, v11, s[2:3]
.LBB83_125:
	s_or_b64 exec, exec, s[8:9]
                                        ; implicit-def: $vgpr10_vgpr11
.LBB83_126:
	s_andn2_saveexec_b64 s[6:7], s[6:7]
	s_cbranch_execz .LBB83_128
; %bb.127:
	v_mov_b32_e32 v0, 0
	global_store_dword v0, v10, s[2:3]
.LBB83_128:
	s_or_b64 exec, exec, s[6:7]
.LBB83_129:
	s_or_b64 exec, exec, s[4:5]
                                        ; implicit-def: $vgpr0_vgpr1
                                        ; implicit-def: $vgpr4_vgpr5
                                        ; implicit-def: $vgpr6_vgpr7
                                        ; implicit-def: $vgpr8_vgpr9
                                        ; implicit-def: $vgpr14_vgpr15
.LBB83_130:
	s_andn2_saveexec_b64 s[0:1], s[0:1]
	s_cbranch_execz .LBB83_157
; %bb.131:
	v_cmp_lt_i64_e32 vcc, 3, v[0:1]
	s_and_saveexec_b64 s[0:1], vcc
	s_xor_b64 s[0:1], exec, s[0:1]
	s_cbranch_execz .LBB83_145
; %bb.132:
	v_cmp_lt_i64_e32 vcc, 5, v[0:1]
	s_and_saveexec_b64 s[4:5], vcc
	s_xor_b64 s[4:5], exec, s[4:5]
	;; [unrolled: 5-line block ×3, first 2 shown]
	s_cbranch_execz .LBB83_135
; %bb.134:
	v_mov_b32_e32 v0, 0
	global_store_dword v0, v15, s[2:3]
                                        ; implicit-def: $vgpr14_vgpr15
.LBB83_135:
	s_andn2_saveexec_b64 s[6:7], s[6:7]
	s_cbranch_execz .LBB83_137
; %bb.136:
	v_mov_b32_e32 v0, 0
	global_store_dword v0, v14, s[2:3]
.LBB83_137:
	s_or_b64 exec, exec, s[6:7]
                                        ; implicit-def: $vgpr6_vgpr7
                                        ; implicit-def: $vgpr0_vgpr1
.LBB83_138:
	s_andn2_saveexec_b64 s[4:5], s[4:5]
	s_cbranch_execz .LBB83_144
; %bb.139:
	v_cmp_lt_i64_e32 vcc, 4, v[0:1]
	s_and_saveexec_b64 s[6:7], vcc
	s_xor_b64 s[6:7], exec, s[6:7]
	s_cbranch_execz .LBB83_141
; %bb.140:
	v_mov_b32_e32 v0, 0
	global_store_dword v0, v7, s[2:3]
                                        ; implicit-def: $vgpr6_vgpr7
.LBB83_141:
	s_andn2_saveexec_b64 s[6:7], s[6:7]
	s_cbranch_execz .LBB83_143
; %bb.142:
	v_mov_b32_e32 v0, 0
	global_store_dword v0, v6, s[2:3]
.LBB83_143:
	s_or_b64 exec, exec, s[6:7]
.LBB83_144:
	s_or_b64 exec, exec, s[4:5]
                                        ; implicit-def: $vgpr0_vgpr1
                                        ; implicit-def: $vgpr4_vgpr5
                                        ; implicit-def: $vgpr8_vgpr9
.LBB83_145:
	s_andn2_saveexec_b64 s[0:1], s[0:1]
	s_cbranch_execz .LBB83_157
; %bb.146:
	v_cmp_lt_i64_e32 vcc, 1, v[0:1]
	s_and_saveexec_b64 s[0:1], vcc
	s_xor_b64 s[0:1], exec, s[0:1]
	s_cbranch_execz .LBB83_152
; %bb.147:
	v_cmp_lt_i64_e32 vcc, 2, v[0:1]
	s_and_saveexec_b64 s[4:5], vcc
	s_xor_b64 s[4:5], exec, s[4:5]
	s_cbranch_execz .LBB83_149
; %bb.148:
	v_mov_b32_e32 v0, 0
	global_store_dword v0, v9, s[2:3]
                                        ; implicit-def: $vgpr8_vgpr9
.LBB83_149:
	s_andn2_saveexec_b64 s[4:5], s[4:5]
	s_cbranch_execz .LBB83_151
; %bb.150:
	v_mov_b32_e32 v0, 0
	global_store_dword v0, v8, s[2:3]
.LBB83_151:
	s_or_b64 exec, exec, s[4:5]
                                        ; implicit-def: $vgpr4_vgpr5
                                        ; implicit-def: $vgpr0_vgpr1
.LBB83_152:
	s_andn2_saveexec_b64 s[0:1], s[0:1]
	s_cbranch_execz .LBB83_157
; %bb.153:
	v_cmp_ne_u64_e32 vcc, 1, v[0:1]
	s_and_saveexec_b64 s[0:1], vcc
	s_xor_b64 s[0:1], exec, s[0:1]
	s_cbranch_execz .LBB83_155
; %bb.154:
	v_mov_b32_e32 v0, 0
	global_store_dword v0, v4, s[2:3]
                                        ; implicit-def: $vgpr4_vgpr5
.LBB83_155:
	s_andn2_saveexec_b64 s[0:1], s[0:1]
	s_cbranch_execz .LBB83_157
; %bb.156:
	v_mov_b32_e32 v0, 0
	global_store_dword v0, v5, s[2:3]
.LBB83_157:
	s_endpgm
	.section	.rodata,"a",@progbits
	.p2align	6, 0x0
	.amdhsa_kernel _ZN7rocprim6detail20lookback_scan_kernelILNS0_25lookback_scan_determinismE0ELb1ENS0_19wrapped_scan_configINS_14default_configEiEEN6hipcub22TransformInputIteratorIiNS6_6CastOpIiEEPilEEPdNS6_3SumEiiNS0_19lookback_scan_stateIiLb0ELb1EEEEEvT2_T3_mT5_T4_T7_jPT6_SM_bb
		.amdhsa_group_segment_fixed_size 15360
		.amdhsa_private_segment_fixed_size 0
		.amdhsa_kernarg_size 76
		.amdhsa_user_sgpr_count 6
		.amdhsa_user_sgpr_private_segment_buffer 1
		.amdhsa_user_sgpr_dispatch_ptr 0
		.amdhsa_user_sgpr_queue_ptr 0
		.amdhsa_user_sgpr_kernarg_segment_ptr 1
		.amdhsa_user_sgpr_dispatch_id 0
		.amdhsa_user_sgpr_flat_scratch_init 0
		.amdhsa_user_sgpr_private_segment_size 0
		.amdhsa_uses_dynamic_stack 0
		.amdhsa_system_sgpr_private_segment_wavefront_offset 0
		.amdhsa_system_sgpr_workgroup_id_x 1
		.amdhsa_system_sgpr_workgroup_id_y 0
		.amdhsa_system_sgpr_workgroup_id_z 0
		.amdhsa_system_sgpr_workgroup_info 0
		.amdhsa_system_vgpr_workitem_id 0
		.amdhsa_next_free_vgpr 49
		.amdhsa_next_free_sgpr 98
		.amdhsa_reserve_vcc 1
		.amdhsa_reserve_flat_scratch 0
		.amdhsa_float_round_mode_32 0
		.amdhsa_float_round_mode_16_64 0
		.amdhsa_float_denorm_mode_32 3
		.amdhsa_float_denorm_mode_16_64 3
		.amdhsa_dx10_clamp 1
		.amdhsa_ieee_mode 1
		.amdhsa_fp16_overflow 0
		.amdhsa_exception_fp_ieee_invalid_op 0
		.amdhsa_exception_fp_denorm_src 0
		.amdhsa_exception_fp_ieee_div_zero 0
		.amdhsa_exception_fp_ieee_overflow 0
		.amdhsa_exception_fp_ieee_underflow 0
		.amdhsa_exception_fp_ieee_inexact 0
		.amdhsa_exception_int_div_zero 0
	.end_amdhsa_kernel
	.section	.text._ZN7rocprim6detail20lookback_scan_kernelILNS0_25lookback_scan_determinismE0ELb1ENS0_19wrapped_scan_configINS_14default_configEiEEN6hipcub22TransformInputIteratorIiNS6_6CastOpIiEEPilEEPdNS6_3SumEiiNS0_19lookback_scan_stateIiLb0ELb1EEEEEvT2_T3_mT5_T4_T7_jPT6_SM_bb,"axG",@progbits,_ZN7rocprim6detail20lookback_scan_kernelILNS0_25lookback_scan_determinismE0ELb1ENS0_19wrapped_scan_configINS_14default_configEiEEN6hipcub22TransformInputIteratorIiNS6_6CastOpIiEEPilEEPdNS6_3SumEiiNS0_19lookback_scan_stateIiLb0ELb1EEEEEvT2_T3_mT5_T4_T7_jPT6_SM_bb,comdat
.Lfunc_end83:
	.size	_ZN7rocprim6detail20lookback_scan_kernelILNS0_25lookback_scan_determinismE0ELb1ENS0_19wrapped_scan_configINS_14default_configEiEEN6hipcub22TransformInputIteratorIiNS6_6CastOpIiEEPilEEPdNS6_3SumEiiNS0_19lookback_scan_stateIiLb0ELb1EEEEEvT2_T3_mT5_T4_T7_jPT6_SM_bb, .Lfunc_end83-_ZN7rocprim6detail20lookback_scan_kernelILNS0_25lookback_scan_determinismE0ELb1ENS0_19wrapped_scan_configINS_14default_configEiEEN6hipcub22TransformInputIteratorIiNS6_6CastOpIiEEPilEEPdNS6_3SumEiiNS0_19lookback_scan_stateIiLb0ELb1EEEEEvT2_T3_mT5_T4_T7_jPT6_SM_bb
                                        ; -- End function
	.set _ZN7rocprim6detail20lookback_scan_kernelILNS0_25lookback_scan_determinismE0ELb1ENS0_19wrapped_scan_configINS_14default_configEiEEN6hipcub22TransformInputIteratorIiNS6_6CastOpIiEEPilEEPdNS6_3SumEiiNS0_19lookback_scan_stateIiLb0ELb1EEEEEvT2_T3_mT5_T4_T7_jPT6_SM_bb.num_vgpr, 45
	.set _ZN7rocprim6detail20lookback_scan_kernelILNS0_25lookback_scan_determinismE0ELb1ENS0_19wrapped_scan_configINS_14default_configEiEEN6hipcub22TransformInputIteratorIiNS6_6CastOpIiEEPilEEPdNS6_3SumEiiNS0_19lookback_scan_stateIiLb0ELb1EEEEEvT2_T3_mT5_T4_T7_jPT6_SM_bb.num_agpr, 0
	.set _ZN7rocprim6detail20lookback_scan_kernelILNS0_25lookback_scan_determinismE0ELb1ENS0_19wrapped_scan_configINS_14default_configEiEEN6hipcub22TransformInputIteratorIiNS6_6CastOpIiEEPilEEPdNS6_3SumEiiNS0_19lookback_scan_stateIiLb0ELb1EEEEEvT2_T3_mT5_T4_T7_jPT6_SM_bb.numbered_sgpr, 34
	.set _ZN7rocprim6detail20lookback_scan_kernelILNS0_25lookback_scan_determinismE0ELb1ENS0_19wrapped_scan_configINS_14default_configEiEEN6hipcub22TransformInputIteratorIiNS6_6CastOpIiEEPilEEPdNS6_3SumEiiNS0_19lookback_scan_stateIiLb0ELb1EEEEEvT2_T3_mT5_T4_T7_jPT6_SM_bb.num_named_barrier, 0
	.set _ZN7rocprim6detail20lookback_scan_kernelILNS0_25lookback_scan_determinismE0ELb1ENS0_19wrapped_scan_configINS_14default_configEiEEN6hipcub22TransformInputIteratorIiNS6_6CastOpIiEEPilEEPdNS6_3SumEiiNS0_19lookback_scan_stateIiLb0ELb1EEEEEvT2_T3_mT5_T4_T7_jPT6_SM_bb.private_seg_size, 0
	.set _ZN7rocprim6detail20lookback_scan_kernelILNS0_25lookback_scan_determinismE0ELb1ENS0_19wrapped_scan_configINS_14default_configEiEEN6hipcub22TransformInputIteratorIiNS6_6CastOpIiEEPilEEPdNS6_3SumEiiNS0_19lookback_scan_stateIiLb0ELb1EEEEEvT2_T3_mT5_T4_T7_jPT6_SM_bb.uses_vcc, 1
	.set _ZN7rocprim6detail20lookback_scan_kernelILNS0_25lookback_scan_determinismE0ELb1ENS0_19wrapped_scan_configINS_14default_configEiEEN6hipcub22TransformInputIteratorIiNS6_6CastOpIiEEPilEEPdNS6_3SumEiiNS0_19lookback_scan_stateIiLb0ELb1EEEEEvT2_T3_mT5_T4_T7_jPT6_SM_bb.uses_flat_scratch, 0
	.set _ZN7rocprim6detail20lookback_scan_kernelILNS0_25lookback_scan_determinismE0ELb1ENS0_19wrapped_scan_configINS_14default_configEiEEN6hipcub22TransformInputIteratorIiNS6_6CastOpIiEEPilEEPdNS6_3SumEiiNS0_19lookback_scan_stateIiLb0ELb1EEEEEvT2_T3_mT5_T4_T7_jPT6_SM_bb.has_dyn_sized_stack, 0
	.set _ZN7rocprim6detail20lookback_scan_kernelILNS0_25lookback_scan_determinismE0ELb1ENS0_19wrapped_scan_configINS_14default_configEiEEN6hipcub22TransformInputIteratorIiNS6_6CastOpIiEEPilEEPdNS6_3SumEiiNS0_19lookback_scan_stateIiLb0ELb1EEEEEvT2_T3_mT5_T4_T7_jPT6_SM_bb.has_recursion, 0
	.set _ZN7rocprim6detail20lookback_scan_kernelILNS0_25lookback_scan_determinismE0ELb1ENS0_19wrapped_scan_configINS_14default_configEiEEN6hipcub22TransformInputIteratorIiNS6_6CastOpIiEEPilEEPdNS6_3SumEiiNS0_19lookback_scan_stateIiLb0ELb1EEEEEvT2_T3_mT5_T4_T7_jPT6_SM_bb.has_indirect_call, 0
	.section	.AMDGPU.csdata,"",@progbits
; Kernel info:
; codeLenInByte = 5664
; TotalNumSgprs: 38
; NumVgprs: 45
; ScratchSize: 0
; MemoryBound: 0
; FloatMode: 240
; IeeeMode: 1
; LDSByteSize: 15360 bytes/workgroup (compile time only)
; SGPRBlocks: 12
; VGPRBlocks: 12
; NumSGPRsForWavesPerEU: 102
; NumVGPRsForWavesPerEU: 49
; Occupancy: 4
; WaveLimiterHint : 1
; COMPUTE_PGM_RSRC2:SCRATCH_EN: 0
; COMPUTE_PGM_RSRC2:USER_SGPR: 6
; COMPUTE_PGM_RSRC2:TRAP_HANDLER: 0
; COMPUTE_PGM_RSRC2:TGID_X_EN: 1
; COMPUTE_PGM_RSRC2:TGID_Y_EN: 0
; COMPUTE_PGM_RSRC2:TGID_Z_EN: 0
; COMPUTE_PGM_RSRC2:TIDIG_COMP_CNT: 0
	.section	.text._ZN7rocprim6detail18single_scan_kernelILb1ENS0_19wrapped_scan_configINS_14default_configEiEEN6hipcub22TransformInputIteratorIiNS5_6CastOpIiEEPilEEPdNS5_3SumEiiEEvT1_mT4_T2_T3_,"axG",@progbits,_ZN7rocprim6detail18single_scan_kernelILb1ENS0_19wrapped_scan_configINS_14default_configEiEEN6hipcub22TransformInputIteratorIiNS5_6CastOpIiEEPilEEPdNS5_3SumEiiEEvT1_mT4_T2_T3_,comdat
	.protected	_ZN7rocprim6detail18single_scan_kernelILb1ENS0_19wrapped_scan_configINS_14default_configEiEEN6hipcub22TransformInputIteratorIiNS5_6CastOpIiEEPilEEPdNS5_3SumEiiEEvT1_mT4_T2_T3_ ; -- Begin function _ZN7rocprim6detail18single_scan_kernelILb1ENS0_19wrapped_scan_configINS_14default_configEiEEN6hipcub22TransformInputIteratorIiNS5_6CastOpIiEEPilEEPdNS5_3SumEiiEEvT1_mT4_T2_T3_
	.globl	_ZN7rocprim6detail18single_scan_kernelILb1ENS0_19wrapped_scan_configINS_14default_configEiEEN6hipcub22TransformInputIteratorIiNS5_6CastOpIiEEPilEEPdNS5_3SumEiiEEvT1_mT4_T2_T3_
	.p2align	8
	.type	_ZN7rocprim6detail18single_scan_kernelILb1ENS0_19wrapped_scan_configINS_14default_configEiEEN6hipcub22TransformInputIteratorIiNS5_6CastOpIiEEPilEEPdNS5_3SumEiiEEvT1_mT4_T2_T3_,@function
_ZN7rocprim6detail18single_scan_kernelILb1ENS0_19wrapped_scan_configINS_14default_configEiEEN6hipcub22TransformInputIteratorIiNS5_6CastOpIiEEPilEEPdNS5_3SumEiiEEvT1_mT4_T2_T3_: ; @_ZN7rocprim6detail18single_scan_kernelILb1ENS0_19wrapped_scan_configINS_14default_configEiEEN6hipcub22TransformInputIteratorIiNS5_6CastOpIiEEPilEEPdNS5_3SumEiiEEvT1_mT4_T2_T3_
; %bb.0:
	s_load_dwordx2 s[0:1], s[4:5], 0x0
	s_load_dword s33, s[4:5], 0x10
	v_lshlrev_b32_e32 v19, 2, v0
	s_waitcnt lgkmcnt(0)
	s_load_dword s8, s[0:1], 0x0
	v_mov_b32_e32 v1, s1
	v_add_co_u32_e32 v17, vcc, s0, v19
	v_addc_co_u32_e32 v18, vcc, 0, v1, vcc
	s_waitcnt lgkmcnt(0)
	s_mov_b32 s9, s8
	s_mov_b32 s10, s8
	;; [unrolled: 1-line block ×14, first 2 shown]
	v_mov_b32_e32 v1, s8
	v_cmp_gt_u32_e64 s[0:1], s33, v0
	v_mov_b32_e32 v2, s9
	v_mov_b32_e32 v3, s10
	;; [unrolled: 1-line block ×15, first 2 shown]
	s_and_saveexec_b64 s[2:3], s[0:1]
	s_cbranch_execz .LBB84_2
; %bb.1:
	global_load_dword v1, v[17:18], off
	v_mov_b32_e32 v2, s8
	v_mov_b32_e32 v3, s8
	;; [unrolled: 1-line block ×14, first 2 shown]
.LBB84_2:
	s_or_b64 exec, exec, s[2:3]
	v_or_b32_e32 v16, 0x100, v0
	v_cmp_gt_u32_e64 s[2:3], s33, v16
	s_and_saveexec_b64 s[6:7], s[2:3]
	s_cbranch_execz .LBB84_4
; %bb.3:
	global_load_dword v2, v[17:18], off offset:1024
.LBB84_4:
	s_or_b64 exec, exec, s[6:7]
	v_or_b32_e32 v16, 0x200, v0
	v_cmp_gt_u32_e64 s[6:7], s33, v16
	s_and_saveexec_b64 s[8:9], s[6:7]
	s_cbranch_execz .LBB84_6
; %bb.5:
	global_load_dword v3, v[17:18], off offset:2048
.LBB84_6:
	;; [unrolled: 8-line block ×3, first 2 shown]
	s_or_b64 exec, exec, s[10:11]
	v_or_b32_e32 v16, 0x400, v0
	v_cmp_gt_u32_e64 s[10:11], s33, v16
	s_and_saveexec_b64 s[12:13], s[10:11]
	s_cbranch_execz .LBB84_10
; %bb.9:
	v_add_co_u32_e32 v20, vcc, 0x1000, v17
	v_addc_co_u32_e32 v21, vcc, 0, v18, vcc
	global_load_dword v5, v[20:21], off
.LBB84_10:
	s_or_b64 exec, exec, s[12:13]
	v_or_b32_e32 v16, 0x500, v0
	v_cmp_gt_u32_e64 s[12:13], s33, v16
	s_and_saveexec_b64 s[14:15], s[12:13]
	s_cbranch_execz .LBB84_12
; %bb.11:
	v_add_co_u32_e32 v20, vcc, 0x1000, v17
	v_addc_co_u32_e32 v21, vcc, 0, v18, vcc
	global_load_dword v6, v[20:21], off offset:1024
.LBB84_12:
	s_or_b64 exec, exec, s[14:15]
	v_or_b32_e32 v16, 0x600, v0
	v_cmp_gt_u32_e64 s[14:15], s33, v16
	s_and_saveexec_b64 s[16:17], s[14:15]
	s_cbranch_execz .LBB84_14
; %bb.13:
	v_add_co_u32_e32 v20, vcc, 0x1000, v17
	v_addc_co_u32_e32 v21, vcc, 0, v18, vcc
	global_load_dword v7, v[20:21], off offset:2048
.LBB84_14:
	;; [unrolled: 10-line block ×3, first 2 shown]
	s_or_b64 exec, exec, s[18:19]
	v_or_b32_e32 v16, 0x800, v0
	v_cmp_gt_u32_e64 s[18:19], s33, v16
	s_and_saveexec_b64 s[20:21], s[18:19]
	s_cbranch_execz .LBB84_18
; %bb.17:
	v_add_co_u32_e32 v20, vcc, 0x2000, v17
	v_addc_co_u32_e32 v21, vcc, 0, v18, vcc
	global_load_dword v9, v[20:21], off
.LBB84_18:
	s_or_b64 exec, exec, s[20:21]
	v_or_b32_e32 v16, 0x900, v0
	v_cmp_gt_u32_e64 s[20:21], s33, v16
	s_and_saveexec_b64 s[22:23], s[20:21]
	s_cbranch_execz .LBB84_20
; %bb.19:
	v_add_co_u32_e32 v20, vcc, 0x2000, v17
	v_addc_co_u32_e32 v21, vcc, 0, v18, vcc
	global_load_dword v10, v[20:21], off offset:1024
.LBB84_20:
	s_or_b64 exec, exec, s[22:23]
	v_or_b32_e32 v16, 0xa00, v0
	v_cmp_gt_u32_e64 s[22:23], s33, v16
	s_and_saveexec_b64 s[24:25], s[22:23]
	s_cbranch_execz .LBB84_22
; %bb.21:
	v_add_co_u32_e32 v20, vcc, 0x2000, v17
	v_addc_co_u32_e32 v21, vcc, 0, v18, vcc
	global_load_dword v11, v[20:21], off offset:2048
.LBB84_22:
	;; [unrolled: 10-line block ×3, first 2 shown]
	s_or_b64 exec, exec, s[26:27]
	v_or_b32_e32 v16, 0xc00, v0
	v_cmp_gt_u32_e64 s[26:27], s33, v16
	s_and_saveexec_b64 s[28:29], s[26:27]
	s_cbranch_execz .LBB84_26
; %bb.25:
	v_add_co_u32_e32 v20, vcc, 0x3000, v17
	v_addc_co_u32_e32 v21, vcc, 0, v18, vcc
	global_load_dword v13, v[20:21], off
.LBB84_26:
	s_or_b64 exec, exec, s[28:29]
	v_or_b32_e32 v16, 0xd00, v0
	v_cmp_gt_u32_e64 s[28:29], s33, v16
	s_and_saveexec_b64 s[30:31], s[28:29]
	s_cbranch_execz .LBB84_28
; %bb.27:
	v_add_co_u32_e32 v20, vcc, 0x3000, v17
	v_addc_co_u32_e32 v21, vcc, 0, v18, vcc
	global_load_dword v14, v[20:21], off offset:1024
.LBB84_28:
	s_or_b64 exec, exec, s[30:31]
	v_or_b32_e32 v16, 0xe00, v0
	v_cmp_gt_u32_e64 s[30:31], s33, v16
	s_and_saveexec_b64 s[34:35], s[30:31]
	s_cbranch_execz .LBB84_30
; %bb.29:
	v_add_co_u32_e32 v15, vcc, 0x3000, v17
	v_addc_co_u32_e32 v16, vcc, 0, v18, vcc
	global_load_dword v15, v[15:16], off offset:2048
.LBB84_30:
	s_or_b64 exec, exec, s[34:35]
	s_waitcnt vmcnt(0)
	ds_write2st64_b32 v19, v1, v2 offset1:4
	ds_write2st64_b32 v19, v3, v4 offset0:8 offset1:12
	ds_write2st64_b32 v19, v5, v6 offset0:16 offset1:20
	;; [unrolled: 1-line block ×6, first 2 shown]
	ds_write_b32 v19, v15 offset:14336
	v_mad_u32_u24 v15, v0, 56, v19
	s_waitcnt lgkmcnt(0)
	s_barrier
	ds_read2_b32 v[13:14], v15 offset1:1
	ds_read2_b32 v[11:12], v15 offset0:2 offset1:3
	ds_read2_b32 v[9:10], v15 offset0:4 offset1:5
	ds_read2_b32 v[7:8], v15 offset0:6 offset1:7
	ds_read2_b32 v[5:6], v15 offset0:8 offset1:9
	ds_read2_b32 v[3:4], v15 offset0:10 offset1:11
	ds_read2_b32 v[1:2], v15 offset0:12 offset1:13
	ds_read_b32 v15, v15 offset:56
	s_waitcnt lgkmcnt(6)
	v_add3_u32 v16, v14, v13, v11
	s_waitcnt lgkmcnt(5)
	v_add3_u32 v16, v16, v12, v9
	;; [unrolled: 2-line block ×7, first 2 shown]
	v_lshrrev_b32_e32 v16, 3, v0
	v_and_b32_e32 v16, 28, v16
	v_add_u32_e32 v16, v19, v16
	v_cmp_gt_u32_e32 vcc, 64, v0
	s_barrier
	ds_write_b32 v16, v15
	s_waitcnt lgkmcnt(0)
	s_barrier
	s_and_saveexec_b64 s[34:35], vcc
	s_cbranch_execz .LBB84_32
; %bb.31:
	v_lshrrev_b32_e32 v16, 1, v0
	v_and_b32_e32 v16, 0x7c, v16
	v_lshl_add_u32 v18, v0, 4, v16
	ds_read2_b32 v[16:17], v18 offset1:1
	ds_read2_b32 v[20:21], v18 offset0:2 offset1:3
	v_mbcnt_lo_u32_b32 v22, -1, 0
	v_mbcnt_hi_u32_b32 v22, -1, v22
	v_and_b32_e32 v23, 15, v22
	s_waitcnt lgkmcnt(1)
	v_add_u32_e32 v24, v17, v16
	s_waitcnt lgkmcnt(0)
	v_add3_u32 v24, v24, v20, v21
	v_cmp_ne_u32_e32 vcc, 0, v23
	s_nop 0
	v_mov_b32_dpp v25, v24 row_shr:1 row_mask:0xf bank_mask:0xf
	v_cndmask_b32_e32 v25, 0, v25, vcc
	v_add_u32_e32 v24, v25, v24
	v_cmp_lt_u32_e32 vcc, 1, v23
	s_nop 0
	v_mov_b32_dpp v25, v24 row_shr:2 row_mask:0xf bank_mask:0xf
	v_cndmask_b32_e32 v25, 0, v25, vcc
	v_add_u32_e32 v24, v24, v25
	v_cmp_lt_u32_e32 vcc, 3, v23
	;; [unrolled: 5-line block ×3, first 2 shown]
	s_nop 0
	v_mov_b32_dpp v25, v24 row_shr:8 row_mask:0xf bank_mask:0xf
	v_cndmask_b32_e32 v23, 0, v25, vcc
	v_add_u32_e32 v23, v24, v23
	v_bfe_i32 v25, v22, 4, 1
	v_cmp_lt_u32_e32 vcc, 31, v22
	v_mov_b32_dpp v24, v23 row_bcast:15 row_mask:0xf bank_mask:0xf
	v_and_b32_e32 v24, v25, v24
	v_add_u32_e32 v23, v23, v24
	v_and_b32_e32 v25, 64, v22
	s_nop 0
	v_mov_b32_dpp v24, v23 row_bcast:31 row_mask:0xf bank_mask:0xf
	v_cndmask_b32_e32 v24, 0, v24, vcc
	v_add_u32_e32 v23, v23, v24
	v_add_u32_e32 v24, -1, v22
	v_cmp_lt_i32_e32 vcc, v24, v25
	v_cndmask_b32_e32 v22, v24, v22, vcc
	v_lshlrev_b32_e32 v22, 2, v22
	ds_bpermute_b32 v22, v22, v23
	v_cmp_eq_u32_e32 vcc, 0, v0
	s_waitcnt lgkmcnt(0)
	v_add_u32_e32 v16, v22, v16
	v_cndmask_b32_e32 v15, v16, v15, vcc
	v_add_u32_e32 v16, v15, v17
	ds_write2_b32 v18, v15, v16 offset1:1
	v_add_u32_e32 v15, v16, v20
	v_add_u32_e32 v16, v15, v21
	ds_write2_b32 v18, v15, v16 offset0:2 offset1:3
.LBB84_32:
	s_or_b64 exec, exec, s[34:35]
	s_load_dword s33, s[4:5], 0x18
	v_mul_u32_u24_e32 v15, 56, v0
	v_cmp_ne_u32_e32 vcc, 0, v0
	s_waitcnt lgkmcnt(0)
	s_barrier
	v_mov_b32_e32 v16, s33
	s_and_saveexec_b64 s[34:35], vcc
	s_cbranch_execz .LBB84_34
; %bb.33:
	v_add_u32_e32 v16, -1, v0
	v_lshrrev_b32_e32 v17, 3, v16
	v_and_b32_e32 v17, 0x1ffffffc, v17
	v_lshl_add_u32 v16, v16, 2, v17
	ds_read_b32 v16, v16
	s_waitcnt lgkmcnt(0)
	v_add_u32_e32 v16, s33, v16
.LBB84_34:
	s_or_b64 exec, exec, s[34:35]
	v_add_u32_e32 v13, v16, v13
	v_add_u32_e32 v14, v13, v14
	v_add_u32_e32 v11, v14, v11
	v_add_u32_e32 v12, v11, v12
	v_add_u32_e32 v9, v12, v9
	v_add_u32_e32 v10, v9, v10
	v_add_u32_e32 v7, v10, v7
	v_add_u32_e32 v8, v7, v8
	v_add_u32_e32 v5, v8, v5
	v_add_u32_e32 v6, v5, v6
	v_add_u32_e32 v3, v6, v3
	v_add_u32_e32 v4, v3, v4
	v_add_u32_e32 v1, v4, v1
	v_add_u32_e32 v2, v1, v2
	v_add_u32_e32 v15, v19, v15
	s_barrier
	ds_write2_b32 v15, v16, v13 offset1:1
	ds_write2_b32 v15, v14, v11 offset0:2 offset1:3
	ds_write2_b32 v15, v12, v9 offset0:4 offset1:5
	;; [unrolled: 1-line block ×6, first 2 shown]
	ds_write_b32 v15, v2 offset:56
	s_waitcnt lgkmcnt(0)
	s_barrier
	ds_read2st64_b32 v[14:15], v19 offset0:4 offset1:8
	ds_read2st64_b32 v[12:13], v19 offset0:12 offset1:16
	;; [unrolled: 1-line block ×7, first 2 shown]
	s_load_dwordx2 s[4:5], s[4:5], 0x20
	v_lshlrev_b32_e32 v0, 3, v0
	s_waitcnt lgkmcnt(0)
	v_mov_b32_e32 v1, s5
	v_add_co_u32_e32 v0, vcc, s4, v0
	v_addc_co_u32_e32 v1, vcc, 0, v1, vcc
	s_and_saveexec_b64 s[4:5], s[0:1]
	s_cbranch_execnz .LBB84_50
; %bb.35:
	s_or_b64 exec, exec, s[4:5]
	s_and_saveexec_b64 s[0:1], s[2:3]
	s_cbranch_execnz .LBB84_51
.LBB84_36:
	s_or_b64 exec, exec, s[0:1]
	s_and_saveexec_b64 s[0:1], s[6:7]
	s_cbranch_execnz .LBB84_52
.LBB84_37:
	s_or_b64 exec, exec, s[0:1]
	s_and_saveexec_b64 s[0:1], s[8:9]
	s_cbranch_execnz .LBB84_53
.LBB84_38:
	s_or_b64 exec, exec, s[0:1]
	s_and_saveexec_b64 s[0:1], s[10:11]
	s_cbranch_execnz .LBB84_54
.LBB84_39:
	s_or_b64 exec, exec, s[0:1]
	s_and_saveexec_b64 s[0:1], s[12:13]
	s_cbranch_execnz .LBB84_55
.LBB84_40:
	s_or_b64 exec, exec, s[0:1]
	s_and_saveexec_b64 s[0:1], s[14:15]
	s_cbranch_execnz .LBB84_56
.LBB84_41:
	s_or_b64 exec, exec, s[0:1]
	s_and_saveexec_b64 s[0:1], s[16:17]
	s_cbranch_execnz .LBB84_57
.LBB84_42:
	s_or_b64 exec, exec, s[0:1]
	s_and_saveexec_b64 s[0:1], s[18:19]
	s_cbranch_execnz .LBB84_58
.LBB84_43:
	s_or_b64 exec, exec, s[0:1]
	s_and_saveexec_b64 s[0:1], s[20:21]
	s_cbranch_execnz .LBB84_59
.LBB84_44:
	s_or_b64 exec, exec, s[0:1]
	s_and_saveexec_b64 s[0:1], s[22:23]
	s_cbranch_execnz .LBB84_60
.LBB84_45:
	s_or_b64 exec, exec, s[0:1]
	s_and_saveexec_b64 s[0:1], s[24:25]
	s_cbranch_execnz .LBB84_61
.LBB84_46:
	s_or_b64 exec, exec, s[0:1]
	s_and_saveexec_b64 s[0:1], s[26:27]
	s_cbranch_execnz .LBB84_62
.LBB84_47:
	s_or_b64 exec, exec, s[0:1]
	s_and_saveexec_b64 s[0:1], s[28:29]
	s_cbranch_execnz .LBB84_63
.LBB84_48:
	s_or_b64 exec, exec, s[0:1]
	s_and_saveexec_b64 s[0:1], s[30:31]
	s_cbranch_execnz .LBB84_64
.LBB84_49:
	s_endpgm
.LBB84_50:
	ds_read_b32 v16, v19
	s_waitcnt lgkmcnt(0)
	v_cvt_f64_i32_e32 v[16:17], v16
	global_store_dwordx2 v[0:1], v[16:17], off
	s_or_b64 exec, exec, s[4:5]
	s_and_saveexec_b64 s[0:1], s[2:3]
	s_cbranch_execz .LBB84_36
.LBB84_51:
	v_cvt_f64_i32_e32 v[16:17], v14
	global_store_dwordx2 v[0:1], v[16:17], off offset:2048
	s_or_b64 exec, exec, s[0:1]
	s_and_saveexec_b64 s[0:1], s[6:7]
	s_cbranch_execz .LBB84_37
.LBB84_52:
	v_cvt_f64_i32_e32 v[14:15], v15
	v_add_co_u32_e32 v16, vcc, 0x1000, v0
	v_addc_co_u32_e32 v17, vcc, 0, v1, vcc
	global_store_dwordx2 v[16:17], v[14:15], off
	s_or_b64 exec, exec, s[0:1]
	s_and_saveexec_b64 s[0:1], s[8:9]
	s_cbranch_execz .LBB84_38
.LBB84_53:
	v_cvt_f64_i32_e32 v[14:15], v12
	v_add_co_u32_e32 v16, vcc, 0x1000, v0
	v_addc_co_u32_e32 v17, vcc, 0, v1, vcc
	global_store_dwordx2 v[16:17], v[14:15], off offset:2048
	s_or_b64 exec, exec, s[0:1]
	s_and_saveexec_b64 s[0:1], s[10:11]
	s_cbranch_execz .LBB84_39
.LBB84_54:
	v_cvt_f64_i32_e32 v[12:13], v13
	v_add_co_u32_e32 v14, vcc, 0x2000, v0
	v_addc_co_u32_e32 v15, vcc, 0, v1, vcc
	global_store_dwordx2 v[14:15], v[12:13], off
	s_or_b64 exec, exec, s[0:1]
	s_and_saveexec_b64 s[0:1], s[12:13]
	s_cbranch_execz .LBB84_40
.LBB84_55:
	v_cvt_f64_i32_e32 v[12:13], v10
	v_add_co_u32_e32 v14, vcc, 0x2000, v0
	v_addc_co_u32_e32 v15, vcc, 0, v1, vcc
	global_store_dwordx2 v[14:15], v[12:13], off offset:2048
	s_or_b64 exec, exec, s[0:1]
	s_and_saveexec_b64 s[0:1], s[14:15]
	s_cbranch_execz .LBB84_41
.LBB84_56:
	v_cvt_f64_i32_e32 v[10:11], v11
	v_add_co_u32_e32 v12, vcc, 0x3000, v0
	v_addc_co_u32_e32 v13, vcc, 0, v1, vcc
	global_store_dwordx2 v[12:13], v[10:11], off
	s_or_b64 exec, exec, s[0:1]
	s_and_saveexec_b64 s[0:1], s[16:17]
	s_cbranch_execz .LBB84_42
.LBB84_57:
	v_cvt_f64_i32_e32 v[10:11], v8
	v_add_co_u32_e32 v12, vcc, 0x3000, v0
	v_addc_co_u32_e32 v13, vcc, 0, v1, vcc
	global_store_dwordx2 v[12:13], v[10:11], off offset:2048
	s_or_b64 exec, exec, s[0:1]
	s_and_saveexec_b64 s[0:1], s[18:19]
	s_cbranch_execz .LBB84_43
.LBB84_58:
	v_cvt_f64_i32_e32 v[8:9], v9
	v_add_co_u32_e32 v10, vcc, 0x4000, v0
	v_addc_co_u32_e32 v11, vcc, 0, v1, vcc
	global_store_dwordx2 v[10:11], v[8:9], off
	s_or_b64 exec, exec, s[0:1]
	s_and_saveexec_b64 s[0:1], s[20:21]
	s_cbranch_execz .LBB84_44
.LBB84_59:
	v_cvt_f64_i32_e32 v[8:9], v6
	v_add_co_u32_e32 v10, vcc, 0x4000, v0
	v_addc_co_u32_e32 v11, vcc, 0, v1, vcc
	global_store_dwordx2 v[10:11], v[8:9], off offset:2048
	s_or_b64 exec, exec, s[0:1]
	s_and_saveexec_b64 s[0:1], s[22:23]
	s_cbranch_execz .LBB84_45
.LBB84_60:
	v_cvt_f64_i32_e32 v[6:7], v7
	v_add_co_u32_e32 v8, vcc, 0x5000, v0
	v_addc_co_u32_e32 v9, vcc, 0, v1, vcc
	global_store_dwordx2 v[8:9], v[6:7], off
	s_or_b64 exec, exec, s[0:1]
	s_and_saveexec_b64 s[0:1], s[24:25]
	s_cbranch_execz .LBB84_46
.LBB84_61:
	v_cvt_f64_i32_e32 v[6:7], v4
	v_add_co_u32_e32 v8, vcc, 0x5000, v0
	v_addc_co_u32_e32 v9, vcc, 0, v1, vcc
	global_store_dwordx2 v[8:9], v[6:7], off offset:2048
	s_or_b64 exec, exec, s[0:1]
	s_and_saveexec_b64 s[0:1], s[26:27]
	s_cbranch_execz .LBB84_47
.LBB84_62:
	v_cvt_f64_i32_e32 v[4:5], v5
	v_add_co_u32_e32 v6, vcc, 0x6000, v0
	v_addc_co_u32_e32 v7, vcc, 0, v1, vcc
	global_store_dwordx2 v[6:7], v[4:5], off
	s_or_b64 exec, exec, s[0:1]
	s_and_saveexec_b64 s[0:1], s[28:29]
	s_cbranch_execz .LBB84_48
.LBB84_63:
	v_cvt_f64_i32_e32 v[4:5], v2
	v_add_co_u32_e32 v6, vcc, 0x6000, v0
	v_addc_co_u32_e32 v7, vcc, 0, v1, vcc
	global_store_dwordx2 v[6:7], v[4:5], off offset:2048
	s_or_b64 exec, exec, s[0:1]
	s_and_saveexec_b64 s[0:1], s[30:31]
	s_cbranch_execz .LBB84_49
.LBB84_64:
	v_cvt_f64_i32_e32 v[2:3], v3
	v_add_co_u32_e32 v0, vcc, 0x7000, v0
	v_addc_co_u32_e32 v1, vcc, 0, v1, vcc
	global_store_dwordx2 v[0:1], v[2:3], off
	s_endpgm
	.section	.rodata,"a",@progbits
	.p2align	6, 0x0
	.amdhsa_kernel _ZN7rocprim6detail18single_scan_kernelILb1ENS0_19wrapped_scan_configINS_14default_configEiEEN6hipcub22TransformInputIteratorIiNS5_6CastOpIiEEPilEEPdNS5_3SumEiiEEvT1_mT4_T2_T3_
		.amdhsa_group_segment_fixed_size 15360
		.amdhsa_private_segment_fixed_size 0
		.amdhsa_kernarg_size 44
		.amdhsa_user_sgpr_count 6
		.amdhsa_user_sgpr_private_segment_buffer 1
		.amdhsa_user_sgpr_dispatch_ptr 0
		.amdhsa_user_sgpr_queue_ptr 0
		.amdhsa_user_sgpr_kernarg_segment_ptr 1
		.amdhsa_user_sgpr_dispatch_id 0
		.amdhsa_user_sgpr_flat_scratch_init 0
		.amdhsa_user_sgpr_private_segment_size 0
		.amdhsa_uses_dynamic_stack 0
		.amdhsa_system_sgpr_private_segment_wavefront_offset 0
		.amdhsa_system_sgpr_workgroup_id_x 1
		.amdhsa_system_sgpr_workgroup_id_y 0
		.amdhsa_system_sgpr_workgroup_id_z 0
		.amdhsa_system_sgpr_workgroup_info 0
		.amdhsa_system_vgpr_workitem_id 0
		.amdhsa_next_free_vgpr 49
		.amdhsa_next_free_sgpr 98
		.amdhsa_reserve_vcc 1
		.amdhsa_reserve_flat_scratch 0
		.amdhsa_float_round_mode_32 0
		.amdhsa_float_round_mode_16_64 0
		.amdhsa_float_denorm_mode_32 3
		.amdhsa_float_denorm_mode_16_64 3
		.amdhsa_dx10_clamp 1
		.amdhsa_ieee_mode 1
		.amdhsa_fp16_overflow 0
		.amdhsa_exception_fp_ieee_invalid_op 0
		.amdhsa_exception_fp_denorm_src 0
		.amdhsa_exception_fp_ieee_div_zero 0
		.amdhsa_exception_fp_ieee_overflow 0
		.amdhsa_exception_fp_ieee_underflow 0
		.amdhsa_exception_fp_ieee_inexact 0
		.amdhsa_exception_int_div_zero 0
	.end_amdhsa_kernel
	.section	.text._ZN7rocprim6detail18single_scan_kernelILb1ENS0_19wrapped_scan_configINS_14default_configEiEEN6hipcub22TransformInputIteratorIiNS5_6CastOpIiEEPilEEPdNS5_3SumEiiEEvT1_mT4_T2_T3_,"axG",@progbits,_ZN7rocprim6detail18single_scan_kernelILb1ENS0_19wrapped_scan_configINS_14default_configEiEEN6hipcub22TransformInputIteratorIiNS5_6CastOpIiEEPilEEPdNS5_3SumEiiEEvT1_mT4_T2_T3_,comdat
.Lfunc_end84:
	.size	_ZN7rocprim6detail18single_scan_kernelILb1ENS0_19wrapped_scan_configINS_14default_configEiEEN6hipcub22TransformInputIteratorIiNS5_6CastOpIiEEPilEEPdNS5_3SumEiiEEvT1_mT4_T2_T3_, .Lfunc_end84-_ZN7rocprim6detail18single_scan_kernelILb1ENS0_19wrapped_scan_configINS_14default_configEiEEN6hipcub22TransformInputIteratorIiNS5_6CastOpIiEEPilEEPdNS5_3SumEiiEEvT1_mT4_T2_T3_
                                        ; -- End function
	.set _ZN7rocprim6detail18single_scan_kernelILb1ENS0_19wrapped_scan_configINS_14default_configEiEEN6hipcub22TransformInputIteratorIiNS5_6CastOpIiEEPilEEPdNS5_3SumEiiEEvT1_mT4_T2_T3_.num_vgpr, 26
	.set _ZN7rocprim6detail18single_scan_kernelILb1ENS0_19wrapped_scan_configINS_14default_configEiEEN6hipcub22TransformInputIteratorIiNS5_6CastOpIiEEPilEEPdNS5_3SumEiiEEvT1_mT4_T2_T3_.num_agpr, 0
	.set _ZN7rocprim6detail18single_scan_kernelILb1ENS0_19wrapped_scan_configINS_14default_configEiEEN6hipcub22TransformInputIteratorIiNS5_6CastOpIiEEPilEEPdNS5_3SumEiiEEvT1_mT4_T2_T3_.numbered_sgpr, 36
	.set _ZN7rocprim6detail18single_scan_kernelILb1ENS0_19wrapped_scan_configINS_14default_configEiEEN6hipcub22TransformInputIteratorIiNS5_6CastOpIiEEPilEEPdNS5_3SumEiiEEvT1_mT4_T2_T3_.num_named_barrier, 0
	.set _ZN7rocprim6detail18single_scan_kernelILb1ENS0_19wrapped_scan_configINS_14default_configEiEEN6hipcub22TransformInputIteratorIiNS5_6CastOpIiEEPilEEPdNS5_3SumEiiEEvT1_mT4_T2_T3_.private_seg_size, 0
	.set _ZN7rocprim6detail18single_scan_kernelILb1ENS0_19wrapped_scan_configINS_14default_configEiEEN6hipcub22TransformInputIteratorIiNS5_6CastOpIiEEPilEEPdNS5_3SumEiiEEvT1_mT4_T2_T3_.uses_vcc, 1
	.set _ZN7rocprim6detail18single_scan_kernelILb1ENS0_19wrapped_scan_configINS_14default_configEiEEN6hipcub22TransformInputIteratorIiNS5_6CastOpIiEEPilEEPdNS5_3SumEiiEEvT1_mT4_T2_T3_.uses_flat_scratch, 0
	.set _ZN7rocprim6detail18single_scan_kernelILb1ENS0_19wrapped_scan_configINS_14default_configEiEEN6hipcub22TransformInputIteratorIiNS5_6CastOpIiEEPilEEPdNS5_3SumEiiEEvT1_mT4_T2_T3_.has_dyn_sized_stack, 0
	.set _ZN7rocprim6detail18single_scan_kernelILb1ENS0_19wrapped_scan_configINS_14default_configEiEEN6hipcub22TransformInputIteratorIiNS5_6CastOpIiEEPilEEPdNS5_3SumEiiEEvT1_mT4_T2_T3_.has_recursion, 0
	.set _ZN7rocprim6detail18single_scan_kernelILb1ENS0_19wrapped_scan_configINS_14default_configEiEEN6hipcub22TransformInputIteratorIiNS5_6CastOpIiEEPilEEPdNS5_3SumEiiEEvT1_mT4_T2_T3_.has_indirect_call, 0
	.section	.AMDGPU.csdata,"",@progbits
; Kernel info:
; codeLenInByte = 2460
; TotalNumSgprs: 40
; NumVgprs: 26
; ScratchSize: 0
; MemoryBound: 0
; FloatMode: 240
; IeeeMode: 1
; LDSByteSize: 15360 bytes/workgroup (compile time only)
; SGPRBlocks: 12
; VGPRBlocks: 12
; NumSGPRsForWavesPerEU: 102
; NumVGPRsForWavesPerEU: 49
; Occupancy: 4
; WaveLimiterHint : 0
; COMPUTE_PGM_RSRC2:SCRATCH_EN: 0
; COMPUTE_PGM_RSRC2:USER_SGPR: 6
; COMPUTE_PGM_RSRC2:TRAP_HANDLER: 0
; COMPUTE_PGM_RSRC2:TGID_X_EN: 1
; COMPUTE_PGM_RSRC2:TGID_Y_EN: 0
; COMPUTE_PGM_RSRC2:TGID_Z_EN: 0
; COMPUTE_PGM_RSRC2:TIDIG_COMP_CNT: 0
	.section	.text._ZN7rocprim6detail20lookback_scan_kernelILNS0_25lookback_scan_determinismE0ELb1ENS0_19wrapped_scan_configINS_14default_configEsEEN6hipcub22TransformInputIteratorIsNS6_6CastOpIsEEPslEEPfNS6_3MaxEssNS0_19lookback_scan_stateIsLb1ELb1EEEEEvT2_T3_mT5_T4_T7_jPT6_SM_bb,"axG",@progbits,_ZN7rocprim6detail20lookback_scan_kernelILNS0_25lookback_scan_determinismE0ELb1ENS0_19wrapped_scan_configINS_14default_configEsEEN6hipcub22TransformInputIteratorIsNS6_6CastOpIsEEPslEEPfNS6_3MaxEssNS0_19lookback_scan_stateIsLb1ELb1EEEEEvT2_T3_mT5_T4_T7_jPT6_SM_bb,comdat
	.protected	_ZN7rocprim6detail20lookback_scan_kernelILNS0_25lookback_scan_determinismE0ELb1ENS0_19wrapped_scan_configINS_14default_configEsEEN6hipcub22TransformInputIteratorIsNS6_6CastOpIsEEPslEEPfNS6_3MaxEssNS0_19lookback_scan_stateIsLb1ELb1EEEEEvT2_T3_mT5_T4_T7_jPT6_SM_bb ; -- Begin function _ZN7rocprim6detail20lookback_scan_kernelILNS0_25lookback_scan_determinismE0ELb1ENS0_19wrapped_scan_configINS_14default_configEsEEN6hipcub22TransformInputIteratorIsNS6_6CastOpIsEEPslEEPfNS6_3MaxEssNS0_19lookback_scan_stateIsLb1ELb1EEEEEvT2_T3_mT5_T4_T7_jPT6_SM_bb
	.globl	_ZN7rocprim6detail20lookback_scan_kernelILNS0_25lookback_scan_determinismE0ELb1ENS0_19wrapped_scan_configINS_14default_configEsEEN6hipcub22TransformInputIteratorIsNS6_6CastOpIsEEPslEEPfNS6_3MaxEssNS0_19lookback_scan_stateIsLb1ELb1EEEEEvT2_T3_mT5_T4_T7_jPT6_SM_bb
	.p2align	8
	.type	_ZN7rocprim6detail20lookback_scan_kernelILNS0_25lookback_scan_determinismE0ELb1ENS0_19wrapped_scan_configINS_14default_configEsEEN6hipcub22TransformInputIteratorIsNS6_6CastOpIsEEPslEEPfNS6_3MaxEssNS0_19lookback_scan_stateIsLb1ELb1EEEEEvT2_T3_mT5_T4_T7_jPT6_SM_bb,@function
_ZN7rocprim6detail20lookback_scan_kernelILNS0_25lookback_scan_determinismE0ELb1ENS0_19wrapped_scan_configINS_14default_configEsEEN6hipcub22TransformInputIteratorIsNS6_6CastOpIsEEPslEEPfNS6_3MaxEssNS0_19lookback_scan_stateIsLb1ELb1EEEEEvT2_T3_mT5_T4_T7_jPT6_SM_bb: ; @_ZN7rocprim6detail20lookback_scan_kernelILNS0_25lookback_scan_determinismE0ELb1ENS0_19wrapped_scan_configINS_14default_configEsEEN6hipcub22TransformInputIteratorIsNS6_6CastOpIsEEPslEEPfNS6_3MaxEssNS0_19lookback_scan_stateIsLb1ELb1EEEEEvT2_T3_mT5_T4_T7_jPT6_SM_bb
; %bb.0:
	s_endpgm
	.section	.rodata,"a",@progbits
	.p2align	6, 0x0
	.amdhsa_kernel _ZN7rocprim6detail20lookback_scan_kernelILNS0_25lookback_scan_determinismE0ELb1ENS0_19wrapped_scan_configINS_14default_configEsEEN6hipcub22TransformInputIteratorIsNS6_6CastOpIsEEPslEEPfNS6_3MaxEssNS0_19lookback_scan_stateIsLb1ELb1EEEEEvT2_T3_mT5_T4_T7_jPT6_SM_bb
		.amdhsa_group_segment_fixed_size 0
		.amdhsa_private_segment_fixed_size 0
		.amdhsa_kernarg_size 76
		.amdhsa_user_sgpr_count 6
		.amdhsa_user_sgpr_private_segment_buffer 1
		.amdhsa_user_sgpr_dispatch_ptr 0
		.amdhsa_user_sgpr_queue_ptr 0
		.amdhsa_user_sgpr_kernarg_segment_ptr 1
		.amdhsa_user_sgpr_dispatch_id 0
		.amdhsa_user_sgpr_flat_scratch_init 0
		.amdhsa_user_sgpr_private_segment_size 0
		.amdhsa_uses_dynamic_stack 0
		.amdhsa_system_sgpr_private_segment_wavefront_offset 0
		.amdhsa_system_sgpr_workgroup_id_x 1
		.amdhsa_system_sgpr_workgroup_id_y 0
		.amdhsa_system_sgpr_workgroup_id_z 0
		.amdhsa_system_sgpr_workgroup_info 0
		.amdhsa_system_vgpr_workitem_id 0
		.amdhsa_next_free_vgpr 1
		.amdhsa_next_free_sgpr 0
		.amdhsa_reserve_vcc 0
		.amdhsa_reserve_flat_scratch 0
		.amdhsa_float_round_mode_32 0
		.amdhsa_float_round_mode_16_64 0
		.amdhsa_float_denorm_mode_32 3
		.amdhsa_float_denorm_mode_16_64 3
		.amdhsa_dx10_clamp 1
		.amdhsa_ieee_mode 1
		.amdhsa_fp16_overflow 0
		.amdhsa_exception_fp_ieee_invalid_op 0
		.amdhsa_exception_fp_denorm_src 0
		.amdhsa_exception_fp_ieee_div_zero 0
		.amdhsa_exception_fp_ieee_overflow 0
		.amdhsa_exception_fp_ieee_underflow 0
		.amdhsa_exception_fp_ieee_inexact 0
		.amdhsa_exception_int_div_zero 0
	.end_amdhsa_kernel
	.section	.text._ZN7rocprim6detail20lookback_scan_kernelILNS0_25lookback_scan_determinismE0ELb1ENS0_19wrapped_scan_configINS_14default_configEsEEN6hipcub22TransformInputIteratorIsNS6_6CastOpIsEEPslEEPfNS6_3MaxEssNS0_19lookback_scan_stateIsLb1ELb1EEEEEvT2_T3_mT5_T4_T7_jPT6_SM_bb,"axG",@progbits,_ZN7rocprim6detail20lookback_scan_kernelILNS0_25lookback_scan_determinismE0ELb1ENS0_19wrapped_scan_configINS_14default_configEsEEN6hipcub22TransformInputIteratorIsNS6_6CastOpIsEEPslEEPfNS6_3MaxEssNS0_19lookback_scan_stateIsLb1ELb1EEEEEvT2_T3_mT5_T4_T7_jPT6_SM_bb,comdat
.Lfunc_end85:
	.size	_ZN7rocprim6detail20lookback_scan_kernelILNS0_25lookback_scan_determinismE0ELb1ENS0_19wrapped_scan_configINS_14default_configEsEEN6hipcub22TransformInputIteratorIsNS6_6CastOpIsEEPslEEPfNS6_3MaxEssNS0_19lookback_scan_stateIsLb1ELb1EEEEEvT2_T3_mT5_T4_T7_jPT6_SM_bb, .Lfunc_end85-_ZN7rocprim6detail20lookback_scan_kernelILNS0_25lookback_scan_determinismE0ELb1ENS0_19wrapped_scan_configINS_14default_configEsEEN6hipcub22TransformInputIteratorIsNS6_6CastOpIsEEPslEEPfNS6_3MaxEssNS0_19lookback_scan_stateIsLb1ELb1EEEEEvT2_T3_mT5_T4_T7_jPT6_SM_bb
                                        ; -- End function
	.set _ZN7rocprim6detail20lookback_scan_kernelILNS0_25lookback_scan_determinismE0ELb1ENS0_19wrapped_scan_configINS_14default_configEsEEN6hipcub22TransformInputIteratorIsNS6_6CastOpIsEEPslEEPfNS6_3MaxEssNS0_19lookback_scan_stateIsLb1ELb1EEEEEvT2_T3_mT5_T4_T7_jPT6_SM_bb.num_vgpr, 0
	.set _ZN7rocprim6detail20lookback_scan_kernelILNS0_25lookback_scan_determinismE0ELb1ENS0_19wrapped_scan_configINS_14default_configEsEEN6hipcub22TransformInputIteratorIsNS6_6CastOpIsEEPslEEPfNS6_3MaxEssNS0_19lookback_scan_stateIsLb1ELb1EEEEEvT2_T3_mT5_T4_T7_jPT6_SM_bb.num_agpr, 0
	.set _ZN7rocprim6detail20lookback_scan_kernelILNS0_25lookback_scan_determinismE0ELb1ENS0_19wrapped_scan_configINS_14default_configEsEEN6hipcub22TransformInputIteratorIsNS6_6CastOpIsEEPslEEPfNS6_3MaxEssNS0_19lookback_scan_stateIsLb1ELb1EEEEEvT2_T3_mT5_T4_T7_jPT6_SM_bb.numbered_sgpr, 0
	.set _ZN7rocprim6detail20lookback_scan_kernelILNS0_25lookback_scan_determinismE0ELb1ENS0_19wrapped_scan_configINS_14default_configEsEEN6hipcub22TransformInputIteratorIsNS6_6CastOpIsEEPslEEPfNS6_3MaxEssNS0_19lookback_scan_stateIsLb1ELb1EEEEEvT2_T3_mT5_T4_T7_jPT6_SM_bb.num_named_barrier, 0
	.set _ZN7rocprim6detail20lookback_scan_kernelILNS0_25lookback_scan_determinismE0ELb1ENS0_19wrapped_scan_configINS_14default_configEsEEN6hipcub22TransformInputIteratorIsNS6_6CastOpIsEEPslEEPfNS6_3MaxEssNS0_19lookback_scan_stateIsLb1ELb1EEEEEvT2_T3_mT5_T4_T7_jPT6_SM_bb.private_seg_size, 0
	.set _ZN7rocprim6detail20lookback_scan_kernelILNS0_25lookback_scan_determinismE0ELb1ENS0_19wrapped_scan_configINS_14default_configEsEEN6hipcub22TransformInputIteratorIsNS6_6CastOpIsEEPslEEPfNS6_3MaxEssNS0_19lookback_scan_stateIsLb1ELb1EEEEEvT2_T3_mT5_T4_T7_jPT6_SM_bb.uses_vcc, 0
	.set _ZN7rocprim6detail20lookback_scan_kernelILNS0_25lookback_scan_determinismE0ELb1ENS0_19wrapped_scan_configINS_14default_configEsEEN6hipcub22TransformInputIteratorIsNS6_6CastOpIsEEPslEEPfNS6_3MaxEssNS0_19lookback_scan_stateIsLb1ELb1EEEEEvT2_T3_mT5_T4_T7_jPT6_SM_bb.uses_flat_scratch, 0
	.set _ZN7rocprim6detail20lookback_scan_kernelILNS0_25lookback_scan_determinismE0ELb1ENS0_19wrapped_scan_configINS_14default_configEsEEN6hipcub22TransformInputIteratorIsNS6_6CastOpIsEEPslEEPfNS6_3MaxEssNS0_19lookback_scan_stateIsLb1ELb1EEEEEvT2_T3_mT5_T4_T7_jPT6_SM_bb.has_dyn_sized_stack, 0
	.set _ZN7rocprim6detail20lookback_scan_kernelILNS0_25lookback_scan_determinismE0ELb1ENS0_19wrapped_scan_configINS_14default_configEsEEN6hipcub22TransformInputIteratorIsNS6_6CastOpIsEEPslEEPfNS6_3MaxEssNS0_19lookback_scan_stateIsLb1ELb1EEEEEvT2_T3_mT5_T4_T7_jPT6_SM_bb.has_recursion, 0
	.set _ZN7rocprim6detail20lookback_scan_kernelILNS0_25lookback_scan_determinismE0ELb1ENS0_19wrapped_scan_configINS_14default_configEsEEN6hipcub22TransformInputIteratorIsNS6_6CastOpIsEEPslEEPfNS6_3MaxEssNS0_19lookback_scan_stateIsLb1ELb1EEEEEvT2_T3_mT5_T4_T7_jPT6_SM_bb.has_indirect_call, 0
	.section	.AMDGPU.csdata,"",@progbits
; Kernel info:
; codeLenInByte = 4
; TotalNumSgprs: 4
; NumVgprs: 0
; ScratchSize: 0
; MemoryBound: 0
; FloatMode: 240
; IeeeMode: 1
; LDSByteSize: 0 bytes/workgroup (compile time only)
; SGPRBlocks: 0
; VGPRBlocks: 0
; NumSGPRsForWavesPerEU: 4
; NumVGPRsForWavesPerEU: 1
; Occupancy: 10
; WaveLimiterHint : 0
; COMPUTE_PGM_RSRC2:SCRATCH_EN: 0
; COMPUTE_PGM_RSRC2:USER_SGPR: 6
; COMPUTE_PGM_RSRC2:TRAP_HANDLER: 0
; COMPUTE_PGM_RSRC2:TGID_X_EN: 1
; COMPUTE_PGM_RSRC2:TGID_Y_EN: 0
; COMPUTE_PGM_RSRC2:TGID_Z_EN: 0
; COMPUTE_PGM_RSRC2:TIDIG_COMP_CNT: 0
	.section	.text._ZN7rocprim6detail20lookback_scan_kernelILNS0_25lookback_scan_determinismE0ELb1ENS0_19wrapped_scan_configINS_14default_configEsEEN6hipcub22TransformInputIteratorIsNS6_6CastOpIsEEPslEEPfNS6_3MaxEssNS0_19lookback_scan_stateIsLb0ELb1EEEEEvT2_T3_mT5_T4_T7_jPT6_SM_bb,"axG",@progbits,_ZN7rocprim6detail20lookback_scan_kernelILNS0_25lookback_scan_determinismE0ELb1ENS0_19wrapped_scan_configINS_14default_configEsEEN6hipcub22TransformInputIteratorIsNS6_6CastOpIsEEPslEEPfNS6_3MaxEssNS0_19lookback_scan_stateIsLb0ELb1EEEEEvT2_T3_mT5_T4_T7_jPT6_SM_bb,comdat
	.protected	_ZN7rocprim6detail20lookback_scan_kernelILNS0_25lookback_scan_determinismE0ELb1ENS0_19wrapped_scan_configINS_14default_configEsEEN6hipcub22TransformInputIteratorIsNS6_6CastOpIsEEPslEEPfNS6_3MaxEssNS0_19lookback_scan_stateIsLb0ELb1EEEEEvT2_T3_mT5_T4_T7_jPT6_SM_bb ; -- Begin function _ZN7rocprim6detail20lookback_scan_kernelILNS0_25lookback_scan_determinismE0ELb1ENS0_19wrapped_scan_configINS_14default_configEsEEN6hipcub22TransformInputIteratorIsNS6_6CastOpIsEEPslEEPfNS6_3MaxEssNS0_19lookback_scan_stateIsLb0ELb1EEEEEvT2_T3_mT5_T4_T7_jPT6_SM_bb
	.globl	_ZN7rocprim6detail20lookback_scan_kernelILNS0_25lookback_scan_determinismE0ELb1ENS0_19wrapped_scan_configINS_14default_configEsEEN6hipcub22TransformInputIteratorIsNS6_6CastOpIsEEPslEEPfNS6_3MaxEssNS0_19lookback_scan_stateIsLb0ELb1EEEEEvT2_T3_mT5_T4_T7_jPT6_SM_bb
	.p2align	8
	.type	_ZN7rocprim6detail20lookback_scan_kernelILNS0_25lookback_scan_determinismE0ELb1ENS0_19wrapped_scan_configINS_14default_configEsEEN6hipcub22TransformInputIteratorIsNS6_6CastOpIsEEPslEEPfNS6_3MaxEssNS0_19lookback_scan_stateIsLb0ELb1EEEEEvT2_T3_mT5_T4_T7_jPT6_SM_bb,@function
_ZN7rocprim6detail20lookback_scan_kernelILNS0_25lookback_scan_determinismE0ELb1ENS0_19wrapped_scan_configINS_14default_configEsEEN6hipcub22TransformInputIteratorIsNS6_6CastOpIsEEPslEEPfNS6_3MaxEssNS0_19lookback_scan_stateIsLb0ELb1EEEEEvT2_T3_mT5_T4_T7_jPT6_SM_bb: ; @_ZN7rocprim6detail20lookback_scan_kernelILNS0_25lookback_scan_determinismE0ELb1ENS0_19wrapped_scan_configINS_14default_configEsEEN6hipcub22TransformInputIteratorIsNS6_6CastOpIsEEPslEEPfNS6_3MaxEssNS0_19lookback_scan_stateIsLb0ELb1EEEEEvT2_T3_mT5_T4_T7_jPT6_SM_bb
; %bb.0:
	s_load_dword s0, s[4:5], 0x30
	s_load_dwordx2 s[16:17], s[4:5], 0x0
	s_load_dwordx4 s[12:15], s[4:5], 0x10
	s_mul_i32 s10, s6, 0x1800
	s_mov_b32 s11, 0
	s_waitcnt lgkmcnt(0)
	s_add_i32 s0, s0, -1
	s_mul_i32 s1, s0, 0x1800
	s_sub_u32 s24, s14, s1
	s_subb_u32 s25, s15, 0
	s_cmp_lg_u32 s6, s0
	s_cselect_b64 s[14:15], -1, 0
	s_lshl_b64 s[0:1], s[10:11], 1
	s_add_u32 s2, s16, s0
	s_addc_u32 s3, s17, s1
	s_mov_b64 s[0:1], -1
	s_and_b64 vcc, exec, s[14:15]
	v_lshlrev_b32_e32 v29, 1, v0
	s_cbranch_vccz .LBB86_2
; %bb.1:
	v_mov_b32_e32 v1, s3
	v_add_co_u32_e32 v3, vcc, s2, v29
	v_addc_co_u32_e32 v4, vcc, 0, v1, vcc
	v_add_co_u32_e32 v1, vcc, 0x1000, v3
	v_addc_co_u32_e32 v2, vcc, 0, v4, vcc
	global_load_ushort v5, v29, s[2:3]
	global_load_ushort v6, v29, s[2:3] offset:512
	global_load_ushort v7, v29, s[2:3] offset:1024
	;; [unrolled: 1-line block ×7, first 2 shown]
	global_load_ushort v13, v[1:2], off
	global_load_ushort v14, v[1:2], off offset:512
	global_load_ushort v15, v[1:2], off offset:1024
	;; [unrolled: 1-line block ×7, first 2 shown]
	v_add_co_u32_e32 v1, vcc, 0x2000, v3
	v_addc_co_u32_e32 v2, vcc, 0, v4, vcc
	global_load_ushort v3, v[1:2], off
	global_load_ushort v4, v[1:2], off offset:512
	global_load_ushort v21, v[1:2], off offset:1024
	global_load_ushort v22, v[1:2], off offset:1536
	global_load_ushort v23, v[1:2], off offset:2048
	global_load_ushort v24, v[1:2], off offset:2560
	global_load_ushort v25, v[1:2], off offset:3072
	global_load_ushort v26, v[1:2], off offset:3584
	s_mov_b64 s[0:1], 0
	s_waitcnt vmcnt(23)
	ds_write_b16 v29, v5
	s_waitcnt vmcnt(22)
	ds_write_b16 v29, v6 offset:512
	s_waitcnt vmcnt(21)
	ds_write_b16 v29, v7 offset:1024
	s_waitcnt vmcnt(20)
	ds_write_b16 v29, v8 offset:1536
	s_waitcnt vmcnt(19)
	ds_write_b16 v29, v9 offset:2048
	s_waitcnt vmcnt(18)
	ds_write_b16 v29, v10 offset:2560
	s_waitcnt vmcnt(17)
	ds_write_b16 v29, v11 offset:3072
	s_waitcnt vmcnt(16)
	ds_write_b16 v29, v12 offset:3584
	s_waitcnt vmcnt(15)
	ds_write_b16 v29, v13 offset:4096
	s_waitcnt vmcnt(14)
	ds_write_b16 v29, v14 offset:4608
	s_waitcnt vmcnt(13)
	ds_write_b16 v29, v15 offset:5120
	s_waitcnt vmcnt(12)
	ds_write_b16 v29, v16 offset:5632
	s_waitcnt vmcnt(11)
	ds_write_b16 v29, v17 offset:6144
	s_waitcnt vmcnt(10)
	ds_write_b16 v29, v18 offset:6656
	s_waitcnt vmcnt(9)
	ds_write_b16 v29, v19 offset:7168
	s_waitcnt vmcnt(8)
	ds_write_b16 v29, v20 offset:7680
	s_waitcnt vmcnt(7)
	ds_write_b16 v29, v3 offset:8192
	s_waitcnt vmcnt(6)
	ds_write_b16 v29, v4 offset:8704
	s_waitcnt vmcnt(5)
	ds_write_b16 v29, v21 offset:9216
	s_waitcnt vmcnt(4)
	ds_write_b16 v29, v22 offset:9728
	s_waitcnt vmcnt(3)
	ds_write_b16 v29, v23 offset:10240
	s_waitcnt vmcnt(2)
	ds_write_b16 v29, v24 offset:10752
	s_waitcnt vmcnt(1)
	ds_write_b16 v29, v25 offset:11264
	s_waitcnt vmcnt(0)
	ds_write_b16 v29, v26 offset:11776
	s_waitcnt lgkmcnt(0)
	s_barrier
.LBB86_2:
	s_andn2_b64 vcc, exec, s[0:1]
	v_cmp_gt_u32_e64 s[0:1], s24, v0
	s_cbranch_vccnz .LBB86_52
; %bb.3:
	v_mov_b32_e32 v1, 0
	global_load_ushort v19, v1, s[2:3]
	v_mov_b32_e32 v13, s3
	v_add_co_u32_e32 v17, vcc, s2, v29
	v_addc_co_u32_e32 v18, vcc, 0, v13, vcc
	s_waitcnt vmcnt(0)
	v_and_b32_e32 v1, 0xffff, v19
	v_lshl_or_b32 v1, v19, 16, v1
	v_mov_b32_e32 v2, v1
	v_mov_b32_e32 v3, v1
	v_mov_b32_e32 v4, v1
	v_mov_b32_e32 v5, v1
	v_mov_b32_e32 v6, v1
	v_mov_b32_e32 v7, v1
	v_mov_b32_e32 v8, v1
	v_mov_b32_e32 v9, v1
	v_mov_b32_e32 v10, v1
	v_mov_b32_e32 v11, v1
	v_mov_b32_e32 v12, v1
	s_and_saveexec_b64 s[2:3], s[0:1]
	s_cbranch_execz .LBB86_5
; %bb.4:
	global_load_ushort v19, v[17:18], off
	s_mov_b32 s0, 0xffff
	v_mov_b32_e32 v3, v1
	v_mov_b32_e32 v4, v1
	;; [unrolled: 1-line block ×11, first 2 shown]
	s_waitcnt vmcnt(0)
	v_bfi_b32 v2, s0, v19, v1
	v_mov_b32_e32 v1, v2
	v_mov_b32_e32 v2, v3
	;; [unrolled: 1-line block ×16, first 2 shown]
.LBB86_5:
	s_or_b64 exec, exec, s[2:3]
	v_or_b32_e32 v13, 0x100, v0
	v_cmp_gt_u32_e32 vcc, s24, v13
	s_and_saveexec_b64 s[0:1], vcc
	s_cbranch_execz .LBB86_7
; %bb.6:
	global_load_ushort v13, v[17:18], off offset:512
	s_mov_b32 s2, 0x5040100
	s_waitcnt vmcnt(0)
	v_perm_b32 v1, v13, v1, s2
.LBB86_7:
	s_or_b64 exec, exec, s[0:1]
	v_or_b32_e32 v13, 0x200, v0
	v_cmp_gt_u32_e32 vcc, s24, v13
	s_and_saveexec_b64 s[0:1], vcc
	s_cbranch_execz .LBB86_9
; %bb.8:
	global_load_ushort v13, v[17:18], off offset:1024
	s_mov_b32 s2, 0xffff
	s_waitcnt vmcnt(0)
	v_bfi_b32 v2, s2, v13, v2
.LBB86_9:
	s_or_b64 exec, exec, s[0:1]
	v_or_b32_e32 v13, 0x300, v0
	v_cmp_gt_u32_e32 vcc, s24, v13
	s_and_saveexec_b64 s[0:1], vcc
	s_cbranch_execz .LBB86_11
; %bb.10:
	global_load_ushort v13, v[17:18], off offset:1536
	s_mov_b32 s2, 0x5040100
	s_waitcnt vmcnt(0)
	v_perm_b32 v2, v13, v2, s2
.LBB86_11:
	s_or_b64 exec, exec, s[0:1]
	v_or_b32_e32 v13, 0x400, v0
	v_cmp_gt_u32_e32 vcc, s24, v13
	s_and_saveexec_b64 s[0:1], vcc
	s_cbranch_execz .LBB86_13
; %bb.12:
	global_load_ushort v13, v[17:18], off offset:2048
	s_mov_b32 s2, 0xffff
	s_waitcnt vmcnt(0)
	v_bfi_b32 v3, s2, v13, v3
.LBB86_13:
	;; [unrolled: 22-line block ×3, first 2 shown]
	s_or_b64 exec, exec, s[0:1]
	v_or_b32_e32 v13, 0x700, v0
	v_cmp_gt_u32_e32 vcc, s24, v13
	s_and_saveexec_b64 s[0:1], vcc
	s_cbranch_execz .LBB86_19
; %bb.18:
	global_load_ushort v13, v[17:18], off offset:3584
	s_mov_b32 s2, 0x5040100
	s_waitcnt vmcnt(0)
	v_perm_b32 v4, v13, v4, s2
.LBB86_19:
	s_or_b64 exec, exec, s[0:1]
	v_or_b32_e32 v13, 0x800, v0
	v_cmp_gt_u32_e32 vcc, s24, v13
	s_and_saveexec_b64 s[0:1], vcc
	s_cbranch_execz .LBB86_21
; %bb.20:
	v_add_co_u32_e32 v13, vcc, 0x1000, v17
	v_addc_co_u32_e32 v14, vcc, 0, v18, vcc
	global_load_ushort v13, v[13:14], off
	s_mov_b32 s2, 0xffff
	s_waitcnt vmcnt(0)
	v_bfi_b32 v5, s2, v13, v5
.LBB86_21:
	s_or_b64 exec, exec, s[0:1]
	v_or_b32_e32 v13, 0x900, v0
	v_cmp_gt_u32_e32 vcc, s24, v13
	s_and_saveexec_b64 s[0:1], vcc
	s_cbranch_execz .LBB86_23
; %bb.22:
	v_add_co_u32_e32 v13, vcc, 0x1000, v17
	v_addc_co_u32_e32 v14, vcc, 0, v18, vcc
	global_load_ushort v13, v[13:14], off offset:512
	s_mov_b32 s2, 0x5040100
	s_waitcnt vmcnt(0)
	v_perm_b32 v5, v13, v5, s2
.LBB86_23:
	s_or_b64 exec, exec, s[0:1]
	v_or_b32_e32 v13, 0xa00, v0
	v_cmp_gt_u32_e32 vcc, s24, v13
	s_and_saveexec_b64 s[0:1], vcc
	s_cbranch_execz .LBB86_25
; %bb.24:
	v_add_co_u32_e32 v13, vcc, 0x1000, v17
	v_addc_co_u32_e32 v14, vcc, 0, v18, vcc
	global_load_ushort v13, v[13:14], off offset:1024
	s_mov_b32 s2, 0xffff
	s_waitcnt vmcnt(0)
	v_bfi_b32 v6, s2, v13, v6
.LBB86_25:
	s_or_b64 exec, exec, s[0:1]
	v_or_b32_e32 v13, 0xb00, v0
	v_cmp_gt_u32_e32 vcc, s24, v13
	s_and_saveexec_b64 s[0:1], vcc
	s_cbranch_execz .LBB86_27
; %bb.26:
	v_add_co_u32_e32 v13, vcc, 0x1000, v17
	v_addc_co_u32_e32 v14, vcc, 0, v18, vcc
	global_load_ushort v13, v[13:14], off offset:1536
	s_mov_b32 s2, 0x5040100
	s_waitcnt vmcnt(0)
	v_perm_b32 v6, v13, v6, s2
.LBB86_27:
	s_or_b64 exec, exec, s[0:1]
	v_or_b32_e32 v13, 0xc00, v0
	v_cmp_gt_u32_e32 vcc, s24, v13
	s_and_saveexec_b64 s[0:1], vcc
	s_cbranch_execz .LBB86_29
; %bb.28:
	v_add_co_u32_e32 v13, vcc, 0x1000, v17
	v_addc_co_u32_e32 v14, vcc, 0, v18, vcc
	global_load_ushort v13, v[13:14], off offset:2048
	s_mov_b32 s2, 0xffff
	s_waitcnt vmcnt(0)
	v_bfi_b32 v7, s2, v13, v7
.LBB86_29:
	s_or_b64 exec, exec, s[0:1]
	v_or_b32_e32 v13, 0xd00, v0
	v_cmp_gt_u32_e32 vcc, s24, v13
	s_and_saveexec_b64 s[0:1], vcc
	s_cbranch_execz .LBB86_31
; %bb.30:
	v_add_co_u32_e32 v13, vcc, 0x1000, v17
	v_addc_co_u32_e32 v14, vcc, 0, v18, vcc
	global_load_ushort v13, v[13:14], off offset:2560
	s_mov_b32 s2, 0x5040100
	s_waitcnt vmcnt(0)
	v_perm_b32 v7, v13, v7, s2
.LBB86_31:
	s_or_b64 exec, exec, s[0:1]
	v_or_b32_e32 v13, 0xe00, v0
	v_cmp_gt_u32_e32 vcc, s24, v13
	s_and_saveexec_b64 s[0:1], vcc
	s_cbranch_execz .LBB86_33
; %bb.32:
	v_add_co_u32_e32 v13, vcc, 0x1000, v17
	v_addc_co_u32_e32 v14, vcc, 0, v18, vcc
	global_load_ushort v13, v[13:14], off offset:3072
	s_mov_b32 s2, 0xffff
	s_waitcnt vmcnt(0)
	v_bfi_b32 v8, s2, v13, v8
.LBB86_33:
	s_or_b64 exec, exec, s[0:1]
	v_or_b32_e32 v13, 0xf00, v0
	v_cmp_gt_u32_e32 vcc, s24, v13
	s_and_saveexec_b64 s[0:1], vcc
	s_cbranch_execz .LBB86_35
; %bb.34:
	v_add_co_u32_e32 v13, vcc, 0x1000, v17
	v_addc_co_u32_e32 v14, vcc, 0, v18, vcc
	global_load_ushort v13, v[13:14], off offset:3584
	s_mov_b32 s2, 0x5040100
	s_waitcnt vmcnt(0)
	v_perm_b32 v8, v13, v8, s2
.LBB86_35:
	s_or_b64 exec, exec, s[0:1]
	v_or_b32_e32 v13, 0x1000, v0
	v_cmp_gt_u32_e32 vcc, s24, v13
	s_and_saveexec_b64 s[0:1], vcc
	s_cbranch_execz .LBB86_37
; %bb.36:
	v_add_co_u32_e32 v13, vcc, 0x2000, v17
	v_addc_co_u32_e32 v14, vcc, 0, v18, vcc
	global_load_ushort v13, v[13:14], off
	s_mov_b32 s2, 0xffff
	s_waitcnt vmcnt(0)
	v_bfi_b32 v9, s2, v13, v9
.LBB86_37:
	s_or_b64 exec, exec, s[0:1]
	v_or_b32_e32 v13, 0x1100, v0
	v_cmp_gt_u32_e32 vcc, s24, v13
	s_and_saveexec_b64 s[0:1], vcc
	s_cbranch_execz .LBB86_39
; %bb.38:
	v_add_co_u32_e32 v13, vcc, 0x2000, v17
	v_addc_co_u32_e32 v14, vcc, 0, v18, vcc
	global_load_ushort v13, v[13:14], off offset:512
	s_mov_b32 s2, 0x5040100
	s_waitcnt vmcnt(0)
	v_perm_b32 v9, v13, v9, s2
.LBB86_39:
	s_or_b64 exec, exec, s[0:1]
	v_or_b32_e32 v13, 0x1200, v0
	v_cmp_gt_u32_e32 vcc, s24, v13
	s_and_saveexec_b64 s[0:1], vcc
	s_cbranch_execz .LBB86_41
; %bb.40:
	v_add_co_u32_e32 v13, vcc, 0x2000, v17
	v_addc_co_u32_e32 v14, vcc, 0, v18, vcc
	global_load_ushort v13, v[13:14], off offset:1024
	s_mov_b32 s2, 0xffff
	s_waitcnt vmcnt(0)
	v_bfi_b32 v10, s2, v13, v10
.LBB86_41:
	s_or_b64 exec, exec, s[0:1]
	v_or_b32_e32 v13, 0x1300, v0
	v_cmp_gt_u32_e32 vcc, s24, v13
	s_and_saveexec_b64 s[0:1], vcc
	s_cbranch_execz .LBB86_43
; %bb.42:
	v_add_co_u32_e32 v13, vcc, 0x2000, v17
	v_addc_co_u32_e32 v14, vcc, 0, v18, vcc
	global_load_ushort v13, v[13:14], off offset:1536
	s_mov_b32 s2, 0x5040100
	s_waitcnt vmcnt(0)
	v_perm_b32 v10, v13, v10, s2
.LBB86_43:
	s_or_b64 exec, exec, s[0:1]
	v_or_b32_e32 v13, 0x1400, v0
	v_cmp_gt_u32_e32 vcc, s24, v13
	s_and_saveexec_b64 s[0:1], vcc
	s_cbranch_execz .LBB86_45
; %bb.44:
	v_add_co_u32_e32 v13, vcc, 0x2000, v17
	v_addc_co_u32_e32 v14, vcc, 0, v18, vcc
	global_load_ushort v13, v[13:14], off offset:2048
	s_mov_b32 s2, 0xffff
	s_waitcnt vmcnt(0)
	v_bfi_b32 v11, s2, v13, v11
.LBB86_45:
	;; [unrolled: 26-line block ×3, first 2 shown]
	s_or_b64 exec, exec, s[0:1]
	v_or_b32_e32 v13, 0x1700, v0
	v_cmp_gt_u32_e32 vcc, s24, v13
	s_and_saveexec_b64 s[0:1], vcc
	s_cbranch_execz .LBB86_51
; %bb.50:
	v_add_co_u32_e32 v13, vcc, 0x2000, v17
	v_addc_co_u32_e32 v14, vcc, 0, v18, vcc
	global_load_ushort v13, v[13:14], off offset:3584
	s_mov_b32 s2, 0x5040100
	s_waitcnt vmcnt(0)
	v_perm_b32 v12, v13, v12, s2
.LBB86_51:
	s_or_b64 exec, exec, s[0:1]
	ds_write_b16 v29, v19
	ds_write_b16_d16_hi v29, v1 offset:512
	ds_write_b16 v29, v2 offset:1024
	ds_write_b16_d16_hi v29, v2 offset:1536
	ds_write_b16 v29, v3 offset:2048
	;; [unrolled: 2-line block ×11, first 2 shown]
	ds_write_b16_d16_hi v29, v12 offset:11776
	s_waitcnt lgkmcnt(0)
	s_barrier
.LBB86_52:
	v_mul_u32_u24_e32 v30, 48, v0
	ds_read_b128 v[25:28], v30
	ds_read_b128 v[21:24], v30 offset:16
	ds_read_b128 v[17:20], v30 offset:32
	s_load_dwordx2 s[18:19], s[4:5], 0x28
	s_cmp_lg_u32 s6, 0
	v_lshrrev_b32_e32 v42, 4, v0
	s_waitcnt lgkmcnt(0)
	v_lshrrev_b32_e32 v40, 16, v26
	v_max_i16_sdwa v1, v25, v25 dst_sel:DWORD dst_unused:UNUSED_PAD src0_sel:DWORD src1_sel:WORD_1
	v_lshrrev_b32_e32 v39, 16, v27
	v_lshrrev_b32_e32 v38, 16, v28
	;; [unrolled: 1-line block ×9, first 2 shown]
	v_max3_i16 v43, v1, v26, v40
	v_lshrrev_b32_e32 v41, 16, v20
	v_cmp_gt_u32_e32 vcc, 64, v0
	s_barrier
	s_cbranch_scc0 .LBB86_72
; %bb.53:
	v_max3_i16 v1, v43, v27, v39
	v_max3_i16 v1, v1, v28, v38
	;; [unrolled: 1-line block ×10, first 2 shown]
	v_and_b32_e32 v1, 14, v42
	v_lshl_add_u32 v1, v0, 1, v1
	ds_write_b16 v1, v7
	s_waitcnt lgkmcnt(0)
	s_barrier
	s_and_saveexec_b64 s[2:3], vcc
	s_cbranch_execz .LBB86_55
; %bb.54:
	v_lshrrev_b32_e32 v1, 2, v0
	v_and_b32_e32 v1, 62, v1
	v_lshl_add_u32 v3, v0, 3, v1
	ds_read_b64 v[1:2], v3
	v_mbcnt_lo_u32_b32 v4, -1, 0
	v_mbcnt_hi_u32_b32 v4, -1, v4
	v_and_b32_e32 v5, 15, v4
	v_cmp_eq_u32_e64 s[0:1], 0, v5
	s_waitcnt lgkmcnt(0)
	v_lshrrev_b32_e32 v6, 16, v2
	v_max_i16_sdwa v8, v1, v1 dst_sel:DWORD dst_unused:UNUSED_PAD src0_sel:DWORD src1_sel:WORD_1
	v_max3_i16 v8, v8, v2, v6
	v_and_b32_e32 v9, 0xffff, v8
	s_nop 1
	v_mov_b32_dpp v9, v9 row_shr:1 row_mask:0xf bank_mask:0xf
	v_max_i16_e32 v9, v9, v8
	v_cndmask_b32_e64 v8, v9, v8, s[0:1]
	v_and_b32_e32 v9, 0xffff, v8
	v_cmp_lt_u32_e64 s[0:1], 1, v5
	s_nop 0
	v_mov_b32_dpp v9, v9 row_shr:2 row_mask:0xf bank_mask:0xf
	v_max_i16_e32 v9, v9, v8
	v_cndmask_b32_e64 v8, v8, v9, s[0:1]
	v_and_b32_e32 v9, 0xffff, v8
	v_cmp_lt_u32_e64 s[0:1], 3, v5
	;; [unrolled: 6-line block ×3, first 2 shown]
	s_nop 0
	v_mov_b32_dpp v9, v9 row_shr:8 row_mask:0xf bank_mask:0xf
	v_max_i16_e32 v9, v9, v8
	v_cndmask_b32_e64 v5, v8, v9, s[0:1]
	v_and_b32_e32 v8, 0xffff, v5
	v_and_b32_e32 v9, 16, v4
	v_cmp_eq_u32_e64 s[0:1], 0, v9
	v_mov_b32_dpp v8, v8 row_bcast:15 row_mask:0xf bank_mask:0xf
	v_max_i16_e32 v8, v8, v5
	v_cndmask_b32_e64 v5, v8, v5, s[0:1]
	v_and_b32_e32 v8, 0xffff, v5
	v_cmp_lt_u32_e64 s[0:1], 31, v4
	v_and_b32_e32 v9, 64, v4
	v_mov_b32_dpp v8, v8 row_bcast:31 row_mask:0xf bank_mask:0xf
	v_max_i16_e32 v8, v8, v5
	v_cndmask_b32_e64 v5, v5, v8, s[0:1]
	v_add_u32_e32 v8, -1, v4
	v_cmp_lt_i32_e64 s[0:1], v8, v9
	v_cndmask_b32_e64 v4, v8, v4, s[0:1]
	v_lshlrev_b32_e32 v4, 2, v4
	v_and_b32_e32 v5, 0xffff, v5
	ds_bpermute_b32 v4, v4, v5
	v_cmp_eq_u32_e64 s[0:1], 0, v0
	s_waitcnt lgkmcnt(0)
	v_max_i16_e32 v4, v4, v1
	v_cndmask_b32_e64 v4, v4, v7, s[0:1]
	v_max_i16_sdwa v1, v4, v1 dst_sel:DWORD dst_unused:UNUSED_PAD src0_sel:DWORD src1_sel:WORD_1
	v_max_i16_e32 v2, v1, v2
	v_max_i16_e32 v5, v2, v6
	s_mov_b32 s0, 0x5040100
	v_perm_b32 v1, v1, v4, s0
	v_perm_b32 v2, v5, v2, s0
	ds_write_b64 v3, v[1:2]
.LBB86_55:
	s_or_b64 exec, exec, s[2:3]
	v_cmp_eq_u32_e64 s[0:1], 0, v0
	v_cmp_ne_u32_e64 s[2:3], 0, v0
	s_waitcnt lgkmcnt(0)
	s_barrier
	s_and_saveexec_b64 s[8:9], s[2:3]
; %bb.56:
	v_add_u32_e32 v1, -1, v0
	v_lshrrev_b32_e32 v2, 4, v1
	v_and_b32_e32 v2, 0xffffffe, v2
	v_lshl_add_u32 v1, v1, 1, v2
	ds_read_u16 v7, v1
; %bb.57:
	s_or_b64 exec, exec, s[8:9]
	s_and_saveexec_b64 s[20:21], vcc
	s_cbranch_execz .LBB86_77
; %bb.58:
	v_mov_b32_e32 v3, 0
	ds_read_u16 v8, v3 offset:524
	v_mbcnt_lo_u32_b32 v1, -1, 0
	v_mbcnt_hi_u32_b32 v6, -1, v1
	s_mov_b32 s23, 0
	v_cmp_eq_u32_e64 s[2:3], 0, v6
	s_and_saveexec_b64 s[8:9], s[2:3]
	s_cbranch_execz .LBB86_60
; %bb.59:
	s_add_i32 s22, s6, 64
	s_lshl_b64 s[22:23], s[22:23], 2
	s_add_u32 s22, s18, s22
	s_waitcnt lgkmcnt(0)
	v_or_b32_e32 v1, 0x10000, v8
	s_addc_u32 s23, s19, s23
	global_store_dword v3, v1, s[22:23]
.LBB86_60:
	s_or_b64 exec, exec, s[8:9]
	v_xad_u32 v1, v6, -1, s6
	v_add_u32_e32 v2, 64, v1
	v_lshlrev_b64 v[4:5], 2, v[2:3]
	v_mov_b32_e32 v2, s19
	v_add_co_u32_e32 v4, vcc, s18, v4
	v_addc_co_u32_e32 v5, vcc, v2, v5, vcc
	global_load_dword v2, v[4:5], off glc
	s_waitcnt vmcnt(0)
	v_lshrrev_b32_e32 v9, 16, v2
	v_cmp_eq_u16_sdwa s[22:23], v9, v3 src0_sel:BYTE_0 src1_sel:DWORD
	s_and_saveexec_b64 s[8:9], s[22:23]
	s_cbranch_execz .LBB86_64
; %bb.61:
	s_mov_b64 s[22:23], 0
	v_mov_b32_e32 v3, 0
.LBB86_62:                              ; =>This Inner Loop Header: Depth=1
	global_load_dword v2, v[4:5], off glc
	s_waitcnt vmcnt(0)
	v_lshrrev_b32_e32 v9, 16, v2
	v_cmp_ne_u16_sdwa s[26:27], v9, v3 src0_sel:BYTE_0 src1_sel:DWORD
	s_or_b64 s[22:23], s[26:27], s[22:23]
	s_andn2_b64 exec, exec, s[22:23]
	s_cbranch_execnz .LBB86_62
; %bb.63:
	s_or_b64 exec, exec, s[22:23]
.LBB86_64:
	s_or_b64 exec, exec, s[8:9]
	v_and_b32_e32 v46, 63, v6
	v_cmp_ne_u32_e32 vcc, 63, v46
	v_mov_b32_e32 v10, 2
	v_lshlrev_b64 v[3:4], v6, -1
	v_addc_co_u32_e32 v11, vcc, 0, v6, vcc
	v_cmp_eq_u16_sdwa s[8:9], v9, v10 src0_sel:BYTE_0 src1_sel:DWORD
	v_lshlrev_b32_e32 v11, 2, v11
	v_and_b32_e32 v13, 0xffff, v2
	v_and_b32_e32 v5, s9, v4
	ds_bpermute_b32 v14, v11, v13
	v_or_b32_e32 v5, 0x80000000, v5
	v_and_b32_e32 v12, s8, v3
	v_ffbl_b32_e32 v5, v5
	v_add_u32_e32 v5, 32, v5
	v_ffbl_b32_e32 v12, v12
	v_min_u32_e32 v5, v12, v5
	v_add_u32_e32 v12, 1, v6
	s_waitcnt lgkmcnt(0)
	v_max_i16_e32 v14, v14, v2
	v_cmp_gt_u32_e32 vcc, v12, v5
	v_cmp_gt_u32_e64 s[8:9], 62, v46
	v_cndmask_b32_e32 v15, v14, v13, vcc
	v_cndmask_b32_e64 v13, 0, 2, s[8:9]
	v_add_lshl_u32 v13, v13, v6, 2
	ds_bpermute_b32 v16, v13, v15
	v_cndmask_b32_e32 v2, v14, v2, vcc
	v_add_u32_e32 v14, 2, v6
	v_cmp_gt_u32_e32 vcc, v14, v5
	v_cmp_gt_u32_e64 s[8:9], 60, v46
	s_waitcnt lgkmcnt(0)
	v_max_i16_e32 v16, v16, v2
	v_cndmask_b32_e32 v44, v16, v15, vcc
	v_cndmask_b32_e64 v15, 0, 4, s[8:9]
	v_add_lshl_u32 v15, v15, v6, 2
	ds_bpermute_b32 v45, v15, v44
	v_cndmask_b32_e32 v2, v16, v2, vcc
	v_add_u32_e32 v16, 4, v6
	v_cmp_gt_u32_e32 vcc, v16, v5
	v_cmp_gt_u32_e64 s[8:9], 56, v46
	s_waitcnt lgkmcnt(0)
	v_max_i16_e32 v45, v45, v2
	v_cndmask_b32_e32 v47, v45, v44, vcc
	v_cndmask_b32_e64 v44, 0, 8, s[8:9]
	v_add_lshl_u32 v44, v44, v6, 2
	ds_bpermute_b32 v48, v44, v47
	v_cndmask_b32_e32 v2, v45, v2, vcc
	v_add_u32_e32 v45, 8, v6
	v_cmp_gt_u32_e64 s[8:9], 48, v46
	v_cmp_gt_u32_e32 vcc, v45, v5
	s_waitcnt lgkmcnt(0)
	v_max_i16_e32 v48, v48, v2
	v_cndmask_b32_e64 v46, 0, 16, s[8:9]
	v_cndmask_b32_e32 v49, v48, v47, vcc
	v_add_lshl_u32 v47, v46, v6, 2
	ds_bpermute_b32 v46, v47, v49
	v_cndmask_b32_e32 v2, v48, v2, vcc
	v_add_u32_e32 v48, 16, v6
	v_cmp_gt_u32_e32 vcc, v48, v5
	s_waitcnt lgkmcnt(0)
	v_max_i16_e32 v46, v46, v2
	v_cndmask_b32_e32 v50, v46, v49, vcc
	v_mov_b32_e32 v49, 0x80
	v_lshl_or_b32 v49, v6, 2, v49
	ds_bpermute_b32 v51, v49, v50
	v_add_u32_e32 v50, 32, v6
	v_cndmask_b32_e32 v2, v46, v2, vcc
	v_cmp_gt_u32_e32 vcc, v50, v5
	s_waitcnt lgkmcnt(0)
	v_max_i16_e32 v6, v51, v2
	v_cndmask_b32_e32 v5, v6, v2, vcc
	v_mov_b32_e32 v2, 0
	s_branch .LBB86_68
.LBB86_65:                              ;   in Loop: Header=BB86_68 Depth=1
	s_or_b64 exec, exec, s[22:23]
.LBB86_66:                              ;   in Loop: Header=BB86_68 Depth=1
	s_or_b64 exec, exec, s[8:9]
	v_cmp_eq_u16_sdwa s[8:9], v9, v10 src0_sel:BYTE_0 src1_sel:DWORD
	v_and_b32_e32 v52, 0xffff, v51
	v_and_b32_e32 v5, s9, v4
	ds_bpermute_b32 v53, v11, v52
	v_or_b32_e32 v5, 0x80000000, v5
	v_and_b32_e32 v6, s8, v3
	v_ffbl_b32_e32 v5, v5
	v_add_u32_e32 v5, 32, v5
	v_ffbl_b32_e32 v6, v6
	v_min_u32_e32 v5, v6, v5
	s_waitcnt lgkmcnt(0)
	v_max_i16_e32 v6, v53, v51
	v_cmp_gt_u32_e32 vcc, v12, v5
	v_cndmask_b32_e32 v52, v6, v52, vcc
	ds_bpermute_b32 v53, v13, v52
	v_cndmask_b32_e32 v6, v6, v51, vcc
	v_cmp_gt_u32_e32 vcc, v14, v5
	v_subrev_u32_e32 v1, 64, v1
	s_mov_b64 s[8:9], 0
	s_waitcnt lgkmcnt(0)
	v_max_i16_e32 v51, v53, v6
	v_cndmask_b32_e32 v52, v51, v52, vcc
	ds_bpermute_b32 v53, v15, v52
	v_cndmask_b32_e32 v6, v51, v6, vcc
	v_cmp_gt_u32_e32 vcc, v16, v5
	s_waitcnt lgkmcnt(0)
	v_max_i16_e32 v51, v53, v6
	v_cndmask_b32_e32 v52, v51, v52, vcc
	ds_bpermute_b32 v53, v44, v52
	v_cndmask_b32_e32 v6, v51, v6, vcc
	v_cmp_gt_u32_e32 vcc, v45, v5
	;; [unrolled: 6-line block ×4, first 2 shown]
	s_waitcnt lgkmcnt(0)
	v_max_i16_e32 v51, v52, v6
	v_cndmask_b32_e32 v5, v51, v6, vcc
	v_max_i16_e32 v5, v5, v46
.LBB86_67:                              ;   in Loop: Header=BB86_68 Depth=1
	s_and_b64 vcc, exec, s[8:9]
	s_cbranch_vccnz .LBB86_73
.LBB86_68:                              ; =>This Loop Header: Depth=1
                                        ;     Child Loop BB86_71 Depth 2
	v_cmp_ne_u16_sdwa s[8:9], v9, v10 src0_sel:BYTE_0 src1_sel:DWORD
	v_mov_b32_e32 v46, v5
	s_cmp_lg_u64 s[8:9], exec
	s_mov_b64 s[8:9], -1
                                        ; implicit-def: $vgpr5
                                        ; implicit-def: $vgpr9
	s_cbranch_scc1 .LBB86_67
; %bb.69:                               ;   in Loop: Header=BB86_68 Depth=1
	v_lshlrev_b64 v[5:6], 2, v[1:2]
	v_mov_b32_e32 v9, s19
	v_add_co_u32_e32 v5, vcc, s18, v5
	v_addc_co_u32_e32 v6, vcc, v9, v6, vcc
	global_load_dword v51, v[5:6], off glc
	s_waitcnt vmcnt(0)
	v_lshrrev_b32_e32 v9, 16, v51
	v_cmp_eq_u16_sdwa s[22:23], v9, v2 src0_sel:BYTE_0 src1_sel:DWORD
	s_and_saveexec_b64 s[8:9], s[22:23]
	s_cbranch_execz .LBB86_66
; %bb.70:                               ;   in Loop: Header=BB86_68 Depth=1
	s_mov_b64 s[22:23], 0
.LBB86_71:                              ;   Parent Loop BB86_68 Depth=1
                                        ; =>  This Inner Loop Header: Depth=2
	global_load_dword v51, v[5:6], off glc
	s_waitcnt vmcnt(0)
	v_lshrrev_b32_e32 v9, 16, v51
	v_cmp_ne_u16_sdwa s[26:27], v9, v2 src0_sel:BYTE_0 src1_sel:DWORD
	s_or_b64 s[22:23], s[26:27], s[22:23]
	s_andn2_b64 exec, exec, s[22:23]
	s_cbranch_execnz .LBB86_71
	s_branch .LBB86_65
.LBB86_72:
                                        ; implicit-def: $vgpr1_vgpr2_vgpr3_vgpr4_vgpr5_vgpr6_vgpr7_vgpr8_vgpr9_vgpr10_vgpr11_vgpr12_vgpr13_vgpr14_vgpr15_vgpr16
	s_load_dwordx4 s[0:3], s[4:5], 0x38
	s_cbranch_execnz .LBB86_78
	s_branch .LBB86_87
.LBB86_73:
	s_and_saveexec_b64 s[8:9], s[2:3]
	s_cbranch_execz .LBB86_75
; %bb.74:
	s_add_i32 s2, s6, 64
	s_mov_b32 s3, 0
	s_lshl_b64 s[2:3], s[2:3], 2
	v_max_i16_e32 v1, v46, v8
	s_add_u32 s2, s18, s2
	v_or_b32_e32 v1, 0x20000, v1
	s_addc_u32 s3, s19, s3
	v_mov_b32_e32 v2, 0
	global_store_dword v2, v1, s[2:3]
.LBB86_75:
	s_or_b64 exec, exec, s[8:9]
	s_and_b64 exec, exec, s[0:1]
; %bb.76:
	v_mov_b32_e32 v1, 0
	ds_write_b16 v1, v46
.LBB86_77:
	s_or_b64 exec, exec, s[20:21]
	v_mov_b32_e32 v1, 0
	s_waitcnt vmcnt(0) lgkmcnt(0)
	s_barrier
	ds_read_u16 v1, v1
	s_mov_b32 s2, 0x5040100
	s_waitcnt lgkmcnt(0)
	v_max_i16_e32 v2, v1, v7
	v_cndmask_b32_e64 v1, v2, v1, s[0:1]
	v_max_i16_e32 v2, v1, v25
	v_max_i16_sdwa v3, v2, v25 dst_sel:DWORD dst_unused:UNUSED_PAD src0_sel:DWORD src1_sel:WORD_1
	v_max_i16_e32 v4, v3, v26
	v_max_i16_e32 v5, v4, v40
	;; [unrolled: 1-line block ×21, first 2 shown]
	v_perm_b32 v1, v2, v1, s2
	v_perm_b32 v2, v4, v3, s2
	;; [unrolled: 1-line block ×12, first 2 shown]
	s_load_dwordx4 s[0:3], s[4:5], 0x38
	s_branch .LBB86_87
.LBB86_78:
	s_load_dword s6, s[4:5], 0x48
	s_load_dword s7, s[4:5], 0x20
	s_waitcnt lgkmcnt(0)
	s_bitcmp0_b32 s6, 0
	v_mov_b32_e32 v13, s7
	s_cbranch_scc1 .LBB86_80
; %bb.79:
	v_mov_b32_e32 v1, 0
	global_load_sshort v2, v1, s[16:17] offset:-2
	global_load_sshort v3, v1, s[0:1]
	s_waitcnt vmcnt(0)
	v_max_i32_e32 v13, v3, v2
.LBB86_80:
	v_max3_i16 v1, v43, v27, v39
	v_max3_i16 v1, v1, v28, v38
	;; [unrolled: 1-line block ×9, first 2 shown]
	v_and_b32_e32 v2, 14, v42
	v_max3_i16 v1, v1, v20, v41
	v_lshl_add_u32 v2, v0, 1, v2
	v_cmp_gt_u32_e32 vcc, 64, v0
	ds_write_b16 v2, v1
	s_waitcnt lgkmcnt(0)
	s_barrier
	s_and_saveexec_b64 s[0:1], vcc
	s_cbranch_execz .LBB86_82
; %bb.81:
	v_lshrrev_b32_e32 v2, 2, v0
	v_and_b32_e32 v2, 62, v2
	v_lshl_add_u32 v4, v0, 3, v2
	ds_read_b64 v[2:3], v4
	v_mbcnt_lo_u32_b32 v5, -1, 0
	v_mbcnt_hi_u32_b32 v5, -1, v5
	v_and_b32_e32 v6, 15, v5
	v_cmp_eq_u32_e32 vcc, 0, v6
	s_waitcnt lgkmcnt(0)
	v_lshrrev_b32_e32 v7, 16, v3
	v_max_i16_sdwa v8, v2, v2 dst_sel:DWORD dst_unused:UNUSED_PAD src0_sel:DWORD src1_sel:WORD_1
	v_max3_i16 v8, v8, v3, v7
	v_and_b32_e32 v9, 0xffff, v8
	s_mov_b32 s6, 0x5040100
	s_nop 0
	v_mov_b32_dpp v9, v9 row_shr:1 row_mask:0xf bank_mask:0xf
	v_max_i16_e32 v9, v9, v8
	v_cndmask_b32_e32 v8, v9, v8, vcc
	v_and_b32_e32 v9, 0xffff, v8
	v_cmp_lt_u32_e32 vcc, 1, v6
	s_nop 0
	v_mov_b32_dpp v9, v9 row_shr:2 row_mask:0xf bank_mask:0xf
	v_max_i16_e32 v9, v9, v8
	v_cndmask_b32_e32 v8, v8, v9, vcc
	v_and_b32_e32 v9, 0xffff, v8
	v_cmp_lt_u32_e32 vcc, 3, v6
	;; [unrolled: 6-line block ×3, first 2 shown]
	s_nop 0
	v_mov_b32_dpp v9, v9 row_shr:8 row_mask:0xf bank_mask:0xf
	v_max_i16_e32 v9, v9, v8
	v_cndmask_b32_e32 v6, v8, v9, vcc
	v_and_b32_e32 v8, 0xffff, v6
	v_and_b32_e32 v9, 16, v5
	v_cmp_eq_u32_e32 vcc, 0, v9
	v_mov_b32_dpp v8, v8 row_bcast:15 row_mask:0xf bank_mask:0xf
	v_max_i16_e32 v8, v8, v6
	v_cndmask_b32_e32 v6, v8, v6, vcc
	v_and_b32_e32 v8, 0xffff, v6
	v_cmp_lt_u32_e32 vcc, 31, v5
	v_and_b32_e32 v9, 64, v5
	v_mov_b32_dpp v8, v8 row_bcast:31 row_mask:0xf bank_mask:0xf
	v_max_i16_e32 v8, v8, v6
	v_cndmask_b32_e32 v6, v6, v8, vcc
	v_add_u32_e32 v8, -1, v5
	v_cmp_lt_i32_e32 vcc, v8, v9
	v_cndmask_b32_e32 v5, v8, v5, vcc
	v_lshlrev_b32_e32 v5, 2, v5
	v_and_b32_e32 v6, 0xffff, v6
	ds_bpermute_b32 v5, v5, v6
	v_cmp_eq_u32_e32 vcc, 0, v0
	s_waitcnt lgkmcnt(0)
	v_max_i16_e32 v5, v5, v2
	v_cndmask_b32_e32 v1, v5, v1, vcc
	v_max_i16_sdwa v2, v1, v2 dst_sel:DWORD dst_unused:UNUSED_PAD src0_sel:DWORD src1_sel:WORD_1
	v_max_i16_e32 v3, v2, v3
	v_max_i16_e32 v5, v3, v7
	v_perm_b32 v1, v2, v1, s6
	v_perm_b32 v2, v5, v3, s6
	ds_write_b64 v4, v[1:2]
.LBB86_82:
	s_or_b64 exec, exec, s[0:1]
	v_cmp_eq_u32_e32 vcc, 0, v0
	v_cmp_ne_u32_e64 s[0:1], 0, v0
	v_mov_b32_e32 v1, v13
	s_waitcnt lgkmcnt(0)
	s_barrier
	s_and_saveexec_b64 s[6:7], s[0:1]
	s_cbranch_execz .LBB86_84
; %bb.83:
	v_add_u32_e32 v1, -1, v0
	v_lshrrev_b32_e32 v2, 4, v1
	v_and_b32_e32 v2, 0xffffffe, v2
	v_lshl_add_u32 v1, v1, 1, v2
	ds_read_u16 v1, v1
	s_waitcnt lgkmcnt(0)
	v_max_i16_e32 v1, v13, v1
.LBB86_84:
	s_or_b64 exec, exec, s[6:7]
	v_max_i16_e32 v14, v1, v25
	v_max_i16_sdwa v2, v14, v25 dst_sel:DWORD dst_unused:UNUSED_PAD src0_sel:DWORD src1_sel:WORD_1
	v_max_i16_e32 v3, v2, v26
	v_max_i16_e32 v4, v3, v40
	;; [unrolled: 1-line block ×21, first 2 shown]
	s_mov_b32 s0, 0x5040100
	v_perm_b32 v2, v3, v2, s0
	v_perm_b32 v3, v5, v4, s0
	v_perm_b32 v4, v7, v6, s0
	v_perm_b32 v5, v9, v8, s0
	v_perm_b32 v6, v11, v10, s0
	v_perm_b32 v7, v15, v12, s0
	v_perm_b32 v8, v21, v16, s0
	v_perm_b32 v9, v17, v22, s0
	v_perm_b32 v10, v18, v23, s0
	v_perm_b32 v11, v19, v24, s0
	v_perm_b32 v12, v20, v25, s0
	v_perm_b32 v1, v14, v1, s0
	s_and_saveexec_b64 s[0:1], vcc
	s_cbranch_execz .LBB86_86
; %bb.85:
	v_mov_b32_e32 v14, 0
	ds_read_i16 v15, v14 offset:524
	s_mov_b32 s6, 0x20000
	s_waitcnt lgkmcnt(0)
	v_max_i32_sdwa v13, sext(v13), v15 dst_sel:DWORD dst_unused:UNUSED_PAD src0_sel:WORD_0 src1_sel:DWORD
	v_or_b32_sdwa v13, v13, s6 dst_sel:DWORD dst_unused:UNUSED_PAD src0_sel:WORD_0 src1_sel:DWORD
	global_store_dword v14, v13, s[18:19] offset:256
.LBB86_86:
	s_or_b64 exec, exec, s[0:1]
.LBB86_87:
	s_waitcnt lgkmcnt(0)
	s_lshl_b64 s[0:1], s[10:11], 2
	s_add_u32 s0, s12, s0
	s_addc_u32 s1, s13, s1
	s_mov_b64 s[6:7], -1
	s_and_b64 vcc, exec, s[14:15]
	v_lshlrev_b32_e32 v28, 2, v0
	s_waitcnt vmcnt(0)
	s_barrier
	s_cbranch_vccz .LBB86_89
; %bb.88:
	ds_write_b128 v30, v[1:4]
	ds_write_b128 v30, v[5:8] offset:16
	ds_write_b128 v30, v[9:12] offset:32
	s_waitcnt lgkmcnt(0)
	s_barrier
	ds_read_i16 v13, v29
	ds_read_i16 v14, v29 offset:512
	ds_read_i16 v15, v29 offset:1024
	;; [unrolled: 1-line block ×23, first 2 shown]
	s_waitcnt lgkmcnt(14)
	v_cvt_f32_i32_e32 v13, v13
	v_cvt_f32_i32_e32 v14, v14
	v_mov_b32_e32 v39, s1
	v_add_co_u32_e32 v40, vcc, s0, v28
	v_cvt_f32_i32_e32 v15, v15
	v_addc_co_u32_e32 v39, vcc, 0, v39, vcc
	v_cvt_f32_i32_e32 v16, v16
	s_movk_i32 s6, 0x1000
	global_store_dword v28, v13, s[0:1]
	global_store_dword v28, v14, s[0:1] offset:1024
	global_store_dword v28, v15, s[0:1] offset:2048
	;; [unrolled: 1-line block ×3, first 2 shown]
	v_cvt_f32_i32_e32 v17, v17
	v_add_co_u32_e32 v13, vcc, s6, v40
	v_addc_co_u32_e32 v14, vcc, 0, v39, vcc
	s_movk_i32 s6, 0x2000
	v_cvt_f32_i32_e32 v18, v18
	v_add_co_u32_e32 v15, vcc, s6, v40
	v_cvt_f32_i32_e32 v19, v19
	v_addc_co_u32_e32 v16, vcc, 0, v39, vcc
	v_cvt_f32_i32_e32 v20, v20
	global_store_dword v[15:16], v17, off offset:-4096
	global_store_dword v[13:14], v18, off offset:1024
	global_store_dword v[13:14], v19, off offset:2048
	;; [unrolled: 1-line block ×3, first 2 shown]
	v_cvt_f32_i32_e32 v13, v21
	v_cvt_f32_i32_e32 v14, v22
	s_waitcnt lgkmcnt(13)
	v_cvt_f32_i32_e32 v17, v23
	s_waitcnt lgkmcnt(12)
	v_cvt_f32_i32_e32 v18, v24
	s_movk_i32 s6, 0x3000
	global_store_dword v[15:16], v13, off
	global_store_dword v[15:16], v14, off offset:1024
	global_store_dword v[15:16], v17, off offset:2048
	;; [unrolled: 1-line block ×3, first 2 shown]
	s_waitcnt lgkmcnt(11)
	v_cvt_f32_i32_e32 v17, v25
	v_add_co_u32_e32 v13, vcc, s6, v40
	v_addc_co_u32_e32 v14, vcc, 0, v39, vcc
	s_movk_i32 s6, 0x4000
	s_waitcnt lgkmcnt(10)
	v_cvt_f32_i32_e32 v18, v26
	v_add_co_u32_e32 v15, vcc, s6, v40
	s_waitcnt lgkmcnt(9)
	v_cvt_f32_i32_e32 v19, v27
	v_addc_co_u32_e32 v16, vcc, 0, v39, vcc
	s_waitcnt lgkmcnt(8)
	v_cvt_f32_i32_e32 v20, v31
	global_store_dword v[15:16], v17, off offset:-4096
	global_store_dword v[13:14], v18, off offset:1024
	global_store_dword v[13:14], v19, off offset:2048
	;; [unrolled: 1-line block ×3, first 2 shown]
	s_waitcnt lgkmcnt(7)
	v_cvt_f32_i32_e32 v13, v32
	s_waitcnt lgkmcnt(6)
	v_cvt_f32_i32_e32 v14, v33
	s_waitcnt lgkmcnt(5)
	v_cvt_f32_i32_e32 v17, v34
	s_waitcnt lgkmcnt(4)
	v_cvt_f32_i32_e32 v18, v35
	global_store_dword v[15:16], v13, off
	global_store_dword v[15:16], v14, off offset:1024
	global_store_dword v[15:16], v17, off offset:2048
	;; [unrolled: 1-line block ×3, first 2 shown]
	s_waitcnt lgkmcnt(3)
	v_cvt_f32_i32_e32 v15, v36
	s_waitcnt lgkmcnt(2)
	v_cvt_f32_i32_e32 v16, v37
	v_add_co_u32_e32 v13, vcc, 0x5000, v40
	s_waitcnt lgkmcnt(1)
	v_cvt_f32_i32_e32 v17, v38
	v_addc_co_u32_e32 v14, vcc, 0, v39, vcc
	s_waitcnt lgkmcnt(0)
	v_cvt_f32_i32_e32 v18, v29
	global_store_dword v[13:14], v15, off
	global_store_dword v[13:14], v16, off offset:1024
	global_store_dword v[13:14], v17, off offset:2048
	global_store_dword v[13:14], v18, off offset:3072
	s_mov_b64 s[6:7], 0
.LBB86_89:
	s_andn2_b64 vcc, exec, s[6:7]
	s_cbranch_vccnz .LBB86_146
; %bb.90:
	s_movk_i32 s6, 0xffd2
	ds_write_b128 v30, v[1:4]
	ds_write_b128 v30, v[5:8] offset:16
	ds_write_b128 v30, v[9:12] offset:32
	v_mad_i32_i24 v2, v0, s6, v30
	s_waitcnt vmcnt(0) lgkmcnt(0)
	s_barrier
	ds_read_u16 v5, v2
	ds_read_u16 v4, v2 offset:512
	ds_read_u16 v7, v2 offset:1024
	ds_read_u16 v8, v2 offset:1536
	ds_read_u16 v6, v2 offset:2048
	ds_read_u16 v9, v2 offset:2560
	ds_read_u16 v13, v2 offset:3072
	ds_read_u16 v14, v2 offset:3584
	ds_read_u16 v18, v2 offset:4096
	ds_read_u16 v22, v2 offset:4608
	ds_read_u16 v21, v2 offset:5120
	ds_read_u16 v19, v2 offset:5632
	ds_read_u16 v20, v2 offset:6144
	ds_read_u16 v16, v2 offset:6656
	ds_read_u16 v15, v2 offset:7168
	ds_read_u16 v17, v2 offset:7680
	ds_read_u16 v23, v2 offset:8192
	ds_read_u16 v25, v2 offset:8704
	ds_read_u16 v26, v2 offset:9216
	ds_read_u16 v24, v2 offset:9728
	ds_read_u16 v10, v2 offset:10240
	ds_read_u16 v11, v2 offset:10752
	ds_read_u16 v12, v2 offset:11264
	ds_read_u16 v27, v2 offset:11776
	v_mov_b32_e32 v3, s1
	v_add_co_u32_e32 v2, vcc, s0, v28
	v_addc_co_u32_e32 v3, vcc, 0, v3, vcc
	v_mov_b32_e32 v1, 0
	v_cmp_gt_u32_e32 vcc, s24, v0
	s_and_saveexec_b64 s[0:1], vcc
	s_cbranch_execz .LBB86_92
; %bb.91:
	s_waitcnt lgkmcnt(14)
	v_cvt_f32_i32_sdwa v28, sext(v5) dst_sel:DWORD dst_unused:UNUSED_PAD src0_sel:WORD_0
	global_store_dword v[2:3], v28, off
.LBB86_92:
	s_or_b64 exec, exec, s[0:1]
	v_or_b32_e32 v28, 0x100, v0
	v_cmp_gt_u32_e32 vcc, s24, v28
	s_and_saveexec_b64 s[0:1], vcc
	s_cbranch_execz .LBB86_94
; %bb.93:
	s_waitcnt lgkmcnt(14)
	v_cvt_f32_i32_sdwa v28, sext(v4) dst_sel:DWORD dst_unused:UNUSED_PAD src0_sel:WORD_0
	global_store_dword v[2:3], v28, off offset:1024
.LBB86_94:
	s_or_b64 exec, exec, s[0:1]
	v_or_b32_e32 v28, 0x200, v0
	v_cmp_gt_u32_e32 vcc, s24, v28
	s_and_saveexec_b64 s[0:1], vcc
	s_cbranch_execz .LBB86_96
; %bb.95:
	s_waitcnt lgkmcnt(14)
	v_cvt_f32_i32_sdwa v28, sext(v7) dst_sel:DWORD dst_unused:UNUSED_PAD src0_sel:WORD_0
	global_store_dword v[2:3], v28, off offset:2048
.LBB86_96:
	;; [unrolled: 10-line block ×3, first 2 shown]
	s_or_b64 exec, exec, s[0:1]
	v_or_b32_e32 v28, 0x400, v0
	v_cmp_gt_u32_e32 vcc, s24, v28
	s_and_saveexec_b64 s[0:1], vcc
	s_cbranch_execz .LBB86_100
; %bb.99:
	s_waitcnt lgkmcnt(14)
	v_cvt_f32_i32_sdwa v30, sext(v6) dst_sel:DWORD dst_unused:UNUSED_PAD src0_sel:WORD_0
	v_add_co_u32_e32 v28, vcc, 0x1000, v2
	v_addc_co_u32_e32 v29, vcc, 0, v3, vcc
	global_store_dword v[28:29], v30, off
.LBB86_100:
	s_or_b64 exec, exec, s[0:1]
	v_or_b32_e32 v28, 0x500, v0
	v_cmp_gt_u32_e32 vcc, s24, v28
	s_and_saveexec_b64 s[0:1], vcc
	s_cbranch_execz .LBB86_102
; %bb.101:
	s_waitcnt lgkmcnt(14)
	v_cvt_f32_i32_sdwa v30, sext(v9) dst_sel:DWORD dst_unused:UNUSED_PAD src0_sel:WORD_0
	v_add_co_u32_e32 v28, vcc, 0x1000, v2
	v_addc_co_u32_e32 v29, vcc, 0, v3, vcc
	global_store_dword v[28:29], v30, off offset:1024
.LBB86_102:
	s_or_b64 exec, exec, s[0:1]
	v_or_b32_e32 v28, 0x600, v0
	v_cmp_gt_u32_e32 vcc, s24, v28
	s_and_saveexec_b64 s[0:1], vcc
	s_cbranch_execz .LBB86_104
; %bb.103:
	s_waitcnt lgkmcnt(14)
	v_cvt_f32_i32_sdwa v30, sext(v13) dst_sel:DWORD dst_unused:UNUSED_PAD src0_sel:WORD_0
	v_add_co_u32_e32 v28, vcc, 0x1000, v2
	v_addc_co_u32_e32 v29, vcc, 0, v3, vcc
	global_store_dword v[28:29], v30, off offset:2048
.LBB86_104:
	s_or_b64 exec, exec, s[0:1]
	v_or_b32_e32 v28, 0x700, v0
	v_cmp_gt_u32_e32 vcc, s24, v28
	s_and_saveexec_b64 s[0:1], vcc
	s_cbranch_execz .LBB86_106
; %bb.105:
	s_waitcnt lgkmcnt(14)
	v_cvt_f32_i32_sdwa v30, sext(v14) dst_sel:DWORD dst_unused:UNUSED_PAD src0_sel:WORD_0
	v_add_co_u32_e32 v28, vcc, 0x1000, v2
	v_addc_co_u32_e32 v29, vcc, 0, v3, vcc
	global_store_dword v[28:29], v30, off offset:3072
.LBB86_106:
	s_or_b64 exec, exec, s[0:1]
	v_or_b32_e32 v28, 0x800, v0
	v_cmp_gt_u32_e32 vcc, s24, v28
	s_and_saveexec_b64 s[0:1], vcc
	s_cbranch_execz .LBB86_108
; %bb.107:
	s_waitcnt lgkmcnt(14)
	v_cvt_f32_i32_sdwa v30, sext(v18) dst_sel:DWORD dst_unused:UNUSED_PAD src0_sel:WORD_0
	v_add_co_u32_e32 v28, vcc, 0x2000, v2
	v_addc_co_u32_e32 v29, vcc, 0, v3, vcc
	global_store_dword v[28:29], v30, off
.LBB86_108:
	s_or_b64 exec, exec, s[0:1]
	v_or_b32_e32 v28, 0x900, v0
	v_cmp_gt_u32_e32 vcc, s24, v28
	s_and_saveexec_b64 s[0:1], vcc
	s_cbranch_execz .LBB86_110
; %bb.109:
	s_waitcnt lgkmcnt(14)
	v_cvt_f32_i32_sdwa v30, sext(v22) dst_sel:DWORD dst_unused:UNUSED_PAD src0_sel:WORD_0
	v_add_co_u32_e32 v28, vcc, 0x2000, v2
	v_addc_co_u32_e32 v29, vcc, 0, v3, vcc
	global_store_dword v[28:29], v30, off offset:1024
.LBB86_110:
	s_or_b64 exec, exec, s[0:1]
	v_or_b32_e32 v28, 0xa00, v0
	v_cmp_gt_u32_e32 vcc, s24, v28
	s_and_saveexec_b64 s[0:1], vcc
	s_cbranch_execz .LBB86_112
; %bb.111:
	s_waitcnt lgkmcnt(13)
	v_cvt_f32_i32_sdwa v30, sext(v21) dst_sel:DWORD dst_unused:UNUSED_PAD src0_sel:WORD_0
	v_add_co_u32_e32 v28, vcc, 0x2000, v2
	v_addc_co_u32_e32 v29, vcc, 0, v3, vcc
	global_store_dword v[28:29], v30, off offset:2048
.LBB86_112:
	s_or_b64 exec, exec, s[0:1]
	v_or_b32_e32 v28, 0xb00, v0
	v_cmp_gt_u32_e32 vcc, s24, v28
	s_and_saveexec_b64 s[0:1], vcc
	s_cbranch_execz .LBB86_114
; %bb.113:
	s_waitcnt lgkmcnt(12)
	v_cvt_f32_i32_sdwa v30, sext(v19) dst_sel:DWORD dst_unused:UNUSED_PAD src0_sel:WORD_0
	v_add_co_u32_e32 v28, vcc, 0x2000, v2
	v_addc_co_u32_e32 v29, vcc, 0, v3, vcc
	global_store_dword v[28:29], v30, off offset:3072
.LBB86_114:
	s_or_b64 exec, exec, s[0:1]
	v_or_b32_e32 v28, 0xc00, v0
	v_cmp_gt_u32_e32 vcc, s24, v28
	s_and_saveexec_b64 s[0:1], vcc
	s_cbranch_execz .LBB86_116
; %bb.115:
	s_waitcnt lgkmcnt(11)
	v_cvt_f32_i32_sdwa v30, sext(v20) dst_sel:DWORD dst_unused:UNUSED_PAD src0_sel:WORD_0
	v_add_co_u32_e32 v28, vcc, 0x3000, v2
	v_addc_co_u32_e32 v29, vcc, 0, v3, vcc
	global_store_dword v[28:29], v30, off
.LBB86_116:
	s_or_b64 exec, exec, s[0:1]
	v_or_b32_e32 v28, 0xd00, v0
	v_cmp_gt_u32_e32 vcc, s24, v28
	s_and_saveexec_b64 s[0:1], vcc
	s_cbranch_execz .LBB86_118
; %bb.117:
	s_waitcnt lgkmcnt(10)
	v_cvt_f32_i32_sdwa v30, sext(v16) dst_sel:DWORD dst_unused:UNUSED_PAD src0_sel:WORD_0
	v_add_co_u32_e32 v28, vcc, 0x3000, v2
	v_addc_co_u32_e32 v29, vcc, 0, v3, vcc
	global_store_dword v[28:29], v30, off offset:1024
.LBB86_118:
	s_or_b64 exec, exec, s[0:1]
	v_or_b32_e32 v28, 0xe00, v0
	v_cmp_gt_u32_e32 vcc, s24, v28
	s_and_saveexec_b64 s[0:1], vcc
	s_cbranch_execz .LBB86_120
; %bb.119:
	s_waitcnt lgkmcnt(9)
	v_cvt_f32_i32_sdwa v30, sext(v15) dst_sel:DWORD dst_unused:UNUSED_PAD src0_sel:WORD_0
	v_add_co_u32_e32 v28, vcc, 0x3000, v2
	v_addc_co_u32_e32 v29, vcc, 0, v3, vcc
	global_store_dword v[28:29], v30, off offset:2048
.LBB86_120:
	s_or_b64 exec, exec, s[0:1]
	v_or_b32_e32 v28, 0xf00, v0
	v_cmp_gt_u32_e32 vcc, s24, v28
	s_and_saveexec_b64 s[0:1], vcc
	s_cbranch_execz .LBB86_122
; %bb.121:
	s_waitcnt lgkmcnt(8)
	v_cvt_f32_i32_sdwa v30, sext(v17) dst_sel:DWORD dst_unused:UNUSED_PAD src0_sel:WORD_0
	v_add_co_u32_e32 v28, vcc, 0x3000, v2
	v_addc_co_u32_e32 v29, vcc, 0, v3, vcc
	global_store_dword v[28:29], v30, off offset:3072
.LBB86_122:
	s_or_b64 exec, exec, s[0:1]
	v_or_b32_e32 v28, 0x1000, v0
	v_cmp_gt_u32_e32 vcc, s24, v28
	s_and_saveexec_b64 s[0:1], vcc
	s_cbranch_execz .LBB86_124
; %bb.123:
	s_waitcnt lgkmcnt(7)
	v_cvt_f32_i32_sdwa v30, sext(v23) dst_sel:DWORD dst_unused:UNUSED_PAD src0_sel:WORD_0
	v_add_co_u32_e32 v28, vcc, 0x4000, v2
	v_addc_co_u32_e32 v29, vcc, 0, v3, vcc
	global_store_dword v[28:29], v30, off
.LBB86_124:
	s_or_b64 exec, exec, s[0:1]
	v_or_b32_e32 v28, 0x1100, v0
	v_cmp_gt_u32_e32 vcc, s24, v28
	s_and_saveexec_b64 s[0:1], vcc
	s_cbranch_execz .LBB86_126
; %bb.125:
	s_waitcnt lgkmcnt(6)
	v_cvt_f32_i32_sdwa v30, sext(v25) dst_sel:DWORD dst_unused:UNUSED_PAD src0_sel:WORD_0
	v_add_co_u32_e32 v28, vcc, 0x4000, v2
	v_addc_co_u32_e32 v29, vcc, 0, v3, vcc
	global_store_dword v[28:29], v30, off offset:1024
.LBB86_126:
	s_or_b64 exec, exec, s[0:1]
	v_or_b32_e32 v28, 0x1200, v0
	v_cmp_gt_u32_e32 vcc, s24, v28
	s_and_saveexec_b64 s[0:1], vcc
	s_cbranch_execz .LBB86_128
; %bb.127:
	s_waitcnt lgkmcnt(5)
	v_cvt_f32_i32_sdwa v30, sext(v26) dst_sel:DWORD dst_unused:UNUSED_PAD src0_sel:WORD_0
	v_add_co_u32_e32 v28, vcc, 0x4000, v2
	v_addc_co_u32_e32 v29, vcc, 0, v3, vcc
	global_store_dword v[28:29], v30, off offset:2048
.LBB86_128:
	s_or_b64 exec, exec, s[0:1]
	v_or_b32_e32 v28, 0x1300, v0
	v_cmp_gt_u32_e32 vcc, s24, v28
	s_and_saveexec_b64 s[0:1], vcc
	s_cbranch_execz .LBB86_130
; %bb.129:
	s_waitcnt lgkmcnt(4)
	v_cvt_f32_i32_sdwa v30, sext(v24) dst_sel:DWORD dst_unused:UNUSED_PAD src0_sel:WORD_0
	v_add_co_u32_e32 v28, vcc, 0x4000, v2
	v_addc_co_u32_e32 v29, vcc, 0, v3, vcc
	global_store_dword v[28:29], v30, off offset:3072
.LBB86_130:
	s_or_b64 exec, exec, s[0:1]
	v_or_b32_e32 v28, 0x1400, v0
	v_cmp_gt_u32_e32 vcc, s24, v28
	s_and_saveexec_b64 s[0:1], vcc
	s_cbranch_execz .LBB86_132
; %bb.131:
	s_waitcnt lgkmcnt(3)
	v_cvt_f32_i32_sdwa v30, sext(v10) dst_sel:DWORD dst_unused:UNUSED_PAD src0_sel:WORD_0
	v_add_co_u32_e32 v28, vcc, 0x5000, v2
	v_addc_co_u32_e32 v29, vcc, 0, v3, vcc
	global_store_dword v[28:29], v30, off
.LBB86_132:
	s_or_b64 exec, exec, s[0:1]
	v_or_b32_e32 v28, 0x1500, v0
	v_cmp_gt_u32_e32 vcc, s24, v28
	s_and_saveexec_b64 s[0:1], vcc
	s_cbranch_execz .LBB86_134
; %bb.133:
	s_waitcnt lgkmcnt(2)
	v_cvt_f32_i32_sdwa v30, sext(v11) dst_sel:DWORD dst_unused:UNUSED_PAD src0_sel:WORD_0
	v_add_co_u32_e32 v28, vcc, 0x5000, v2
	v_addc_co_u32_e32 v29, vcc, 0, v3, vcc
	global_store_dword v[28:29], v30, off offset:1024
.LBB86_134:
	s_or_b64 exec, exec, s[0:1]
	v_or_b32_e32 v28, 0x1600, v0
	v_cmp_gt_u32_e32 vcc, s24, v28
	s_and_saveexec_b64 s[0:1], vcc
	s_cbranch_execz .LBB86_136
; %bb.135:
	s_waitcnt lgkmcnt(1)
	v_cvt_f32_i32_sdwa v30, sext(v12) dst_sel:DWORD dst_unused:UNUSED_PAD src0_sel:WORD_0
	v_add_co_u32_e32 v28, vcc, 0x5000, v2
	v_addc_co_u32_e32 v29, vcc, 0, v3, vcc
	global_store_dword v[28:29], v30, off offset:2048
.LBB86_136:
	s_or_b64 exec, exec, s[0:1]
	v_or_b32_e32 v28, 0x1700, v0
	v_cmp_gt_u32_e32 vcc, s24, v28
	s_and_saveexec_b64 s[0:1], vcc
	s_cbranch_execz .LBB86_138
; %bb.137:
	s_waitcnt lgkmcnt(0)
	v_cvt_f32_i32_sdwa v28, sext(v27) dst_sel:DWORD dst_unused:UNUSED_PAD src0_sel:WORD_0
	v_add_co_u32_e32 v2, vcc, 0x5000, v2
	v_addc_co_u32_e32 v3, vcc, 0, v3, vcc
	global_store_dword v[2:3], v28, off offset:3072
.LBB86_138:
	s_or_b64 exec, exec, s[0:1]
	s_load_dword s0, s[4:5], 0x48
	s_waitcnt lgkmcnt(0)
	s_bfe_u32 s0, s0, 0x10008
	s_cmp_eq_u32 s0, 0
	s_cbranch_scc1 .LBB86_146
; %bb.139:
	s_add_u32 s0, s24, -1
	s_addc_u32 s1, s25, -1
	s_mul_i32 s7, s1, 0xaaaaaaab
	s_mul_hi_u32 s8, s0, 0xaaaaaaab
	s_mul_hi_u32 s6, s1, 0xaaaaaaab
	s_add_u32 s7, s7, s8
	s_mul_i32 s5, s0, 0xaaaaaaaa
	s_addc_u32 s6, s6, 0
	s_mul_hi_u32 s4, s0, 0xaaaaaaaa
	s_add_u32 s5, s5, s7
	s_addc_u32 s4, s4, 0
	s_add_u32 s4, s6, s4
	s_addc_u32 s5, 0, 0
	s_mul_i32 s7, s1, 0xaaaaaaaa
	s_mul_hi_u32 s6, s1, 0xaaaaaaaa
	s_add_u32 s4, s7, s4
	s_addc_u32 s5, s6, s5
	s_lshr_b64 s[4:5], s[4:5], 4
	v_cmp_eq_u64_e32 vcc, s[4:5], v[0:1]
	s_and_saveexec_b64 s[4:5], vcc
	s_cbranch_execz .LBB86_146
; %bb.140:
	v_mul_hi_u32_u24_e32 v1, 24, v0
	v_mul_u32_u24_e32 v0, 24, v0
	v_mov_b32_e32 v2, s1
	v_sub_co_u32_e32 v0, vcc, s0, v0
	v_subb_co_u32_e32 v1, vcc, v2, v1, vcc
	v_cmp_lt_i64_e32 vcc, 11, v[0:1]
	s_mov_b64 s[0:1], 0
	s_mov_b64 s[10:11], 0
	;; [unrolled: 1-line block ×4, first 2 shown]
	s_and_saveexec_b64 s[4:5], vcc
	s_xor_b64 s[4:5], exec, s[4:5]
	s_cbranch_execnz .LBB86_147
; %bb.141:
	s_andn2_saveexec_b64 s[4:5], s[4:5]
	s_cbranch_execnz .LBB86_192
.LBB86_142:
	s_or_b64 exec, exec, s[4:5]
	s_and_saveexec_b64 s[4:5], s[10:11]
	s_cbranch_execnz .LBB86_209
.LBB86_143:
	s_or_b64 exec, exec, s[4:5]
	s_and_saveexec_b64 s[4:5], s[8:9]
	s_cbranch_execnz .LBB86_210
.LBB86_144:
	s_or_b64 exec, exec, s[4:5]
	s_and_saveexec_b64 s[4:5], s[6:7]
	s_xor_b64 s[4:5], exec, s[4:5]
	s_cbranch_execnz .LBB86_211
.LBB86_145:
	s_or_b64 exec, exec, s[4:5]
	s_and_b64 exec, exec, s[0:1]
	s_cbranch_execnz .LBB86_212
.LBB86_146:
	s_endpgm
.LBB86_147:
	v_cmp_lt_i64_e32 vcc, 17, v[0:1]
	s_and_saveexec_b64 s[12:13], vcc
	s_xor_b64 s[12:13], exec, s[12:13]
	s_cbranch_execz .LBB86_169
; %bb.148:
	v_cmp_lt_i64_e32 vcc, 20, v[0:1]
	s_and_saveexec_b64 s[14:15], vcc
	s_xor_b64 s[14:15], exec, s[14:15]
	s_cbranch_execz .LBB86_158
; %bb.149:
	v_cmp_lt_i64_e32 vcc, 21, v[0:1]
	s_mov_b64 s[16:17], 0
	s_and_saveexec_b64 s[6:7], vcc
	s_xor_b64 s[6:7], exec, s[6:7]
	s_cbranch_execz .LBB86_155
; %bb.150:
	v_cmp_lt_i64_e32 vcc, 22, v[0:1]
	s_and_saveexec_b64 s[16:17], vcc
	s_xor_b64 s[16:17], exec, s[16:17]
	s_cbranch_execz .LBB86_152
; %bb.151:
	v_mov_b32_e32 v2, 0
	global_store_short v2, v27, s[2:3]
.LBB86_152:
	s_or_saveexec_b64 s[16:17], s[16:17]
	s_mov_b64 s[18:19], 0
	s_xor_b64 exec, exec, s[16:17]
; %bb.153:
	s_mov_b64 s[18:19], exec
; %bb.154:
	s_or_b64 exec, exec, s[16:17]
	s_and_b64 s[16:17], s[18:19], exec
.LBB86_155:
	s_andn2_saveexec_b64 s[6:7], s[6:7]
; %bb.156:
	s_mov_b64 s[8:9], exec
; %bb.157:
	s_or_b64 exec, exec, s[6:7]
	s_and_b64 s[6:7], s[16:17], exec
	s_and_b64 s[8:9], s[8:9], exec
                                        ; implicit-def: $vgpr26
                                        ; implicit-def: $vgpr24
.LBB86_158:
	s_andn2_saveexec_b64 s[14:15], s[14:15]
	s_cbranch_execz .LBB86_168
; %bb.159:
	v_cmp_lt_i64_e32 vcc, 18, v[0:1]
	s_mov_b64 s[16:17], 0
	s_and_saveexec_b64 s[10:11], vcc
	s_xor_b64 s[10:11], exec, s[10:11]
	s_cbranch_execz .LBB86_165
; %bb.160:
	v_cmp_lt_i64_e32 vcc, 19, v[0:1]
	s_and_saveexec_b64 s[18:19], vcc
	s_xor_b64 s[18:19], exec, s[18:19]
; %bb.161:
	s_mov_b64 s[16:17], exec
                                        ; implicit-def: $vgpr24
; %bb.162:
	s_andn2_saveexec_b64 s[18:19], s[18:19]
	s_cbranch_execz .LBB86_164
; %bb.163:
	v_mov_b32_e32 v2, 0
	global_store_short v2, v24, s[2:3]
.LBB86_164:
	s_or_b64 exec, exec, s[18:19]
	s_and_b64 s[16:17], s[16:17], exec
                                        ; implicit-def: $vgpr26
.LBB86_165:
	s_andn2_saveexec_b64 s[10:11], s[10:11]
	s_cbranch_execz .LBB86_167
; %bb.166:
	v_mov_b32_e32 v2, 0
	global_store_short v2, v26, s[2:3]
.LBB86_167:
	s_or_b64 exec, exec, s[10:11]
	s_and_b64 s[10:11], s[16:17], exec
.LBB86_168:
	s_or_b64 exec, exec, s[14:15]
	s_and_b64 s[6:7], s[6:7], exec
	s_and_b64 s[8:9], s[8:9], exec
	s_and_b64 s[10:11], s[10:11], exec
                                        ; implicit-def: $vgpr17
                                        ; implicit-def: $vgpr15
                                        ; implicit-def: $vgpr16
                                        ; implicit-def: $vgpr20
                                        ; implicit-def: $vgpr23
                                        ; implicit-def: $vgpr25
.LBB86_169:
	s_andn2_saveexec_b64 s[12:13], s[12:13]
	s_cbranch_execz .LBB86_191
; %bb.170:
	v_cmp_lt_i64_e32 vcc, 14, v[0:1]
	s_mov_b64 s[14:15], s[6:7]
	s_and_saveexec_b64 s[16:17], vcc
	s_xor_b64 s[16:17], exec, s[16:17]
	s_cbranch_execz .LBB86_180
; %bb.171:
	v_cmp_lt_i64_e32 vcc, 15, v[0:1]
	s_and_saveexec_b64 s[14:15], vcc
	s_xor_b64 s[14:15], exec, s[14:15]
	s_cbranch_execz .LBB86_177
; %bb.172:
	v_cmp_lt_i64_e32 vcc, 16, v[0:1]
	s_and_saveexec_b64 s[18:19], vcc
	s_xor_b64 s[18:19], exec, s[18:19]
	s_cbranch_execz .LBB86_174
; %bb.173:
	v_mov_b32_e32 v2, 0
	global_store_short v2, v25, s[2:3]
                                        ; implicit-def: $vgpr23
.LBB86_174:
	s_andn2_saveexec_b64 s[18:19], s[18:19]
	s_cbranch_execz .LBB86_176
; %bb.175:
	v_mov_b32_e32 v2, 0
	global_store_short v2, v23, s[2:3]
.LBB86_176:
	s_or_b64 exec, exec, s[18:19]
.LBB86_177:
	s_or_saveexec_b64 s[14:15], s[14:15]
	s_mov_b64 s[18:19], s[6:7]
	s_xor_b64 exec, exec, s[14:15]
; %bb.178:
	s_or_b64 s[18:19], s[6:7], exec
; %bb.179:
	s_or_b64 exec, exec, s[14:15]
	s_andn2_b64 s[14:15], s[6:7], exec
	s_and_b64 s[18:19], s[18:19], exec
	s_or_b64 s[14:15], s[14:15], s[18:19]
                                        ; implicit-def: $vgpr16
                                        ; implicit-def: $vgpr20
                                        ; implicit-def: $vgpr15
.LBB86_180:
	s_or_saveexec_b64 s[16:17], s[16:17]
	s_mov_b64 s[18:19], s[8:9]
                                        ; implicit-def: $vgpr11
	s_xor_b64 exec, exec, s[16:17]
	s_cbranch_execz .LBB86_190
; %bb.181:
	v_cmp_lt_i64_e32 vcc, 12, v[0:1]
	s_mov_b64 s[20:21], s[8:9]
	s_mov_b64 s[22:23], s[14:15]
	s_and_saveexec_b64 s[18:19], vcc
	s_xor_b64 s[18:19], exec, s[18:19]
	s_cbranch_execz .LBB86_187
; %bb.182:
	v_cmp_lt_i64_e32 vcc, 13, v[0:1]
	s_mov_b64 s[20:21], s[14:15]
	s_and_saveexec_b64 s[22:23], vcc
	s_xor_b64 s[22:23], exec, s[22:23]
; %bb.183:
	s_or_b64 s[20:21], s[14:15], exec
; %bb.184:
	s_or_saveexec_b64 s[22:23], s[22:23]
	s_mov_b64 s[24:25], s[8:9]
	s_xor_b64 exec, exec, s[22:23]
; %bb.185:
	s_or_b64 s[24:25], s[8:9], exec
; %bb.186:
	s_or_b64 exec, exec, s[22:23]
	s_andn2_b64 s[22:23], s[14:15], exec
	s_and_b64 s[20:21], s[20:21], exec
	s_or_b64 s[22:23], s[22:23], s[20:21]
	s_andn2_b64 s[20:21], s[8:9], exec
	s_and_b64 s[24:25], s[24:25], exec
	s_or_b64 s[20:21], s[20:21], s[24:25]
                                        ; implicit-def: $vgpr20
.LBB86_187:
	s_andn2_saveexec_b64 s[18:19], s[18:19]
; %bb.188:
	s_or_b64 s[20:21], s[20:21], exec
	v_mov_b32_e32 v16, v20
; %bb.189:
	s_or_b64 exec, exec, s[18:19]
	s_andn2_b64 s[14:15], s[14:15], exec
	s_and_b64 s[18:19], s[22:23], exec
	s_or_b64 s[14:15], s[14:15], s[18:19]
	s_andn2_b64 s[18:19], s[8:9], exec
	s_and_b64 s[20:21], s[20:21], exec
	s_or_b64 s[18:19], s[18:19], s[20:21]
	v_mov_b32_e32 v17, v15
	v_mov_b32_e32 v11, v16
.LBB86_190:
	s_or_b64 exec, exec, s[16:17]
	s_andn2_b64 s[6:7], s[6:7], exec
	s_and_b64 s[14:15], s[14:15], exec
	s_or_b64 s[6:7], s[6:7], s[14:15]
	s_andn2_b64 s[8:9], s[8:9], exec
	s_and_b64 s[14:15], s[18:19], exec
	s_or_b64 s[8:9], s[8:9], s[14:15]
	v_mov_b32_e32 v12, v17
.LBB86_191:
	s_or_b64 exec, exec, s[12:13]
	s_and_b64 s[6:7], s[6:7], exec
	s_and_b64 s[8:9], s[8:9], exec
	;; [unrolled: 1-line block ×3, first 2 shown]
                                        ; implicit-def: $vgpr18
                                        ; implicit-def: $vgpr22
                                        ; implicit-def: $vgpr19
                                        ; implicit-def: $vgpr21
                                        ; implicit-def: $vgpr13
                                        ; implicit-def: $vgpr14
	s_andn2_saveexec_b64 s[4:5], s[4:5]
	s_cbranch_execz .LBB86_142
.LBB86_192:
	v_cmp_lt_i64_e32 vcc, 5, v[0:1]
	s_mov_b64 s[14:15], -1
	s_mov_b64 s[12:13], s[10:11]
	s_mov_b64 s[16:17], s[8:9]
	;; [unrolled: 1-line block ×3, first 2 shown]
                                        ; implicit-def: $vgpr10
	s_and_saveexec_b64 s[0:1], vcc
	s_cbranch_execz .LBB86_208
; %bb.193:
	v_cmp_lt_i64_e32 vcc, 8, v[0:1]
	s_mov_b64 s[12:13], s[10:11]
                                        ; implicit-def: $vgpr10
	s_and_saveexec_b64 s[14:15], vcc
	s_xor_b64 s[14:15], exec, s[14:15]
	s_cbranch_execz .LBB86_203
; %bb.194:
	v_cmp_lt_i64_e32 vcc, 9, v[0:1]
	s_and_saveexec_b64 s[12:13], vcc
	s_xor_b64 s[12:13], exec, s[12:13]
	s_cbranch_execz .LBB86_200
; %bb.195:
	v_cmp_lt_i64_e32 vcc, 10, v[0:1]
	s_and_saveexec_b64 s[16:17], vcc
	s_xor_b64 s[16:17], exec, s[16:17]
; %bb.196:
                                        ; implicit-def: $vgpr21
; %bb.197:
	s_andn2_saveexec_b64 s[16:17], s[16:17]
; %bb.198:
	v_mov_b32_e32 v19, v21
; %bb.199:
	s_or_b64 exec, exec, s[16:17]
                                        ; implicit-def: $vgpr22
.LBB86_200:
	s_andn2_saveexec_b64 s[12:13], s[12:13]
; %bb.201:
	v_mov_b32_e32 v19, v22
; %bb.202:
	s_or_b64 exec, exec, s[12:13]
	s_or_b64 s[12:13], s[10:11], exec
	v_mov_b32_e32 v10, v19
                                        ; implicit-def: $vgpr18
.LBB86_203:
	s_or_saveexec_b64 s[14:15], s[14:15]
	s_mov_b64 s[16:17], s[8:9]
	s_mov_b64 s[20:21], s[6:7]
	s_xor_b64 exec, exec, s[14:15]
	s_cbranch_execz .LBB86_207
; %bb.204:
	v_cmp_lt_i64_e32 vcc, 6, v[0:1]
	s_mov_b64 s[20:21], -1
	s_mov_b64 s[18:19], s[12:13]
	s_mov_b64 s[16:17], s[8:9]
	s_and_saveexec_b64 s[22:23], vcc
; %bb.205:
	v_cmp_lt_i64_e32 vcc, 7, v[0:1]
	s_andn2_b64 s[18:19], s[12:13], exec
	s_and_b64 s[24:25], vcc, exec
	s_xor_b64 s[20:21], exec, -1
	s_or_b64 s[16:17], s[8:9], exec
	s_or_b64 s[18:19], s[18:19], s[24:25]
; %bb.206:
	s_or_b64 exec, exec, s[22:23]
	s_andn2_b64 s[22:23], s[6:7], exec
	s_and_b64 s[20:21], s[20:21], exec
	s_or_b64 s[20:21], s[22:23], s[20:21]
	s_andn2_b64 s[22:23], s[8:9], exec
	s_and_b64 s[16:17], s[16:17], exec
	s_andn2_b64 s[12:13], s[12:13], exec
	s_and_b64 s[18:19], s[18:19], exec
	s_or_b64 s[16:17], s[22:23], s[16:17]
	s_or_b64 s[12:13], s[12:13], s[18:19]
	v_mov_b32_e32 v10, v18
.LBB86_207:
	s_or_b64 exec, exec, s[14:15]
	s_andn2_b64 s[18:19], s[6:7], exec
	s_and_b64 s[20:21], s[20:21], exec
	s_or_b64 s[18:19], s[18:19], s[20:21]
	s_andn2_b64 s[20:21], s[8:9], exec
	s_and_b64 s[16:17], s[16:17], exec
	s_or_b64 s[16:17], s[20:21], s[16:17]
	s_andn2_b64 s[20:21], s[10:11], exec
	s_and_b64 s[12:13], s[12:13], exec
	s_xor_b64 s[14:15], exec, -1
	s_or_b64 s[12:13], s[20:21], s[12:13]
.LBB86_208:
	s_or_b64 exec, exec, s[0:1]
	s_and_b64 s[0:1], s[14:15], exec
	s_andn2_b64 s[6:7], s[6:7], exec
	s_and_b64 s[14:15], s[18:19], exec
	s_or_b64 s[6:7], s[6:7], s[14:15]
	s_andn2_b64 s[8:9], s[8:9], exec
	s_and_b64 s[14:15], s[16:17], exec
	s_andn2_b64 s[10:11], s[10:11], exec
	s_and_b64 s[12:13], s[12:13], exec
	s_or_b64 s[8:9], s[8:9], s[14:15]
	s_or_b64 s[10:11], s[10:11], s[12:13]
	v_mov_b32_e32 v12, v13
	v_mov_b32_e32 v11, v14
	s_or_b64 exec, exec, s[4:5]
	s_and_saveexec_b64 s[4:5], s[10:11]
	s_cbranch_execz .LBB86_143
.LBB86_209:
	v_mov_b32_e32 v2, 0
	s_andn2_b64 s[8:9], s[8:9], exec
	global_store_short v2, v10, s[2:3]
	s_or_b64 exec, exec, s[4:5]
	s_and_saveexec_b64 s[4:5], s[8:9]
	s_cbranch_execz .LBB86_144
.LBB86_210:
	v_mov_b32_e32 v2, 0
	global_store_short v2, v11, s[2:3]
	s_or_b64 exec, exec, s[4:5]
	s_and_saveexec_b64 s[4:5], s[6:7]
	s_xor_b64 s[4:5], exec, s[4:5]
	s_cbranch_execz .LBB86_145
.LBB86_211:
	v_mov_b32_e32 v2, 0
	global_store_short v2, v12, s[2:3]
	s_or_b64 exec, exec, s[4:5]
	s_and_b64 exec, exec, s[0:1]
	s_cbranch_execz .LBB86_146
.LBB86_212:
	v_cmp_lt_i64_e32 vcc, 2, v[0:1]
	s_and_saveexec_b64 s[0:1], vcc
	s_xor_b64 s[0:1], exec, s[0:1]
	s_cbranch_execz .LBB86_222
; %bb.213:
	v_cmp_lt_i64_e32 vcc, 3, v[0:1]
	s_and_saveexec_b64 s[4:5], vcc
	s_xor_b64 s[4:5], exec, s[4:5]
	s_cbranch_execz .LBB86_219
; %bb.214:
	;; [unrolled: 5-line block ×3, first 2 shown]
	v_mov_b32_e32 v0, 0
	global_store_short v0, v9, s[2:3]
                                        ; implicit-def: $vgpr6
.LBB86_216:
	s_andn2_saveexec_b64 s[6:7], s[6:7]
	s_cbranch_execz .LBB86_218
; %bb.217:
	v_mov_b32_e32 v0, 0
	global_store_short v0, v6, s[2:3]
.LBB86_218:
	s_or_b64 exec, exec, s[6:7]
                                        ; implicit-def: $vgpr8
.LBB86_219:
	s_andn2_saveexec_b64 s[4:5], s[4:5]
	s_cbranch_execz .LBB86_221
; %bb.220:
	v_mov_b32_e32 v0, 0
	global_store_short v0, v8, s[2:3]
.LBB86_221:
	s_or_b64 exec, exec, s[4:5]
                                        ; implicit-def: $vgpr0_vgpr1
                                        ; implicit-def: $vgpr7
                                        ; implicit-def: $vgpr4
                                        ; implicit-def: $vgpr5
.LBB86_222:
	s_andn2_saveexec_b64 s[0:1], s[0:1]
	s_cbranch_execz .LBB86_146
; %bb.223:
	v_cmp_lt_i64_e32 vcc, 1, v[0:1]
	s_and_saveexec_b64 s[0:1], vcc
	s_xor_b64 s[0:1], exec, s[0:1]
	s_cbranch_execz .LBB86_225
; %bb.224:
	v_mov_b32_e32 v0, 0
	global_store_short v0, v7, s[2:3]
                                        ; implicit-def: $vgpr4
                                        ; implicit-def: $vgpr0_vgpr1
                                        ; implicit-def: $vgpr5
.LBB86_225:
	s_andn2_saveexec_b64 s[0:1], s[0:1]
	s_cbranch_execz .LBB86_146
; %bb.226:
	v_cmp_ne_u64_e32 vcc, 1, v[0:1]
	s_and_saveexec_b64 s[0:1], vcc
	s_xor_b64 s[0:1], exec, s[0:1]
	s_cbranch_execz .LBB86_228
; %bb.227:
	v_mov_b32_e32 v0, 0
	global_store_short v0, v5, s[2:3]
                                        ; implicit-def: $vgpr4
.LBB86_228:
	s_andn2_saveexec_b64 s[0:1], s[0:1]
	s_cbranch_execz .LBB86_146
; %bb.229:
	v_mov_b32_e32 v0, 0
	global_store_short v0, v4, s[2:3]
	s_endpgm
	.section	.rodata,"a",@progbits
	.p2align	6, 0x0
	.amdhsa_kernel _ZN7rocprim6detail20lookback_scan_kernelILNS0_25lookback_scan_determinismE0ELb1ENS0_19wrapped_scan_configINS_14default_configEsEEN6hipcub22TransformInputIteratorIsNS6_6CastOpIsEEPslEEPfNS6_3MaxEssNS0_19lookback_scan_stateIsLb0ELb1EEEEEvT2_T3_mT5_T4_T7_jPT6_SM_bb
		.amdhsa_group_segment_fixed_size 12288
		.amdhsa_private_segment_fixed_size 0
		.amdhsa_kernarg_size 76
		.amdhsa_user_sgpr_count 6
		.amdhsa_user_sgpr_private_segment_buffer 1
		.amdhsa_user_sgpr_dispatch_ptr 0
		.amdhsa_user_sgpr_queue_ptr 0
		.amdhsa_user_sgpr_kernarg_segment_ptr 1
		.amdhsa_user_sgpr_dispatch_id 0
		.amdhsa_user_sgpr_flat_scratch_init 0
		.amdhsa_user_sgpr_private_segment_size 0
		.amdhsa_uses_dynamic_stack 0
		.amdhsa_system_sgpr_private_segment_wavefront_offset 0
		.amdhsa_system_sgpr_workgroup_id_x 1
		.amdhsa_system_sgpr_workgroup_id_y 0
		.amdhsa_system_sgpr_workgroup_id_z 0
		.amdhsa_system_sgpr_workgroup_info 0
		.amdhsa_system_vgpr_workitem_id 0
		.amdhsa_next_free_vgpr 54
		.amdhsa_next_free_sgpr 98
		.amdhsa_reserve_vcc 1
		.amdhsa_reserve_flat_scratch 0
		.amdhsa_float_round_mode_32 0
		.amdhsa_float_round_mode_16_64 0
		.amdhsa_float_denorm_mode_32 3
		.amdhsa_float_denorm_mode_16_64 3
		.amdhsa_dx10_clamp 1
		.amdhsa_ieee_mode 1
		.amdhsa_fp16_overflow 0
		.amdhsa_exception_fp_ieee_invalid_op 0
		.amdhsa_exception_fp_denorm_src 0
		.amdhsa_exception_fp_ieee_div_zero 0
		.amdhsa_exception_fp_ieee_overflow 0
		.amdhsa_exception_fp_ieee_underflow 0
		.amdhsa_exception_fp_ieee_inexact 0
		.amdhsa_exception_int_div_zero 0
	.end_amdhsa_kernel
	.section	.text._ZN7rocprim6detail20lookback_scan_kernelILNS0_25lookback_scan_determinismE0ELb1ENS0_19wrapped_scan_configINS_14default_configEsEEN6hipcub22TransformInputIteratorIsNS6_6CastOpIsEEPslEEPfNS6_3MaxEssNS0_19lookback_scan_stateIsLb0ELb1EEEEEvT2_T3_mT5_T4_T7_jPT6_SM_bb,"axG",@progbits,_ZN7rocprim6detail20lookback_scan_kernelILNS0_25lookback_scan_determinismE0ELb1ENS0_19wrapped_scan_configINS_14default_configEsEEN6hipcub22TransformInputIteratorIsNS6_6CastOpIsEEPslEEPfNS6_3MaxEssNS0_19lookback_scan_stateIsLb0ELb1EEEEEvT2_T3_mT5_T4_T7_jPT6_SM_bb,comdat
.Lfunc_end86:
	.size	_ZN7rocprim6detail20lookback_scan_kernelILNS0_25lookback_scan_determinismE0ELb1ENS0_19wrapped_scan_configINS_14default_configEsEEN6hipcub22TransformInputIteratorIsNS6_6CastOpIsEEPslEEPfNS6_3MaxEssNS0_19lookback_scan_stateIsLb0ELb1EEEEEvT2_T3_mT5_T4_T7_jPT6_SM_bb, .Lfunc_end86-_ZN7rocprim6detail20lookback_scan_kernelILNS0_25lookback_scan_determinismE0ELb1ENS0_19wrapped_scan_configINS_14default_configEsEEN6hipcub22TransformInputIteratorIsNS6_6CastOpIsEEPslEEPfNS6_3MaxEssNS0_19lookback_scan_stateIsLb0ELb1EEEEEvT2_T3_mT5_T4_T7_jPT6_SM_bb
                                        ; -- End function
	.set _ZN7rocprim6detail20lookback_scan_kernelILNS0_25lookback_scan_determinismE0ELb1ENS0_19wrapped_scan_configINS_14default_configEsEEN6hipcub22TransformInputIteratorIsNS6_6CastOpIsEEPslEEPfNS6_3MaxEssNS0_19lookback_scan_stateIsLb0ELb1EEEEEvT2_T3_mT5_T4_T7_jPT6_SM_bb.num_vgpr, 54
	.set _ZN7rocprim6detail20lookback_scan_kernelILNS0_25lookback_scan_determinismE0ELb1ENS0_19wrapped_scan_configINS_14default_configEsEEN6hipcub22TransformInputIteratorIsNS6_6CastOpIsEEPslEEPfNS6_3MaxEssNS0_19lookback_scan_stateIsLb0ELb1EEEEEvT2_T3_mT5_T4_T7_jPT6_SM_bb.num_agpr, 0
	.set _ZN7rocprim6detail20lookback_scan_kernelILNS0_25lookback_scan_determinismE0ELb1ENS0_19wrapped_scan_configINS_14default_configEsEEN6hipcub22TransformInputIteratorIsNS6_6CastOpIsEEPslEEPfNS6_3MaxEssNS0_19lookback_scan_stateIsLb0ELb1EEEEEvT2_T3_mT5_T4_T7_jPT6_SM_bb.numbered_sgpr, 28
	.set _ZN7rocprim6detail20lookback_scan_kernelILNS0_25lookback_scan_determinismE0ELb1ENS0_19wrapped_scan_configINS_14default_configEsEEN6hipcub22TransformInputIteratorIsNS6_6CastOpIsEEPslEEPfNS6_3MaxEssNS0_19lookback_scan_stateIsLb0ELb1EEEEEvT2_T3_mT5_T4_T7_jPT6_SM_bb.num_named_barrier, 0
	.set _ZN7rocprim6detail20lookback_scan_kernelILNS0_25lookback_scan_determinismE0ELb1ENS0_19wrapped_scan_configINS_14default_configEsEEN6hipcub22TransformInputIteratorIsNS6_6CastOpIsEEPslEEPfNS6_3MaxEssNS0_19lookback_scan_stateIsLb0ELb1EEEEEvT2_T3_mT5_T4_T7_jPT6_SM_bb.private_seg_size, 0
	.set _ZN7rocprim6detail20lookback_scan_kernelILNS0_25lookback_scan_determinismE0ELb1ENS0_19wrapped_scan_configINS_14default_configEsEEN6hipcub22TransformInputIteratorIsNS6_6CastOpIsEEPslEEPfNS6_3MaxEssNS0_19lookback_scan_stateIsLb0ELb1EEEEEvT2_T3_mT5_T4_T7_jPT6_SM_bb.uses_vcc, 1
	.set _ZN7rocprim6detail20lookback_scan_kernelILNS0_25lookback_scan_determinismE0ELb1ENS0_19wrapped_scan_configINS_14default_configEsEEN6hipcub22TransformInputIteratorIsNS6_6CastOpIsEEPslEEPfNS6_3MaxEssNS0_19lookback_scan_stateIsLb0ELb1EEEEEvT2_T3_mT5_T4_T7_jPT6_SM_bb.uses_flat_scratch, 0
	.set _ZN7rocprim6detail20lookback_scan_kernelILNS0_25lookback_scan_determinismE0ELb1ENS0_19wrapped_scan_configINS_14default_configEsEEN6hipcub22TransformInputIteratorIsNS6_6CastOpIsEEPslEEPfNS6_3MaxEssNS0_19lookback_scan_stateIsLb0ELb1EEEEEvT2_T3_mT5_T4_T7_jPT6_SM_bb.has_dyn_sized_stack, 0
	.set _ZN7rocprim6detail20lookback_scan_kernelILNS0_25lookback_scan_determinismE0ELb1ENS0_19wrapped_scan_configINS_14default_configEsEEN6hipcub22TransformInputIteratorIsNS6_6CastOpIsEEPslEEPfNS6_3MaxEssNS0_19lookback_scan_stateIsLb0ELb1EEEEEvT2_T3_mT5_T4_T7_jPT6_SM_bb.has_recursion, 0
	.set _ZN7rocprim6detail20lookback_scan_kernelILNS0_25lookback_scan_determinismE0ELb1ENS0_19wrapped_scan_configINS_14default_configEsEEN6hipcub22TransformInputIteratorIsNS6_6CastOpIsEEPslEEPfNS6_3MaxEssNS0_19lookback_scan_stateIsLb0ELb1EEEEEvT2_T3_mT5_T4_T7_jPT6_SM_bb.has_indirect_call, 0
	.section	.AMDGPU.csdata,"",@progbits
; Kernel info:
; codeLenInByte = 9036
; TotalNumSgprs: 32
; NumVgprs: 54
; ScratchSize: 0
; MemoryBound: 0
; FloatMode: 240
; IeeeMode: 1
; LDSByteSize: 12288 bytes/workgroup (compile time only)
; SGPRBlocks: 12
; VGPRBlocks: 13
; NumSGPRsForWavesPerEU: 102
; NumVGPRsForWavesPerEU: 54
; Occupancy: 4
; WaveLimiterHint : 1
; COMPUTE_PGM_RSRC2:SCRATCH_EN: 0
; COMPUTE_PGM_RSRC2:USER_SGPR: 6
; COMPUTE_PGM_RSRC2:TRAP_HANDLER: 0
; COMPUTE_PGM_RSRC2:TGID_X_EN: 1
; COMPUTE_PGM_RSRC2:TGID_Y_EN: 0
; COMPUTE_PGM_RSRC2:TGID_Z_EN: 0
; COMPUTE_PGM_RSRC2:TIDIG_COMP_CNT: 0
	.section	.text._ZN7rocprim6detail18single_scan_kernelILb1ENS0_19wrapped_scan_configINS_14default_configEsEEN6hipcub22TransformInputIteratorIsNS5_6CastOpIsEEPslEEPfNS5_3MaxEssEEvT1_mT4_T2_T3_,"axG",@progbits,_ZN7rocprim6detail18single_scan_kernelILb1ENS0_19wrapped_scan_configINS_14default_configEsEEN6hipcub22TransformInputIteratorIsNS5_6CastOpIsEEPslEEPfNS5_3MaxEssEEvT1_mT4_T2_T3_,comdat
	.protected	_ZN7rocprim6detail18single_scan_kernelILb1ENS0_19wrapped_scan_configINS_14default_configEsEEN6hipcub22TransformInputIteratorIsNS5_6CastOpIsEEPslEEPfNS5_3MaxEssEEvT1_mT4_T2_T3_ ; -- Begin function _ZN7rocprim6detail18single_scan_kernelILb1ENS0_19wrapped_scan_configINS_14default_configEsEEN6hipcub22TransformInputIteratorIsNS5_6CastOpIsEEPslEEPfNS5_3MaxEssEEvT1_mT4_T2_T3_
	.globl	_ZN7rocprim6detail18single_scan_kernelILb1ENS0_19wrapped_scan_configINS_14default_configEsEEN6hipcub22TransformInputIteratorIsNS5_6CastOpIsEEPslEEPfNS5_3MaxEssEEvT1_mT4_T2_T3_
	.p2align	8
	.type	_ZN7rocprim6detail18single_scan_kernelILb1ENS0_19wrapped_scan_configINS_14default_configEsEEN6hipcub22TransformInputIteratorIsNS5_6CastOpIsEEPslEEPfNS5_3MaxEssEEvT1_mT4_T2_T3_,@function
_ZN7rocprim6detail18single_scan_kernelILb1ENS0_19wrapped_scan_configINS_14default_configEsEEN6hipcub22TransformInputIteratorIsNS5_6CastOpIsEEPslEEPfNS5_3MaxEssEEvT1_mT4_T2_T3_: ; @_ZN7rocprim6detail18single_scan_kernelILb1ENS0_19wrapped_scan_configINS_14default_configEsEEN6hipcub22TransformInputIteratorIsNS5_6CastOpIsEEPslEEPfNS5_3MaxEssEEvT1_mT4_T2_T3_
; %bb.0:
	s_load_dwordx2 s[0:1], s[4:5], 0x0
	s_load_dword s33, s[4:5], 0x10
	v_mov_b32_e32 v1, 0
	v_lshlrev_b32_e32 v19, 1, v0
	s_waitcnt lgkmcnt(0)
	global_load_ushort v20, v1, s[0:1]
	v_mov_b32_e32 v1, s1
	v_add_co_u32_e32 v17, vcc, s0, v19
	v_addc_co_u32_e32 v18, vcc, 0, v1, vcc
	v_cmp_gt_u32_e64 s[0:1], s33, v0
	s_waitcnt vmcnt(0)
	v_and_b32_e32 v1, 0xffff, v20
	v_lshl_or_b32 v1, v20, 16, v1
	v_mov_b32_e32 v2, v1
	v_mov_b32_e32 v3, v1
	;; [unrolled: 1-line block ×11, first 2 shown]
	s_and_saveexec_b64 s[2:3], s[0:1]
	s_cbranch_execz .LBB87_2
; %bb.1:
	global_load_ushort v20, v[17:18], off
	s_mov_b32 s6, 0xffff
	v_mov_b32_e32 v3, v1
	v_mov_b32_e32 v4, v1
	v_mov_b32_e32 v5, v1
	v_mov_b32_e32 v6, v1
	v_mov_b32_e32 v7, v1
	v_mov_b32_e32 v8, v1
	v_mov_b32_e32 v9, v1
	v_mov_b32_e32 v10, v1
	v_mov_b32_e32 v11, v1
	v_mov_b32_e32 v12, v1
	v_mov_b32_e32 v13, v1
	s_waitcnt vmcnt(0)
	v_bfi_b32 v2, s6, v20, v1
	v_mov_b32_e32 v1, v2
	v_mov_b32_e32 v2, v3
	;; [unrolled: 1-line block ×16, first 2 shown]
.LBB87_2:
	s_or_b64 exec, exec, s[2:3]
	v_or_b32_e32 v13, 0x100, v0
	v_cmp_gt_u32_e64 s[2:3], s33, v13
	s_and_saveexec_b64 s[6:7], s[2:3]
	s_cbranch_execz .LBB87_4
; %bb.3:
	global_load_ushort v13, v[17:18], off offset:512
	s_mov_b32 s8, 0x5040100
	s_waitcnt vmcnt(0)
	v_perm_b32 v1, v13, v1, s8
.LBB87_4:
	s_or_b64 exec, exec, s[6:7]
	v_or_b32_e32 v13, 0x200, v0
	v_cmp_gt_u32_e64 s[6:7], s33, v13
	s_and_saveexec_b64 s[8:9], s[6:7]
	s_cbranch_execz .LBB87_6
; %bb.5:
	global_load_ushort v13, v[17:18], off offset:1024
	s_mov_b32 s10, 0xffff
	s_waitcnt vmcnt(0)
	v_bfi_b32 v2, s10, v13, v2
.LBB87_6:
	s_or_b64 exec, exec, s[8:9]
	v_or_b32_e32 v13, 0x300, v0
	v_cmp_gt_u32_e64 s[8:9], s33, v13
	s_and_saveexec_b64 s[10:11], s[8:9]
	s_cbranch_execz .LBB87_8
; %bb.7:
	global_load_ushort v13, v[17:18], off offset:1536
	s_mov_b32 s12, 0x5040100
	s_waitcnt vmcnt(0)
	v_perm_b32 v2, v13, v2, s12
.LBB87_8:
	s_or_b64 exec, exec, s[10:11]
	v_or_b32_e32 v13, 0x400, v0
	v_cmp_gt_u32_e64 s[10:11], s33, v13
	s_and_saveexec_b64 s[12:13], s[10:11]
	s_cbranch_execz .LBB87_10
; %bb.9:
	global_load_ushort v13, v[17:18], off offset:2048
	s_mov_b32 s14, 0xffff
	s_waitcnt vmcnt(0)
	v_bfi_b32 v3, s14, v13, v3
.LBB87_10:
	;; [unrolled: 22-line block ×3, first 2 shown]
	s_or_b64 exec, exec, s[16:17]
	v_or_b32_e32 v13, 0x700, v0
	v_cmp_gt_u32_e64 s[16:17], s33, v13
	s_and_saveexec_b64 s[18:19], s[16:17]
	s_cbranch_execz .LBB87_16
; %bb.15:
	global_load_ushort v13, v[17:18], off offset:3584
	s_mov_b32 s20, 0x5040100
	s_waitcnt vmcnt(0)
	v_perm_b32 v4, v13, v4, s20
.LBB87_16:
	s_or_b64 exec, exec, s[18:19]
	v_or_b32_e32 v13, 0x800, v0
	v_cmp_gt_u32_e64 s[18:19], s33, v13
	s_and_saveexec_b64 s[20:21], s[18:19]
	s_cbranch_execz .LBB87_18
; %bb.17:
	v_add_co_u32_e32 v13, vcc, 0x1000, v17
	v_addc_co_u32_e32 v14, vcc, 0, v18, vcc
	global_load_ushort v13, v[13:14], off
	s_mov_b32 s22, 0xffff
	s_waitcnt vmcnt(0)
	v_bfi_b32 v5, s22, v13, v5
.LBB87_18:
	s_or_b64 exec, exec, s[20:21]
	v_or_b32_e32 v13, 0x900, v0
	v_cmp_gt_u32_e64 s[20:21], s33, v13
	s_and_saveexec_b64 s[22:23], s[20:21]
	s_cbranch_execz .LBB87_20
; %bb.19:
	v_add_co_u32_e32 v13, vcc, 0x1000, v17
	v_addc_co_u32_e32 v14, vcc, 0, v18, vcc
	global_load_ushort v13, v[13:14], off offset:512
	s_mov_b32 s24, 0x5040100
	s_waitcnt vmcnt(0)
	v_perm_b32 v5, v13, v5, s24
.LBB87_20:
	s_or_b64 exec, exec, s[22:23]
	v_or_b32_e32 v13, 0xa00, v0
	v_cmp_gt_u32_e64 s[22:23], s33, v13
	s_and_saveexec_b64 s[24:25], s[22:23]
	s_cbranch_execz .LBB87_22
; %bb.21:
	v_add_co_u32_e32 v13, vcc, 0x1000, v17
	v_addc_co_u32_e32 v14, vcc, 0, v18, vcc
	global_load_ushort v13, v[13:14], off offset:1024
	s_mov_b32 s26, 0xffff
	s_waitcnt vmcnt(0)
	v_bfi_b32 v6, s26, v13, v6
.LBB87_22:
	s_or_b64 exec, exec, s[24:25]
	v_or_b32_e32 v13, 0xb00, v0
	v_cmp_gt_u32_e64 s[24:25], s33, v13
	s_and_saveexec_b64 s[26:27], s[24:25]
	s_cbranch_execz .LBB87_24
; %bb.23:
	v_add_co_u32_e32 v13, vcc, 0x1000, v17
	v_addc_co_u32_e32 v14, vcc, 0, v18, vcc
	global_load_ushort v13, v[13:14], off offset:1536
	s_mov_b32 s28, 0x5040100
	s_waitcnt vmcnt(0)
	v_perm_b32 v6, v13, v6, s28
.LBB87_24:
	s_or_b64 exec, exec, s[26:27]
	v_or_b32_e32 v13, 0xc00, v0
	v_cmp_gt_u32_e64 s[26:27], s33, v13
	s_and_saveexec_b64 s[28:29], s[26:27]
	s_cbranch_execz .LBB87_26
; %bb.25:
	v_add_co_u32_e32 v13, vcc, 0x1000, v17
	v_addc_co_u32_e32 v14, vcc, 0, v18, vcc
	global_load_ushort v13, v[13:14], off offset:2048
	s_mov_b32 s30, 0xffff
	s_waitcnt vmcnt(0)
	v_bfi_b32 v7, s30, v13, v7
.LBB87_26:
	;; [unrolled: 26-line block ×3, first 2 shown]
	s_or_b64 exec, exec, s[34:35]
	v_or_b32_e32 v13, 0xf00, v0
	v_cmp_gt_u32_e64 s[34:35], s33, v13
	s_and_saveexec_b64 s[36:37], s[34:35]
	s_cbranch_execz .LBB87_32
; %bb.31:
	v_add_co_u32_e32 v13, vcc, 0x1000, v17
	v_addc_co_u32_e32 v14, vcc, 0, v18, vcc
	global_load_ushort v13, v[13:14], off offset:3584
	s_mov_b32 s38, 0x5040100
	s_waitcnt vmcnt(0)
	v_perm_b32 v8, v13, v8, s38
.LBB87_32:
	s_or_b64 exec, exec, s[36:37]
	v_or_b32_e32 v13, 0x1000, v0
	v_cmp_gt_u32_e64 s[36:37], s33, v13
	s_and_saveexec_b64 s[38:39], s[36:37]
	s_cbranch_execz .LBB87_34
; %bb.33:
	v_add_co_u32_e32 v13, vcc, 0x2000, v17
	v_addc_co_u32_e32 v14, vcc, 0, v18, vcc
	global_load_ushort v13, v[13:14], off
	s_mov_b32 s40, 0xffff
	s_waitcnt vmcnt(0)
	v_bfi_b32 v9, s40, v13, v9
.LBB87_34:
	s_or_b64 exec, exec, s[38:39]
	v_or_b32_e32 v13, 0x1100, v0
	v_cmp_gt_u32_e64 s[38:39], s33, v13
	s_and_saveexec_b64 s[40:41], s[38:39]
	s_cbranch_execz .LBB87_36
; %bb.35:
	v_add_co_u32_e32 v13, vcc, 0x2000, v17
	v_addc_co_u32_e32 v14, vcc, 0, v18, vcc
	global_load_ushort v13, v[13:14], off offset:512
	s_mov_b32 s42, 0x5040100
	s_waitcnt vmcnt(0)
	v_perm_b32 v9, v13, v9, s42
.LBB87_36:
	s_or_b64 exec, exec, s[40:41]
	v_or_b32_e32 v13, 0x1200, v0
	v_cmp_gt_u32_e64 s[40:41], s33, v13
	s_and_saveexec_b64 s[42:43], s[40:41]
	s_cbranch_execz .LBB87_38
; %bb.37:
	v_add_co_u32_e32 v13, vcc, 0x2000, v17
	v_addc_co_u32_e32 v14, vcc, 0, v18, vcc
	global_load_ushort v13, v[13:14], off offset:1024
	s_mov_b32 s44, 0xffff
	s_waitcnt vmcnt(0)
	v_bfi_b32 v10, s44, v13, v10
.LBB87_38:
	s_or_b64 exec, exec, s[42:43]
	v_or_b32_e32 v13, 0x1300, v0
	v_cmp_gt_u32_e64 s[42:43], s33, v13
	s_and_saveexec_b64 s[44:45], s[42:43]
	s_cbranch_execz .LBB87_40
; %bb.39:
	v_add_co_u32_e32 v13, vcc, 0x2000, v17
	v_addc_co_u32_e32 v14, vcc, 0, v18, vcc
	global_load_ushort v13, v[13:14], off offset:1536
	s_mov_b32 s46, 0x5040100
	s_waitcnt vmcnt(0)
	v_perm_b32 v10, v13, v10, s46
.LBB87_40:
	s_or_b64 exec, exec, s[44:45]
	v_or_b32_e32 v13, 0x1400, v0
	v_cmp_gt_u32_e64 s[44:45], s33, v13
	s_and_saveexec_b64 s[46:47], s[44:45]
	s_cbranch_execz .LBB87_42
; %bb.41:
	v_add_co_u32_e32 v13, vcc, 0x2000, v17
	v_addc_co_u32_e32 v14, vcc, 0, v18, vcc
	global_load_ushort v13, v[13:14], off offset:2048
	s_mov_b32 s48, 0xffff
	s_waitcnt vmcnt(0)
	v_bfi_b32 v11, s48, v13, v11
.LBB87_42:
	s_or_b64 exec, exec, s[46:47]
	v_or_b32_e32 v13, 0x1500, v0
	v_cmp_gt_u32_e64 s[46:47], s33, v13
	s_and_saveexec_b64 s[48:49], s[46:47]
	s_cbranch_execz .LBB87_44
; %bb.43:
	v_add_co_u32_e32 v13, vcc, 0x2000, v17
	v_addc_co_u32_e32 v14, vcc, 0, v18, vcc
	global_load_ushort v13, v[13:14], off offset:2560
	s_mov_b32 s50, 0x5040100
	s_waitcnt vmcnt(0)
	v_perm_b32 v11, v13, v11, s50
.LBB87_44:
	s_or_b64 exec, exec, s[48:49]
	v_or_b32_e32 v13, 0x1600, v0
	v_cmp_gt_u32_e64 s[48:49], s33, v13
	s_and_saveexec_b64 s[50:51], s[48:49]
	s_cbranch_execz .LBB87_46
; %bb.45:
	v_add_co_u32_e32 v13, vcc, 0x2000, v17
	v_addc_co_u32_e32 v14, vcc, 0, v18, vcc
	global_load_ushort v13, v[13:14], off offset:3072
	s_mov_b32 s52, 0xffff
	s_waitcnt vmcnt(0)
	v_bfi_b32 v12, s52, v13, v12
.LBB87_46:
	s_or_b64 exec, exec, s[50:51]
	v_or_b32_e32 v13, 0x1700, v0
	v_cmp_gt_u32_e64 s[50:51], s33, v13
	s_and_saveexec_b64 s[52:53], s[50:51]
	s_cbranch_execz .LBB87_48
; %bb.47:
	v_add_co_u32_e32 v13, vcc, 0x2000, v17
	v_addc_co_u32_e32 v14, vcc, 0, v18, vcc
	global_load_ushort v13, v[13:14], off offset:3584
	s_mov_b32 s33, 0x5040100
	s_waitcnt vmcnt(0)
	v_perm_b32 v12, v13, v12, s33
.LBB87_48:
	s_or_b64 exec, exec, s[52:53]
	ds_write_b16 v19, v20
	ds_write_b16_d16_hi v19, v1 offset:512
	ds_write_b16 v19, v2 offset:1024
	ds_write_b16_d16_hi v19, v2 offset:1536
	ds_write_b16 v19, v3 offset:2048
	;; [unrolled: 2-line block ×11, first 2 shown]
	ds_write_b16_d16_hi v19, v12 offset:11776
	v_mad_u32_u24 v1, v0, 46, v19
	s_waitcnt lgkmcnt(0)
	s_barrier
	ds_read_b128 v[9:12], v1
	ds_read_b128 v[5:8], v1 offset:16
	ds_read_b128 v[1:4], v1 offset:32
	v_cmp_gt_u32_e32 vcc, 64, v0
	s_waitcnt lgkmcnt(0)
	v_lshrrev_b32_e32 v23, 16, v10
	v_max_i16_sdwa v25, v9, v9 dst_sel:DWORD dst_unused:UNUSED_PAD src0_sel:DWORD src1_sel:WORD_1
	v_lshrrev_b32_e32 v22, 16, v11
	v_max3_i16 v25, v25, v10, v23
	v_lshrrev_b32_e32 v21, 16, v12
	v_max3_i16 v25, v25, v11, v22
	;; [unrolled: 2-line block ×10, first 2 shown]
	v_max3_i16 v24, v25, v4, v24
	v_lshrrev_b32_e32 v25, 4, v0
	v_and_b32_e32 v25, 14, v25
	v_add_u32_e32 v25, v19, v25
	s_barrier
	ds_write_b16 v25, v24
	s_waitcnt lgkmcnt(0)
	s_barrier
	s_and_saveexec_b64 s[52:53], vcc
	s_cbranch_execz .LBB87_50
; %bb.49:
	v_lshrrev_b32_e32 v25, 2, v0
	v_and_b32_e32 v25, 62, v25
	v_lshl_add_u32 v27, v0, 3, v25
	ds_read_b64 v[25:26], v27
	v_mbcnt_lo_u32_b32 v28, -1, 0
	v_mbcnt_hi_u32_b32 v28, -1, v28
	v_and_b32_e32 v29, 15, v28
	v_cmp_eq_u32_e32 vcc, 0, v29
	s_waitcnt lgkmcnt(0)
	v_lshrrev_b32_e32 v30, 16, v26
	v_max_i16_sdwa v31, v25, v25 dst_sel:DWORD dst_unused:UNUSED_PAD src0_sel:DWORD src1_sel:WORD_1
	v_max3_i16 v31, v31, v26, v30
	v_and_b32_e32 v32, 0xffff, v31
	s_mov_b32 s33, 0x5040100
	s_nop 0
	v_mov_b32_dpp v32, v32 row_shr:1 row_mask:0xf bank_mask:0xf
	v_max_i16_e32 v32, v32, v31
	v_cndmask_b32_e32 v31, v32, v31, vcc
	v_and_b32_e32 v32, 0xffff, v31
	v_cmp_lt_u32_e32 vcc, 1, v29
	s_nop 0
	v_mov_b32_dpp v32, v32 row_shr:2 row_mask:0xf bank_mask:0xf
	v_max_i16_e32 v32, v32, v31
	v_cndmask_b32_e32 v31, v31, v32, vcc
	v_and_b32_e32 v32, 0xffff, v31
	v_cmp_lt_u32_e32 vcc, 3, v29
	s_nop 0
	v_mov_b32_dpp v32, v32 row_shr:4 row_mask:0xf bank_mask:0xf
	v_max_i16_e32 v32, v32, v31
	v_cndmask_b32_e32 v31, v31, v32, vcc
	v_and_b32_e32 v32, 0xffff, v31
	v_cmp_lt_u32_e32 vcc, 7, v29
	s_nop 0
	v_mov_b32_dpp v32, v32 row_shr:8 row_mask:0xf bank_mask:0xf
	v_max_i16_e32 v32, v32, v31
	v_cndmask_b32_e32 v29, v31, v32, vcc
	v_and_b32_e32 v31, 0xffff, v29
	v_and_b32_e32 v32, 16, v28
	v_cmp_eq_u32_e32 vcc, 0, v32
	v_mov_b32_dpp v31, v31 row_bcast:15 row_mask:0xf bank_mask:0xf
	v_max_i16_e32 v31, v31, v29
	v_cndmask_b32_e32 v29, v31, v29, vcc
	v_and_b32_e32 v31, 0xffff, v29
	v_cmp_lt_u32_e32 vcc, 31, v28
	v_and_b32_e32 v32, 64, v28
	v_mov_b32_dpp v31, v31 row_bcast:31 row_mask:0xf bank_mask:0xf
	v_max_i16_e32 v31, v31, v29
	v_cndmask_b32_e32 v29, v29, v31, vcc
	v_add_u32_e32 v31, -1, v28
	v_cmp_lt_i32_e32 vcc, v31, v32
	v_cndmask_b32_e32 v28, v31, v28, vcc
	v_lshlrev_b32_e32 v28, 2, v28
	v_and_b32_e32 v29, 0xffff, v29
	ds_bpermute_b32 v28, v28, v29
	v_cmp_eq_u32_e32 vcc, 0, v0
	s_waitcnt lgkmcnt(0)
	v_max_i16_e32 v28, v28, v25
	v_cndmask_b32_e32 v24, v28, v24, vcc
	v_max_i16_sdwa v25, v24, v25 dst_sel:DWORD dst_unused:UNUSED_PAD src0_sel:DWORD src1_sel:WORD_1
	v_max_i16_e32 v26, v25, v26
	v_max_i16_e32 v28, v26, v30
	v_perm_b32 v24, v25, v24, s33
	v_perm_b32 v25, v28, v26, s33
	ds_write_b64 v27, v[24:25]
.LBB87_50:
	s_or_b64 exec, exec, s[52:53]
	s_load_dword s33, s[4:5], 0x18
	v_mul_u32_u24_e32 v24, 46, v0
	v_cmp_ne_u32_e32 vcc, 0, v0
	s_waitcnt lgkmcnt(0)
	s_barrier
	v_mov_b32_e32 v25, s33
	s_and_saveexec_b64 s[52:53], vcc
	s_cbranch_execz .LBB87_52
; %bb.51:
	v_add_u32_e32 v25, -1, v0
	v_lshrrev_b32_e32 v26, 4, v25
	v_and_b32_e32 v26, 0xffffffe, v26
	v_lshl_add_u32 v25, v25, 1, v26
	ds_read_u16 v25, v25
	s_waitcnt lgkmcnt(0)
	v_max_i16_e32 v25, s33, v25
.LBB87_52:
	s_or_b64 exec, exec, s[52:53]
	v_max_i16_e32 v26, v25, v9
	v_max_i16_sdwa v9, v26, v9 dst_sel:DWORD dst_unused:UNUSED_PAD src0_sel:DWORD src1_sel:WORD_1
	v_max_i16_e32 v10, v9, v10
	v_max_i16_e32 v23, v10, v23
	;; [unrolled: 1-line block ×20, first 2 shown]
	s_mov_b32 s33, 0x5040100
	v_max_i16_e32 v30, v13, v4
	v_add_u32_e32 v24, v19, v24
	v_perm_b32 v2, v10, v9, s33
	v_perm_b32 v3, v11, v23, s33
	;; [unrolled: 1-line block ×4, first 2 shown]
	s_barrier
	ds_write_b128 v24, v[1:4]
	v_perm_b32 v1, v5, v21, s33
	v_perm_b32 v2, v6, v20, s33
	;; [unrolled: 1-line block ×4, first 2 shown]
	ds_write_b128 v24, v[1:4] offset:16
	v_perm_b32 v1, v27, v16, s33
	v_perm_b32 v2, v28, v15, s33
	;; [unrolled: 1-line block ×4, first 2 shown]
	ds_write_b128 v24, v[1:4] offset:32
	s_waitcnt lgkmcnt(0)
	s_barrier
	ds_read_u16 v25, v19 offset:512
	ds_read_u16 v24, v19 offset:1024
	;; [unrolled: 1-line block ×23, first 2 shown]
	s_load_dwordx2 s[4:5], s[4:5], 0x20
	v_lshlrev_b32_e32 v0, 2, v0
	s_waitcnt lgkmcnt(0)
	v_mov_b32_e32 v1, s5
	v_add_co_u32_e32 v0, vcc, s4, v0
	v_addc_co_u32_e32 v1, vcc, 0, v1, vcc
	s_and_saveexec_b64 s[4:5], s[0:1]
	s_cbranch_execnz .LBB87_77
; %bb.53:
	s_or_b64 exec, exec, s[4:5]
	s_and_saveexec_b64 s[0:1], s[2:3]
	s_cbranch_execnz .LBB87_78
.LBB87_54:
	s_or_b64 exec, exec, s[0:1]
	s_and_saveexec_b64 s[0:1], s[6:7]
	s_cbranch_execnz .LBB87_79
.LBB87_55:
	s_or_b64 exec, exec, s[0:1]
	s_and_saveexec_b64 s[0:1], s[8:9]
	s_cbranch_execnz .LBB87_80
.LBB87_56:
	s_or_b64 exec, exec, s[0:1]
	s_and_saveexec_b64 s[0:1], s[10:11]
	s_cbranch_execnz .LBB87_81
.LBB87_57:
	s_or_b64 exec, exec, s[0:1]
	s_and_saveexec_b64 s[0:1], s[12:13]
	s_cbranch_execnz .LBB87_82
.LBB87_58:
	s_or_b64 exec, exec, s[0:1]
	s_and_saveexec_b64 s[0:1], s[14:15]
	s_cbranch_execnz .LBB87_83
.LBB87_59:
	s_or_b64 exec, exec, s[0:1]
	s_and_saveexec_b64 s[0:1], s[16:17]
	s_cbranch_execnz .LBB87_84
.LBB87_60:
	s_or_b64 exec, exec, s[0:1]
	s_and_saveexec_b64 s[0:1], s[18:19]
	s_cbranch_execnz .LBB87_85
.LBB87_61:
	s_or_b64 exec, exec, s[0:1]
	s_and_saveexec_b64 s[0:1], s[20:21]
	s_cbranch_execnz .LBB87_86
.LBB87_62:
	s_or_b64 exec, exec, s[0:1]
	s_and_saveexec_b64 s[0:1], s[22:23]
	s_cbranch_execnz .LBB87_87
.LBB87_63:
	s_or_b64 exec, exec, s[0:1]
	s_and_saveexec_b64 s[0:1], s[24:25]
	s_cbranch_execnz .LBB87_88
.LBB87_64:
	s_or_b64 exec, exec, s[0:1]
	s_and_saveexec_b64 s[0:1], s[26:27]
	s_cbranch_execnz .LBB87_89
.LBB87_65:
	s_or_b64 exec, exec, s[0:1]
	s_and_saveexec_b64 s[0:1], s[28:29]
	s_cbranch_execnz .LBB87_90
.LBB87_66:
	s_or_b64 exec, exec, s[0:1]
	s_and_saveexec_b64 s[0:1], s[30:31]
	s_cbranch_execnz .LBB87_91
.LBB87_67:
	s_or_b64 exec, exec, s[0:1]
	s_and_saveexec_b64 s[0:1], s[34:35]
	s_cbranch_execnz .LBB87_92
.LBB87_68:
	s_or_b64 exec, exec, s[0:1]
	s_and_saveexec_b64 s[0:1], s[36:37]
	s_cbranch_execnz .LBB87_93
.LBB87_69:
	s_or_b64 exec, exec, s[0:1]
	s_and_saveexec_b64 s[0:1], s[38:39]
	s_cbranch_execnz .LBB87_94
.LBB87_70:
	s_or_b64 exec, exec, s[0:1]
	s_and_saveexec_b64 s[0:1], s[40:41]
	s_cbranch_execnz .LBB87_95
.LBB87_71:
	s_or_b64 exec, exec, s[0:1]
	s_and_saveexec_b64 s[0:1], s[42:43]
	s_cbranch_execnz .LBB87_96
.LBB87_72:
	s_or_b64 exec, exec, s[0:1]
	s_and_saveexec_b64 s[0:1], s[44:45]
	s_cbranch_execnz .LBB87_97
.LBB87_73:
	s_or_b64 exec, exec, s[0:1]
	s_and_saveexec_b64 s[0:1], s[46:47]
	s_cbranch_execnz .LBB87_98
.LBB87_74:
	s_or_b64 exec, exec, s[0:1]
	s_and_saveexec_b64 s[0:1], s[48:49]
	s_cbranch_execnz .LBB87_99
.LBB87_75:
	s_or_b64 exec, exec, s[0:1]
	s_and_saveexec_b64 s[0:1], s[50:51]
	s_cbranch_execnz .LBB87_100
.LBB87_76:
	s_endpgm
.LBB87_77:
	ds_read_i16 v19, v19
	s_waitcnt lgkmcnt(0)
	v_cvt_f32_i32_e32 v19, v19
	global_store_dword v[0:1], v19, off
	s_or_b64 exec, exec, s[4:5]
	s_and_saveexec_b64 s[0:1], s[2:3]
	s_cbranch_execz .LBB87_54
.LBB87_78:
	v_cvt_f32_i32_sdwa v19, sext(v25) dst_sel:DWORD dst_unused:UNUSED_PAD src0_sel:WORD_0
	global_store_dword v[0:1], v19, off offset:1024
	s_or_b64 exec, exec, s[0:1]
	s_and_saveexec_b64 s[0:1], s[6:7]
	s_cbranch_execz .LBB87_55
.LBB87_79:
	v_cvt_f32_i32_sdwa v19, sext(v24) dst_sel:DWORD dst_unused:UNUSED_PAD src0_sel:WORD_0
	global_store_dword v[0:1], v19, off offset:2048
	s_or_b64 exec, exec, s[0:1]
	s_and_saveexec_b64 s[0:1], s[8:9]
	s_cbranch_execz .LBB87_56
.LBB87_80:
	v_cvt_f32_i32_sdwa v19, sext(v23) dst_sel:DWORD dst_unused:UNUSED_PAD src0_sel:WORD_0
	global_store_dword v[0:1], v19, off offset:3072
	s_or_b64 exec, exec, s[0:1]
	s_and_saveexec_b64 s[0:1], s[10:11]
	s_cbranch_execz .LBB87_57
.LBB87_81:
	v_cvt_f32_i32_sdwa v19, sext(v22) dst_sel:DWORD dst_unused:UNUSED_PAD src0_sel:WORD_0
	v_add_co_u32_e32 v22, vcc, 0x1000, v0
	v_addc_co_u32_e32 v23, vcc, 0, v1, vcc
	global_store_dword v[22:23], v19, off
	s_or_b64 exec, exec, s[0:1]
	s_and_saveexec_b64 s[0:1], s[12:13]
	s_cbranch_execz .LBB87_58
.LBB87_82:
	v_cvt_f32_i32_sdwa v19, sext(v21) dst_sel:DWORD dst_unused:UNUSED_PAD src0_sel:WORD_0
	v_add_co_u32_e32 v21, vcc, 0x1000, v0
	v_addc_co_u32_e32 v22, vcc, 0, v1, vcc
	global_store_dword v[21:22], v19, off offset:1024
	s_or_b64 exec, exec, s[0:1]
	s_and_saveexec_b64 s[0:1], s[14:15]
	s_cbranch_execz .LBB87_59
.LBB87_83:
	v_cvt_f32_i32_sdwa v21, sext(v20) dst_sel:DWORD dst_unused:UNUSED_PAD src0_sel:WORD_0
	v_add_co_u32_e32 v19, vcc, 0x1000, v0
	v_addc_co_u32_e32 v20, vcc, 0, v1, vcc
	global_store_dword v[19:20], v21, off offset:2048
	s_or_b64 exec, exec, s[0:1]
	s_and_saveexec_b64 s[0:1], s[16:17]
	s_cbranch_execz .LBB87_60
.LBB87_84:
	v_cvt_f32_i32_sdwa v20, sext(v18) dst_sel:DWORD dst_unused:UNUSED_PAD src0_sel:WORD_0
	v_add_co_u32_e32 v18, vcc, 0x1000, v0
	v_addc_co_u32_e32 v19, vcc, 0, v1, vcc
	global_store_dword v[18:19], v20, off offset:3072
	s_or_b64 exec, exec, s[0:1]
	s_and_saveexec_b64 s[0:1], s[18:19]
	s_cbranch_execz .LBB87_61
.LBB87_85:
	v_cvt_f32_i32_sdwa v19, sext(v17) dst_sel:DWORD dst_unused:UNUSED_PAD src0_sel:WORD_0
	v_add_co_u32_e32 v17, vcc, 0x2000, v0
	v_addc_co_u32_e32 v18, vcc, 0, v1, vcc
	global_store_dword v[17:18], v19, off
	s_or_b64 exec, exec, s[0:1]
	s_and_saveexec_b64 s[0:1], s[20:21]
	s_cbranch_execz .LBB87_62
.LBB87_86:
	v_cvt_f32_i32_sdwa v18, sext(v16) dst_sel:DWORD dst_unused:UNUSED_PAD src0_sel:WORD_0
	v_add_co_u32_e32 v16, vcc, 0x2000, v0
	v_addc_co_u32_e32 v17, vcc, 0, v1, vcc
	global_store_dword v[16:17], v18, off offset:1024
	s_or_b64 exec, exec, s[0:1]
	s_and_saveexec_b64 s[0:1], s[22:23]
	s_cbranch_execz .LBB87_63
.LBB87_87:
	v_cvt_f32_i32_sdwa v17, sext(v15) dst_sel:DWORD dst_unused:UNUSED_PAD src0_sel:WORD_0
	v_add_co_u32_e32 v15, vcc, 0x2000, v0
	v_addc_co_u32_e32 v16, vcc, 0, v1, vcc
	global_store_dword v[15:16], v17, off offset:2048
	s_or_b64 exec, exec, s[0:1]
	s_and_saveexec_b64 s[0:1], s[24:25]
	s_cbranch_execz .LBB87_64
.LBB87_88:
	v_cvt_f32_i32_sdwa v16, sext(v14) dst_sel:DWORD dst_unused:UNUSED_PAD src0_sel:WORD_0
	v_add_co_u32_e32 v14, vcc, 0x2000, v0
	v_addc_co_u32_e32 v15, vcc, 0, v1, vcc
	global_store_dword v[14:15], v16, off offset:3072
	s_or_b64 exec, exec, s[0:1]
	s_and_saveexec_b64 s[0:1], s[26:27]
	s_cbranch_execz .LBB87_65
.LBB87_89:
	v_cvt_f32_i32_sdwa v15, sext(v13) dst_sel:DWORD dst_unused:UNUSED_PAD src0_sel:WORD_0
	v_add_co_u32_e32 v13, vcc, 0x3000, v0
	v_addc_co_u32_e32 v14, vcc, 0, v1, vcc
	global_store_dword v[13:14], v15, off
	s_or_b64 exec, exec, s[0:1]
	s_and_saveexec_b64 s[0:1], s[28:29]
	s_cbranch_execz .LBB87_66
.LBB87_90:
	v_cvt_f32_i32_sdwa v14, sext(v12) dst_sel:DWORD dst_unused:UNUSED_PAD src0_sel:WORD_0
	v_add_co_u32_e32 v12, vcc, 0x3000, v0
	v_addc_co_u32_e32 v13, vcc, 0, v1, vcc
	global_store_dword v[12:13], v14, off offset:1024
	s_or_b64 exec, exec, s[0:1]
	s_and_saveexec_b64 s[0:1], s[30:31]
	s_cbranch_execz .LBB87_67
.LBB87_91:
	v_cvt_f32_i32_sdwa v13, sext(v11) dst_sel:DWORD dst_unused:UNUSED_PAD src0_sel:WORD_0
	v_add_co_u32_e32 v11, vcc, 0x3000, v0
	v_addc_co_u32_e32 v12, vcc, 0, v1, vcc
	global_store_dword v[11:12], v13, off offset:2048
	s_or_b64 exec, exec, s[0:1]
	s_and_saveexec_b64 s[0:1], s[34:35]
	s_cbranch_execz .LBB87_68
.LBB87_92:
	v_cvt_f32_i32_sdwa v12, sext(v10) dst_sel:DWORD dst_unused:UNUSED_PAD src0_sel:WORD_0
	v_add_co_u32_e32 v10, vcc, 0x3000, v0
	v_addc_co_u32_e32 v11, vcc, 0, v1, vcc
	global_store_dword v[10:11], v12, off offset:3072
	s_or_b64 exec, exec, s[0:1]
	s_and_saveexec_b64 s[0:1], s[36:37]
	s_cbranch_execz .LBB87_69
.LBB87_93:
	v_cvt_f32_i32_sdwa v11, sext(v9) dst_sel:DWORD dst_unused:UNUSED_PAD src0_sel:WORD_0
	v_add_co_u32_e32 v9, vcc, 0x4000, v0
	v_addc_co_u32_e32 v10, vcc, 0, v1, vcc
	global_store_dword v[9:10], v11, off
	s_or_b64 exec, exec, s[0:1]
	s_and_saveexec_b64 s[0:1], s[38:39]
	s_cbranch_execz .LBB87_70
.LBB87_94:
	v_cvt_f32_i32_sdwa v10, sext(v8) dst_sel:DWORD dst_unused:UNUSED_PAD src0_sel:WORD_0
	v_add_co_u32_e32 v8, vcc, 0x4000, v0
	v_addc_co_u32_e32 v9, vcc, 0, v1, vcc
	global_store_dword v[8:9], v10, off offset:1024
	s_or_b64 exec, exec, s[0:1]
	s_and_saveexec_b64 s[0:1], s[40:41]
	s_cbranch_execz .LBB87_71
.LBB87_95:
	v_cvt_f32_i32_sdwa v9, sext(v7) dst_sel:DWORD dst_unused:UNUSED_PAD src0_sel:WORD_0
	v_add_co_u32_e32 v7, vcc, 0x4000, v0
	v_addc_co_u32_e32 v8, vcc, 0, v1, vcc
	global_store_dword v[7:8], v9, off offset:2048
	s_or_b64 exec, exec, s[0:1]
	s_and_saveexec_b64 s[0:1], s[42:43]
	s_cbranch_execz .LBB87_72
.LBB87_96:
	v_cvt_f32_i32_sdwa v8, sext(v6) dst_sel:DWORD dst_unused:UNUSED_PAD src0_sel:WORD_0
	v_add_co_u32_e32 v6, vcc, 0x4000, v0
	v_addc_co_u32_e32 v7, vcc, 0, v1, vcc
	global_store_dword v[6:7], v8, off offset:3072
	s_or_b64 exec, exec, s[0:1]
	s_and_saveexec_b64 s[0:1], s[44:45]
	s_cbranch_execz .LBB87_73
.LBB87_97:
	v_cvt_f32_i32_sdwa v7, sext(v5) dst_sel:DWORD dst_unused:UNUSED_PAD src0_sel:WORD_0
	v_add_co_u32_e32 v5, vcc, 0x5000, v0
	v_addc_co_u32_e32 v6, vcc, 0, v1, vcc
	global_store_dword v[5:6], v7, off
	s_or_b64 exec, exec, s[0:1]
	s_and_saveexec_b64 s[0:1], s[46:47]
	s_cbranch_execz .LBB87_74
.LBB87_98:
	v_cvt_f32_i32_sdwa v6, sext(v4) dst_sel:DWORD dst_unused:UNUSED_PAD src0_sel:WORD_0
	v_add_co_u32_e32 v4, vcc, 0x5000, v0
	v_addc_co_u32_e32 v5, vcc, 0, v1, vcc
	global_store_dword v[4:5], v6, off offset:1024
	s_or_b64 exec, exec, s[0:1]
	s_and_saveexec_b64 s[0:1], s[48:49]
	s_cbranch_execz .LBB87_75
.LBB87_99:
	v_cvt_f32_i32_sdwa v5, sext(v3) dst_sel:DWORD dst_unused:UNUSED_PAD src0_sel:WORD_0
	v_add_co_u32_e32 v3, vcc, 0x5000, v0
	v_addc_co_u32_e32 v4, vcc, 0, v1, vcc
	global_store_dword v[3:4], v5, off offset:2048
	s_or_b64 exec, exec, s[0:1]
	s_and_saveexec_b64 s[0:1], s[50:51]
	s_cbranch_execz .LBB87_76
.LBB87_100:
	v_cvt_f32_i32_sdwa v2, sext(v2) dst_sel:DWORD dst_unused:UNUSED_PAD src0_sel:WORD_0
	v_add_co_u32_e32 v0, vcc, 0x5000, v0
	v_addc_co_u32_e32 v1, vcc, 0, v1, vcc
	global_store_dword v[0:1], v2, off offset:3072
	s_endpgm
	.section	.rodata,"a",@progbits
	.p2align	6, 0x0
	.amdhsa_kernel _ZN7rocprim6detail18single_scan_kernelILb1ENS0_19wrapped_scan_configINS_14default_configEsEEN6hipcub22TransformInputIteratorIsNS5_6CastOpIsEEPslEEPfNS5_3MaxEssEEvT1_mT4_T2_T3_
		.amdhsa_group_segment_fixed_size 12288
		.amdhsa_private_segment_fixed_size 0
		.amdhsa_kernarg_size 44
		.amdhsa_user_sgpr_count 6
		.amdhsa_user_sgpr_private_segment_buffer 1
		.amdhsa_user_sgpr_dispatch_ptr 0
		.amdhsa_user_sgpr_queue_ptr 0
		.amdhsa_user_sgpr_kernarg_segment_ptr 1
		.amdhsa_user_sgpr_dispatch_id 0
		.amdhsa_user_sgpr_flat_scratch_init 0
		.amdhsa_user_sgpr_private_segment_size 0
		.amdhsa_uses_dynamic_stack 0
		.amdhsa_system_sgpr_private_segment_wavefront_offset 0
		.amdhsa_system_sgpr_workgroup_id_x 1
		.amdhsa_system_sgpr_workgroup_id_y 0
		.amdhsa_system_sgpr_workgroup_id_z 0
		.amdhsa_system_sgpr_workgroup_info 0
		.amdhsa_system_vgpr_workitem_id 0
		.amdhsa_next_free_vgpr 41
		.amdhsa_next_free_sgpr 98
		.amdhsa_reserve_vcc 1
		.amdhsa_reserve_flat_scratch 0
		.amdhsa_float_round_mode_32 0
		.amdhsa_float_round_mode_16_64 0
		.amdhsa_float_denorm_mode_32 3
		.amdhsa_float_denorm_mode_16_64 3
		.amdhsa_dx10_clamp 1
		.amdhsa_ieee_mode 1
		.amdhsa_fp16_overflow 0
		.amdhsa_exception_fp_ieee_invalid_op 0
		.amdhsa_exception_fp_denorm_src 0
		.amdhsa_exception_fp_ieee_div_zero 0
		.amdhsa_exception_fp_ieee_overflow 0
		.amdhsa_exception_fp_ieee_underflow 0
		.amdhsa_exception_fp_ieee_inexact 0
		.amdhsa_exception_int_div_zero 0
	.end_amdhsa_kernel
	.section	.text._ZN7rocprim6detail18single_scan_kernelILb1ENS0_19wrapped_scan_configINS_14default_configEsEEN6hipcub22TransformInputIteratorIsNS5_6CastOpIsEEPslEEPfNS5_3MaxEssEEvT1_mT4_T2_T3_,"axG",@progbits,_ZN7rocprim6detail18single_scan_kernelILb1ENS0_19wrapped_scan_configINS_14default_configEsEEN6hipcub22TransformInputIteratorIsNS5_6CastOpIsEEPslEEPfNS5_3MaxEssEEvT1_mT4_T2_T3_,comdat
.Lfunc_end87:
	.size	_ZN7rocprim6detail18single_scan_kernelILb1ENS0_19wrapped_scan_configINS_14default_configEsEEN6hipcub22TransformInputIteratorIsNS5_6CastOpIsEEPslEEPfNS5_3MaxEssEEvT1_mT4_T2_T3_, .Lfunc_end87-_ZN7rocprim6detail18single_scan_kernelILb1ENS0_19wrapped_scan_configINS_14default_configEsEEN6hipcub22TransformInputIteratorIsNS5_6CastOpIsEEPslEEPfNS5_3MaxEssEEvT1_mT4_T2_T3_
                                        ; -- End function
	.set _ZN7rocprim6detail18single_scan_kernelILb1ENS0_19wrapped_scan_configINS_14default_configEsEEN6hipcub22TransformInputIteratorIsNS5_6CastOpIsEEPslEEPfNS5_3MaxEssEEvT1_mT4_T2_T3_.num_vgpr, 33
	.set _ZN7rocprim6detail18single_scan_kernelILb1ENS0_19wrapped_scan_configINS_14default_configEsEEN6hipcub22TransformInputIteratorIsNS5_6CastOpIsEEPslEEPfNS5_3MaxEssEEvT1_mT4_T2_T3_.num_agpr, 0
	.set _ZN7rocprim6detail18single_scan_kernelILb1ENS0_19wrapped_scan_configINS_14default_configEsEEN6hipcub22TransformInputIteratorIsNS5_6CastOpIsEEPslEEPfNS5_3MaxEssEEvT1_mT4_T2_T3_.numbered_sgpr, 54
	.set _ZN7rocprim6detail18single_scan_kernelILb1ENS0_19wrapped_scan_configINS_14default_configEsEEN6hipcub22TransformInputIteratorIsNS5_6CastOpIsEEPslEEPfNS5_3MaxEssEEvT1_mT4_T2_T3_.num_named_barrier, 0
	.set _ZN7rocprim6detail18single_scan_kernelILb1ENS0_19wrapped_scan_configINS_14default_configEsEEN6hipcub22TransformInputIteratorIsNS5_6CastOpIsEEPslEEPfNS5_3MaxEssEEvT1_mT4_T2_T3_.private_seg_size, 0
	.set _ZN7rocprim6detail18single_scan_kernelILb1ENS0_19wrapped_scan_configINS_14default_configEsEEN6hipcub22TransformInputIteratorIsNS5_6CastOpIsEEPslEEPfNS5_3MaxEssEEvT1_mT4_T2_T3_.uses_vcc, 1
	.set _ZN7rocprim6detail18single_scan_kernelILb1ENS0_19wrapped_scan_configINS_14default_configEsEEN6hipcub22TransformInputIteratorIsNS5_6CastOpIsEEPslEEPfNS5_3MaxEssEEvT1_mT4_T2_T3_.uses_flat_scratch, 0
	.set _ZN7rocprim6detail18single_scan_kernelILb1ENS0_19wrapped_scan_configINS_14default_configEsEEN6hipcub22TransformInputIteratorIsNS5_6CastOpIsEEPslEEPfNS5_3MaxEssEEvT1_mT4_T2_T3_.has_dyn_sized_stack, 0
	.set _ZN7rocprim6detail18single_scan_kernelILb1ENS0_19wrapped_scan_configINS_14default_configEsEEN6hipcub22TransformInputIteratorIsNS5_6CastOpIsEEPslEEPfNS5_3MaxEssEEvT1_mT4_T2_T3_.has_recursion, 0
	.set _ZN7rocprim6detail18single_scan_kernelILb1ENS0_19wrapped_scan_configINS_14default_configEsEEN6hipcub22TransformInputIteratorIsNS5_6CastOpIsEEPslEEPfNS5_3MaxEssEEvT1_mT4_T2_T3_.has_indirect_call, 0
	.section	.AMDGPU.csdata,"",@progbits
; Kernel info:
; codeLenInByte = 4260
; TotalNumSgprs: 58
; NumVgprs: 33
; ScratchSize: 0
; MemoryBound: 0
; FloatMode: 240
; IeeeMode: 1
; LDSByteSize: 12288 bytes/workgroup (compile time only)
; SGPRBlocks: 12
; VGPRBlocks: 10
; NumSGPRsForWavesPerEU: 102
; NumVGPRsForWavesPerEU: 41
; Occupancy: 5
; WaveLimiterHint : 0
; COMPUTE_PGM_RSRC2:SCRATCH_EN: 0
; COMPUTE_PGM_RSRC2:USER_SGPR: 6
; COMPUTE_PGM_RSRC2:TRAP_HANDLER: 0
; COMPUTE_PGM_RSRC2:TGID_X_EN: 1
; COMPUTE_PGM_RSRC2:TGID_Y_EN: 0
; COMPUTE_PGM_RSRC2:TGID_Z_EN: 0
; COMPUTE_PGM_RSRC2:TIDIG_COMP_CNT: 0
	.section	.text._ZN7rocprim6detail20lookback_scan_kernelILNS0_25lookback_scan_determinismE0ELb1ENS0_19wrapped_scan_configINS_14default_configEmEEPmS6_N6hipcub3SumEmmNS0_19lookback_scan_stateImLb1ELb1EEEEEvT2_T3_mT5_T4_T7_jPT6_SH_bb,"axG",@progbits,_ZN7rocprim6detail20lookback_scan_kernelILNS0_25lookback_scan_determinismE0ELb1ENS0_19wrapped_scan_configINS_14default_configEmEEPmS6_N6hipcub3SumEmmNS0_19lookback_scan_stateImLb1ELb1EEEEEvT2_T3_mT5_T4_T7_jPT6_SH_bb,comdat
	.protected	_ZN7rocprim6detail20lookback_scan_kernelILNS0_25lookback_scan_determinismE0ELb1ENS0_19wrapped_scan_configINS_14default_configEmEEPmS6_N6hipcub3SumEmmNS0_19lookback_scan_stateImLb1ELb1EEEEEvT2_T3_mT5_T4_T7_jPT6_SH_bb ; -- Begin function _ZN7rocprim6detail20lookback_scan_kernelILNS0_25lookback_scan_determinismE0ELb1ENS0_19wrapped_scan_configINS_14default_configEmEEPmS6_N6hipcub3SumEmmNS0_19lookback_scan_stateImLb1ELb1EEEEEvT2_T3_mT5_T4_T7_jPT6_SH_bb
	.globl	_ZN7rocprim6detail20lookback_scan_kernelILNS0_25lookback_scan_determinismE0ELb1ENS0_19wrapped_scan_configINS_14default_configEmEEPmS6_N6hipcub3SumEmmNS0_19lookback_scan_stateImLb1ELb1EEEEEvT2_T3_mT5_T4_T7_jPT6_SH_bb
	.p2align	8
	.type	_ZN7rocprim6detail20lookback_scan_kernelILNS0_25lookback_scan_determinismE0ELb1ENS0_19wrapped_scan_configINS_14default_configEmEEPmS6_N6hipcub3SumEmmNS0_19lookback_scan_stateImLb1ELb1EEEEEvT2_T3_mT5_T4_T7_jPT6_SH_bb,@function
_ZN7rocprim6detail20lookback_scan_kernelILNS0_25lookback_scan_determinismE0ELb1ENS0_19wrapped_scan_configINS_14default_configEmEEPmS6_N6hipcub3SumEmmNS0_19lookback_scan_stateImLb1ELb1EEEEEvT2_T3_mT5_T4_T7_jPT6_SH_bb: ; @_ZN7rocprim6detail20lookback_scan_kernelILNS0_25lookback_scan_determinismE0ELb1ENS0_19wrapped_scan_configINS_14default_configEmEEPmS6_N6hipcub3SumEmmNS0_19lookback_scan_stateImLb1ELb1EEEEEvT2_T3_mT5_T4_T7_jPT6_SH_bb
; %bb.0:
	s_endpgm
	.section	.rodata,"a",@progbits
	.p2align	6, 0x0
	.amdhsa_kernel _ZN7rocprim6detail20lookback_scan_kernelILNS0_25lookback_scan_determinismE0ELb1ENS0_19wrapped_scan_configINS_14default_configEmEEPmS6_N6hipcub3SumEmmNS0_19lookback_scan_stateImLb1ELb1EEEEEvT2_T3_mT5_T4_T7_jPT6_SH_bb
		.amdhsa_group_segment_fixed_size 0
		.amdhsa_private_segment_fixed_size 0
		.amdhsa_kernarg_size 76
		.amdhsa_user_sgpr_count 6
		.amdhsa_user_sgpr_private_segment_buffer 1
		.amdhsa_user_sgpr_dispatch_ptr 0
		.amdhsa_user_sgpr_queue_ptr 0
		.amdhsa_user_sgpr_kernarg_segment_ptr 1
		.amdhsa_user_sgpr_dispatch_id 0
		.amdhsa_user_sgpr_flat_scratch_init 0
		.amdhsa_user_sgpr_private_segment_size 0
		.amdhsa_uses_dynamic_stack 0
		.amdhsa_system_sgpr_private_segment_wavefront_offset 0
		.amdhsa_system_sgpr_workgroup_id_x 1
		.amdhsa_system_sgpr_workgroup_id_y 0
		.amdhsa_system_sgpr_workgroup_id_z 0
		.amdhsa_system_sgpr_workgroup_info 0
		.amdhsa_system_vgpr_workitem_id 0
		.amdhsa_next_free_vgpr 1
		.amdhsa_next_free_sgpr 0
		.amdhsa_reserve_vcc 0
		.amdhsa_reserve_flat_scratch 0
		.amdhsa_float_round_mode_32 0
		.amdhsa_float_round_mode_16_64 0
		.amdhsa_float_denorm_mode_32 3
		.amdhsa_float_denorm_mode_16_64 3
		.amdhsa_dx10_clamp 1
		.amdhsa_ieee_mode 1
		.amdhsa_fp16_overflow 0
		.amdhsa_exception_fp_ieee_invalid_op 0
		.amdhsa_exception_fp_denorm_src 0
		.amdhsa_exception_fp_ieee_div_zero 0
		.amdhsa_exception_fp_ieee_overflow 0
		.amdhsa_exception_fp_ieee_underflow 0
		.amdhsa_exception_fp_ieee_inexact 0
		.amdhsa_exception_int_div_zero 0
	.end_amdhsa_kernel
	.section	.text._ZN7rocprim6detail20lookback_scan_kernelILNS0_25lookback_scan_determinismE0ELb1ENS0_19wrapped_scan_configINS_14default_configEmEEPmS6_N6hipcub3SumEmmNS0_19lookback_scan_stateImLb1ELb1EEEEEvT2_T3_mT5_T4_T7_jPT6_SH_bb,"axG",@progbits,_ZN7rocprim6detail20lookback_scan_kernelILNS0_25lookback_scan_determinismE0ELb1ENS0_19wrapped_scan_configINS_14default_configEmEEPmS6_N6hipcub3SumEmmNS0_19lookback_scan_stateImLb1ELb1EEEEEvT2_T3_mT5_T4_T7_jPT6_SH_bb,comdat
.Lfunc_end88:
	.size	_ZN7rocprim6detail20lookback_scan_kernelILNS0_25lookback_scan_determinismE0ELb1ENS0_19wrapped_scan_configINS_14default_configEmEEPmS6_N6hipcub3SumEmmNS0_19lookback_scan_stateImLb1ELb1EEEEEvT2_T3_mT5_T4_T7_jPT6_SH_bb, .Lfunc_end88-_ZN7rocprim6detail20lookback_scan_kernelILNS0_25lookback_scan_determinismE0ELb1ENS0_19wrapped_scan_configINS_14default_configEmEEPmS6_N6hipcub3SumEmmNS0_19lookback_scan_stateImLb1ELb1EEEEEvT2_T3_mT5_T4_T7_jPT6_SH_bb
                                        ; -- End function
	.set _ZN7rocprim6detail20lookback_scan_kernelILNS0_25lookback_scan_determinismE0ELb1ENS0_19wrapped_scan_configINS_14default_configEmEEPmS6_N6hipcub3SumEmmNS0_19lookback_scan_stateImLb1ELb1EEEEEvT2_T3_mT5_T4_T7_jPT6_SH_bb.num_vgpr, 0
	.set _ZN7rocprim6detail20lookback_scan_kernelILNS0_25lookback_scan_determinismE0ELb1ENS0_19wrapped_scan_configINS_14default_configEmEEPmS6_N6hipcub3SumEmmNS0_19lookback_scan_stateImLb1ELb1EEEEEvT2_T3_mT5_T4_T7_jPT6_SH_bb.num_agpr, 0
	.set _ZN7rocprim6detail20lookback_scan_kernelILNS0_25lookback_scan_determinismE0ELb1ENS0_19wrapped_scan_configINS_14default_configEmEEPmS6_N6hipcub3SumEmmNS0_19lookback_scan_stateImLb1ELb1EEEEEvT2_T3_mT5_T4_T7_jPT6_SH_bb.numbered_sgpr, 0
	.set _ZN7rocprim6detail20lookback_scan_kernelILNS0_25lookback_scan_determinismE0ELb1ENS0_19wrapped_scan_configINS_14default_configEmEEPmS6_N6hipcub3SumEmmNS0_19lookback_scan_stateImLb1ELb1EEEEEvT2_T3_mT5_T4_T7_jPT6_SH_bb.num_named_barrier, 0
	.set _ZN7rocprim6detail20lookback_scan_kernelILNS0_25lookback_scan_determinismE0ELb1ENS0_19wrapped_scan_configINS_14default_configEmEEPmS6_N6hipcub3SumEmmNS0_19lookback_scan_stateImLb1ELb1EEEEEvT2_T3_mT5_T4_T7_jPT6_SH_bb.private_seg_size, 0
	.set _ZN7rocprim6detail20lookback_scan_kernelILNS0_25lookback_scan_determinismE0ELb1ENS0_19wrapped_scan_configINS_14default_configEmEEPmS6_N6hipcub3SumEmmNS0_19lookback_scan_stateImLb1ELb1EEEEEvT2_T3_mT5_T4_T7_jPT6_SH_bb.uses_vcc, 0
	.set _ZN7rocprim6detail20lookback_scan_kernelILNS0_25lookback_scan_determinismE0ELb1ENS0_19wrapped_scan_configINS_14default_configEmEEPmS6_N6hipcub3SumEmmNS0_19lookback_scan_stateImLb1ELb1EEEEEvT2_T3_mT5_T4_T7_jPT6_SH_bb.uses_flat_scratch, 0
	.set _ZN7rocprim6detail20lookback_scan_kernelILNS0_25lookback_scan_determinismE0ELb1ENS0_19wrapped_scan_configINS_14default_configEmEEPmS6_N6hipcub3SumEmmNS0_19lookback_scan_stateImLb1ELb1EEEEEvT2_T3_mT5_T4_T7_jPT6_SH_bb.has_dyn_sized_stack, 0
	.set _ZN7rocprim6detail20lookback_scan_kernelILNS0_25lookback_scan_determinismE0ELb1ENS0_19wrapped_scan_configINS_14default_configEmEEPmS6_N6hipcub3SumEmmNS0_19lookback_scan_stateImLb1ELb1EEEEEvT2_T3_mT5_T4_T7_jPT6_SH_bb.has_recursion, 0
	.set _ZN7rocprim6detail20lookback_scan_kernelILNS0_25lookback_scan_determinismE0ELb1ENS0_19wrapped_scan_configINS_14default_configEmEEPmS6_N6hipcub3SumEmmNS0_19lookback_scan_stateImLb1ELb1EEEEEvT2_T3_mT5_T4_T7_jPT6_SH_bb.has_indirect_call, 0
	.section	.AMDGPU.csdata,"",@progbits
; Kernel info:
; codeLenInByte = 4
; TotalNumSgprs: 4
; NumVgprs: 0
; ScratchSize: 0
; MemoryBound: 0
; FloatMode: 240
; IeeeMode: 1
; LDSByteSize: 0 bytes/workgroup (compile time only)
; SGPRBlocks: 0
; VGPRBlocks: 0
; NumSGPRsForWavesPerEU: 4
; NumVGPRsForWavesPerEU: 1
; Occupancy: 10
; WaveLimiterHint : 0
; COMPUTE_PGM_RSRC2:SCRATCH_EN: 0
; COMPUTE_PGM_RSRC2:USER_SGPR: 6
; COMPUTE_PGM_RSRC2:TRAP_HANDLER: 0
; COMPUTE_PGM_RSRC2:TGID_X_EN: 1
; COMPUTE_PGM_RSRC2:TGID_Y_EN: 0
; COMPUTE_PGM_RSRC2:TGID_Z_EN: 0
; COMPUTE_PGM_RSRC2:TIDIG_COMP_CNT: 0
	.section	.text._ZN7rocprim6detail20lookback_scan_kernelILNS0_25lookback_scan_determinismE0ELb1ENS0_19wrapped_scan_configINS_14default_configEmEEPmS6_N6hipcub3SumEmmNS0_19lookback_scan_stateImLb0ELb1EEEEEvT2_T3_mT5_T4_T7_jPT6_SH_bb,"axG",@progbits,_ZN7rocprim6detail20lookback_scan_kernelILNS0_25lookback_scan_determinismE0ELb1ENS0_19wrapped_scan_configINS_14default_configEmEEPmS6_N6hipcub3SumEmmNS0_19lookback_scan_stateImLb0ELb1EEEEEvT2_T3_mT5_T4_T7_jPT6_SH_bb,comdat
	.protected	_ZN7rocprim6detail20lookback_scan_kernelILNS0_25lookback_scan_determinismE0ELb1ENS0_19wrapped_scan_configINS_14default_configEmEEPmS6_N6hipcub3SumEmmNS0_19lookback_scan_stateImLb0ELb1EEEEEvT2_T3_mT5_T4_T7_jPT6_SH_bb ; -- Begin function _ZN7rocprim6detail20lookback_scan_kernelILNS0_25lookback_scan_determinismE0ELb1ENS0_19wrapped_scan_configINS_14default_configEmEEPmS6_N6hipcub3SumEmmNS0_19lookback_scan_stateImLb0ELb1EEEEEvT2_T3_mT5_T4_T7_jPT6_SH_bb
	.globl	_ZN7rocprim6detail20lookback_scan_kernelILNS0_25lookback_scan_determinismE0ELb1ENS0_19wrapped_scan_configINS_14default_configEmEEPmS6_N6hipcub3SumEmmNS0_19lookback_scan_stateImLb0ELb1EEEEEvT2_T3_mT5_T4_T7_jPT6_SH_bb
	.p2align	8
	.type	_ZN7rocprim6detail20lookback_scan_kernelILNS0_25lookback_scan_determinismE0ELb1ENS0_19wrapped_scan_configINS_14default_configEmEEPmS6_N6hipcub3SumEmmNS0_19lookback_scan_stateImLb0ELb1EEEEEvT2_T3_mT5_T4_T7_jPT6_SH_bb,@function
_ZN7rocprim6detail20lookback_scan_kernelILNS0_25lookback_scan_determinismE0ELb1ENS0_19wrapped_scan_configINS_14default_configEmEEPmS6_N6hipcub3SumEmmNS0_19lookback_scan_stateImLb0ELb1EEEEEvT2_T3_mT5_T4_T7_jPT6_SH_bb: ; @_ZN7rocprim6detail20lookback_scan_kernelILNS0_25lookback_scan_determinismE0ELb1ENS0_19wrapped_scan_configINS_14default_configEmEEPmS6_N6hipcub3SumEmmNS0_19lookback_scan_stateImLb0ELb1EEEEEvT2_T3_mT5_T4_T7_jPT6_SH_bb
; %bb.0:
	s_load_dword s1, s[4:5], 0x30
	s_load_dwordx8 s[8:15], s[4:5], 0x0
	s_mul_i32 s0, s6, 0x380
	v_lshlrev_b32_e32 v43, 3, v0
	s_waitcnt lgkmcnt(0)
	s_add_i32 s2, s1, -1
	s_mul_i32 s3, s2, 0x380
	s_sub_u32 s22, s12, s3
	s_subb_u32 s23, s13, 0
	s_mov_b32 s1, 0
	s_cmp_lg_u32 s6, s2
	s_cselect_b64 s[12:13], -1, 0
	s_lshl_b64 s[16:17], s[0:1], 3
	s_add_u32 s18, s8, s16
	s_addc_u32 s19, s9, s17
	s_mov_b64 s[0:1], -1
	s_and_b64 vcc, exec, s[12:13]
	s_cbranch_vccz .LBB89_2
; %bb.1:
	v_mov_b32_e32 v1, s19
	v_add_co_u32_e32 v17, vcc, s18, v43
	v_addc_co_u32_e32 v18, vcc, 0, v1, vcc
	v_add_co_u32_e32 v17, vcc, 0x1000, v17
	v_addc_co_u32_e32 v18, vcc, 0, v18, vcc
	global_load_dwordx2 v[1:2], v43, s[18:19]
	global_load_dwordx2 v[3:4], v43, s[18:19] offset:512
	global_load_dwordx2 v[5:6], v43, s[18:19] offset:1024
	;; [unrolled: 1-line block ×7, first 2 shown]
	global_load_dwordx2 v[19:20], v[17:18], off
	global_load_dwordx2 v[21:22], v[17:18], off offset:512
	global_load_dwordx2 v[23:24], v[17:18], off offset:1024
	;; [unrolled: 1-line block ×5, first 2 shown]
	s_mov_b64 s[0:1], 0
	s_waitcnt vmcnt(12)
	ds_write2st64_b64 v43, v[1:2], v[3:4] offset1:1
	s_waitcnt vmcnt(10)
	ds_write2st64_b64 v43, v[5:6], v[7:8] offset0:2 offset1:3
	s_waitcnt vmcnt(8)
	ds_write2st64_b64 v43, v[9:10], v[11:12] offset0:4 offset1:5
	;; [unrolled: 2-line block ×6, first 2 shown]
	s_waitcnt lgkmcnt(0)
	; wave barrier
.LBB89_2:
	s_andn2_b64 vcc, exec, s[0:1]
	v_cmp_gt_u32_e64 s[0:1], s22, v0
	s_cbranch_vccnz .LBB89_32
; %bb.3:
	s_load_dwordx2 s[2:3], s[18:19], 0x0
	v_mov_b32_e32 v1, s19
	v_add_co_u32_e32 v3, vcc, s18, v43
	v_addc_co_u32_e32 v4, vcc, 0, v1, vcc
	s_waitcnt lgkmcnt(0)
	v_mov_b32_e32 v1, s2
	v_mov_b32_e32 v2, s3
	s_and_saveexec_b64 s[18:19], s[0:1]
	s_cbranch_execz .LBB89_5
; %bb.4:
	global_load_dwordx2 v[1:2], v[3:4], off
.LBB89_5:
	s_or_b64 exec, exec, s[18:19]
	v_or_b32_e32 v5, 64, v0
	v_cmp_gt_u32_e32 vcc, s22, v5
	v_mov_b32_e32 v6, s3
	v_mov_b32_e32 v5, s2
	s_and_saveexec_b64 s[0:1], vcc
	s_cbranch_execz .LBB89_7
; %bb.6:
	global_load_dwordx2 v[5:6], v[3:4], off offset:512
.LBB89_7:
	s_or_b64 exec, exec, s[0:1]
	v_or_b32_e32 v7, 0x80, v0
	v_cmp_gt_u32_e32 vcc, s22, v7
	v_mov_b32_e32 v8, s3
	v_mov_b32_e32 v7, s2
	s_and_saveexec_b64 s[0:1], vcc
	s_cbranch_execz .LBB89_9
; %bb.8:
	global_load_dwordx2 v[7:8], v[3:4], off offset:1024
.LBB89_9:
	;; [unrolled: 10-line block ×7, first 2 shown]
	s_or_b64 exec, exec, s[0:1]
	v_or_b32_e32 v19, 0x200, v0
	v_cmp_gt_u32_e32 vcc, s22, v19
	v_mov_b32_e32 v20, s3
	v_mov_b32_e32 v19, s2
	s_and_saveexec_b64 s[0:1], vcc
	s_cbranch_execz .LBB89_21
; %bb.20:
	v_add_co_u32_e32 v19, vcc, 0x1000, v3
	v_addc_co_u32_e32 v20, vcc, 0, v4, vcc
	global_load_dwordx2 v[19:20], v[19:20], off
.LBB89_21:
	s_or_b64 exec, exec, s[0:1]
	v_or_b32_e32 v21, 0x240, v0
	v_cmp_gt_u32_e32 vcc, s22, v21
	v_mov_b32_e32 v22, s3
	v_mov_b32_e32 v21, s2
	s_and_saveexec_b64 s[0:1], vcc
	s_cbranch_execz .LBB89_23
; %bb.22:
	v_add_co_u32_e32 v21, vcc, 0x1000, v3
	v_addc_co_u32_e32 v22, vcc, 0, v4, vcc
	global_load_dwordx2 v[21:22], v[21:22], off offset:512
.LBB89_23:
	s_or_b64 exec, exec, s[0:1]
	v_or_b32_e32 v23, 0x280, v0
	v_cmp_gt_u32_e32 vcc, s22, v23
	v_mov_b32_e32 v24, s3
	v_mov_b32_e32 v23, s2
	s_and_saveexec_b64 s[0:1], vcc
	s_cbranch_execz .LBB89_25
; %bb.24:
	v_add_co_u32_e32 v23, vcc, 0x1000, v3
	v_addc_co_u32_e32 v24, vcc, 0, v4, vcc
	global_load_dwordx2 v[23:24], v[23:24], off offset:1024
.LBB89_25:
	;; [unrolled: 12-line block ×5, first 2 shown]
	s_or_b64 exec, exec, s[0:1]
	s_waitcnt vmcnt(0)
	ds_write2st64_b64 v43, v[1:2], v[5:6] offset1:1
	ds_write2st64_b64 v43, v[7:8], v[9:10] offset0:2 offset1:3
	ds_write2st64_b64 v43, v[11:12], v[13:14] offset0:4 offset1:5
	;; [unrolled: 1-line block ×6, first 2 shown]
	s_waitcnt lgkmcnt(0)
	; wave barrier
.LBB89_32:
	v_mul_u32_u24_e32 v44, 0x70, v0
	ds_read_b128 v[25:28], v44
	ds_read_b128 v[21:24], v44 offset:16
	ds_read_b128 v[17:20], v44 offset:32
	;; [unrolled: 1-line block ×6, first 2 shown]
	s_load_dwordx2 s[18:19], s[4:5], 0x28
	s_cmp_lg_u32 s6, 0
	v_mbcnt_lo_u32_b32 v45, -1, 0
	s_waitcnt lgkmcnt(0)
	; wave barrier
	s_cbranch_scc0 .LBB89_86
; %bb.33:
	v_add_co_u32_e32 v29, vcc, v27, v25
	v_addc_co_u32_e32 v30, vcc, v28, v26, vcc
	v_add_co_u32_e32 v29, vcc, v29, v21
	v_addc_co_u32_e32 v30, vcc, v30, v22, vcc
	;; [unrolled: 2-line block ×13, first 2 shown]
	v_mbcnt_hi_u32_b32 v40, -1, v45
	v_and_b32_e32 v33, 15, v40
	v_mov_b32_e32 v32, v30
	v_mov_b32_dpp v35, v29 row_shr:1 row_mask:0xf bank_mask:0xf
	v_mov_b32_dpp v34, v30 row_shr:1 row_mask:0xf bank_mask:0xf
	v_cmp_ne_u32_e32 vcc, 0, v33
	v_mov_b32_e32 v31, v29
	s_and_saveexec_b64 s[0:1], vcc
; %bb.34:
	v_add_co_u32_e32 v29, vcc, v29, v35
	v_addc_co_u32_e32 v30, vcc, 0, v30, vcc
	v_add_co_u32_e32 v31, vcc, 0, v29
	v_addc_co_u32_e32 v32, vcc, v34, v30, vcc
	v_mov_b32_e32 v30, v32
; %bb.35:
	s_or_b64 exec, exec, s[0:1]
	v_mov_b32_dpp v35, v29 row_shr:2 row_mask:0xf bank_mask:0xf
	v_mov_b32_dpp v34, v30 row_shr:2 row_mask:0xf bank_mask:0xf
	v_cmp_lt_u32_e32 vcc, 1, v33
	s_and_saveexec_b64 s[0:1], vcc
; %bb.36:
	v_add_co_u32_e32 v29, vcc, v31, v35
	v_addc_co_u32_e32 v30, vcc, 0, v32, vcc
	v_add_co_u32_e32 v31, vcc, 0, v29
	v_addc_co_u32_e32 v32, vcc, v34, v30, vcc
	v_mov_b32_e32 v30, v32
; %bb.37:
	s_or_b64 exec, exec, s[0:1]
	v_mov_b32_dpp v35, v29 row_shr:4 row_mask:0xf bank_mask:0xf
	v_mov_b32_dpp v34, v30 row_shr:4 row_mask:0xf bank_mask:0xf
	v_cmp_lt_u32_e32 vcc, 3, v33
	;; [unrolled: 12-line block ×3, first 2 shown]
	s_and_saveexec_b64 s[0:1], vcc
; %bb.40:
	v_add_co_u32_e32 v29, vcc, v31, v35
	v_addc_co_u32_e32 v30, vcc, 0, v32, vcc
	v_add_co_u32_e32 v31, vcc, 0, v29
	v_addc_co_u32_e32 v32, vcc, v34, v30, vcc
	v_mov_b32_e32 v30, v32
; %bb.41:
	s_or_b64 exec, exec, s[0:1]
	v_and_b32_e32 v35, 16, v40
	v_mov_b32_dpp v34, v29 row_bcast:15 row_mask:0xf bank_mask:0xf
	v_mov_b32_dpp v33, v30 row_bcast:15 row_mask:0xf bank_mask:0xf
	v_cmp_ne_u32_e32 vcc, 0, v35
	s_and_saveexec_b64 s[0:1], vcc
; %bb.42:
	v_add_co_u32_e32 v29, vcc, v31, v34
	v_addc_co_u32_e32 v30, vcc, 0, v32, vcc
	v_add_co_u32_e32 v31, vcc, 0, v29
	v_addc_co_u32_e32 v32, vcc, v33, v30, vcc
	v_mov_b32_e32 v30, v32
; %bb.43:
	s_or_b64 exec, exec, s[0:1]
	v_mov_b32_dpp v34, v29 row_bcast:31 row_mask:0xf bank_mask:0xf
	v_mov_b32_dpp v33, v30 row_bcast:31 row_mask:0xf bank_mask:0xf
	v_cmp_lt_u32_e32 vcc, 31, v40
	s_and_saveexec_b64 s[0:1], vcc
; %bb.44:
	v_add_co_u32_e32 v29, vcc, v31, v34
	v_addc_co_u32_e32 v30, vcc, 0, v32, vcc
	v_add_co_u32_e32 v31, vcc, 0, v29
	v_addc_co_u32_e32 v32, vcc, v33, v30, vcc
	v_mov_b32_e32 v30, v32
; %bb.45:
	s_or_b64 exec, exec, s[0:1]
	v_cmp_eq_u32_e32 vcc, 63, v0
	s_and_saveexec_b64 s[0:1], vcc
; %bb.46:
	v_mov_b32_e32 v33, 0
	ds_write_b64 v33, v[31:32]
; %bb.47:
	s_or_b64 exec, exec, s[0:1]
	v_subrev_co_u32_e64 v31, s[0:1], 1, v40
	v_and_b32_e32 v32, 64, v40
	v_cmp_lt_i32_e32 vcc, v31, v32
	v_cndmask_b32_e32 v31, v31, v40, vcc
	v_lshlrev_b32_e32 v31, 2, v31
	v_mov_b32_e32 v32, 0
	s_waitcnt lgkmcnt(0)
	; wave barrier
	ds_bpermute_b32 v46, v31, v29
	ds_bpermute_b32 v47, v31, v30
	ds_read_b64 v[29:30], v32
	s_and_saveexec_b64 s[2:3], s[0:1]
	s_cbranch_execz .LBB89_49
; %bb.48:
	s_add_i32 s20, s6, 64
	s_mov_b32 s21, 0
	s_lshl_b64 s[20:21], s[20:21], 4
	s_add_u32 s20, s18, s20
	s_addc_u32 s21, s19, s21
	v_mov_b32_e32 v34, s21
	v_mov_b32_e32 v31, 1
	;; [unrolled: 1-line block ×3, first 2 shown]
	s_waitcnt lgkmcnt(0)
	;;#ASMSTART
	global_store_dwordx4 v[33:34], v[29:32] off	
s_waitcnt vmcnt(0)
	;;#ASMEND
.LBB89_49:
	s_or_b64 exec, exec, s[2:3]
	v_xad_u32 v37, v40, -1, s6
	v_add_u32_e32 v31, 64, v37
	v_lshlrev_b64 v[33:34], 4, v[31:32]
	v_mov_b32_e32 v31, s19
	v_add_co_u32_e32 v38, vcc, s18, v33
	v_addc_co_u32_e32 v39, vcc, v31, v34, vcc
	;;#ASMSTART
	global_load_dwordx4 v[33:36], v[38:39] off glc	
s_waitcnt vmcnt(0)
	;;#ASMEND
	v_cmp_eq_u16_sdwa s[20:21], v35, v32 src0_sel:BYTE_0 src1_sel:DWORD
	s_and_saveexec_b64 s[2:3], s[20:21]
	s_cbranch_execz .LBB89_53
; %bb.50:
	s_mov_b64 s[20:21], 0
	v_mov_b32_e32 v31, 0
.LBB89_51:                              ; =>This Inner Loop Header: Depth=1
	;;#ASMSTART
	global_load_dwordx4 v[33:36], v[38:39] off glc	
s_waitcnt vmcnt(0)
	;;#ASMEND
	v_cmp_ne_u16_sdwa s[24:25], v35, v31 src0_sel:BYTE_0 src1_sel:DWORD
	s_or_b64 s[20:21], s[24:25], s[20:21]
	s_andn2_b64 exec, exec, s[20:21]
	s_cbranch_execnz .LBB89_51
; %bb.52:
	s_or_b64 exec, exec, s[20:21]
.LBB89_53:
	s_or_b64 exec, exec, s[2:3]
	v_and_b32_e32 v39, 63, v40
	v_mov_b32_e32 v36, 2
	v_lshlrev_b64 v[31:32], v40, -1
	v_cmp_ne_u32_e32 vcc, 63, v39
	v_cmp_eq_u16_sdwa s[2:3], v35, v36 src0_sel:BYTE_0 src1_sel:DWORD
	v_addc_co_u32_e32 v41, vcc, 0, v40, vcc
	v_and_b32_e32 v36, s3, v32
	v_lshlrev_b32_e32 v48, 2, v41
	v_or_b32_e32 v36, 0x80000000, v36
	ds_bpermute_b32 v42, v48, v33
	ds_bpermute_b32 v41, v48, v34
	v_and_b32_e32 v38, s2, v31
	v_ffbl_b32_e32 v36, v36
	v_add_u32_e32 v36, 32, v36
	v_ffbl_b32_e32 v38, v38
	v_min_u32_e32 v36, v38, v36
	v_add_u32_e32 v49, 1, v40
	v_cmp_le_u32_e32 vcc, v49, v36
	v_mov_b32_e32 v38, v33
	s_and_saveexec_b64 s[2:3], vcc
	s_cbranch_execz .LBB89_55
; %bb.54:
	s_waitcnt lgkmcnt(1)
	v_add_co_u32_e32 v38, vcc, v33, v42
	v_addc_co_u32_e32 v34, vcc, 0, v34, vcc
	v_add_co_u32_e32 v33, vcc, 0, v38
	s_waitcnt lgkmcnt(0)
	v_addc_co_u32_e32 v34, vcc, v41, v34, vcc
.LBB89_55:
	s_or_b64 exec, exec, s[2:3]
	v_cmp_gt_u32_e32 vcc, 62, v39
	s_waitcnt lgkmcnt(0)
	v_cndmask_b32_e64 v41, 0, 2, vcc
	v_add_lshl_u32 v50, v41, v40, 2
	ds_bpermute_b32 v42, v50, v38
	ds_bpermute_b32 v41, v50, v34
	v_add_u32_e32 v51, 2, v40
	v_cmp_le_u32_e32 vcc, v51, v36
	s_and_saveexec_b64 s[2:3], vcc
	s_cbranch_execz .LBB89_57
; %bb.56:
	s_waitcnt lgkmcnt(1)
	v_add_co_u32_e32 v38, vcc, v33, v42
	v_addc_co_u32_e32 v34, vcc, 0, v34, vcc
	v_add_co_u32_e32 v33, vcc, 0, v38
	s_waitcnt lgkmcnt(0)
	v_addc_co_u32_e32 v34, vcc, v41, v34, vcc
.LBB89_57:
	s_or_b64 exec, exec, s[2:3]
	v_cmp_gt_u32_e32 vcc, 60, v39
	s_waitcnt lgkmcnt(0)
	v_cndmask_b32_e64 v41, 0, 4, vcc
	v_add_lshl_u32 v52, v41, v40, 2
	ds_bpermute_b32 v42, v52, v38
	ds_bpermute_b32 v41, v52, v34
	v_add_u32_e32 v53, 4, v40
	v_cmp_le_u32_e32 vcc, v53, v36
	;; [unrolled: 19-line block ×3, first 2 shown]
	s_and_saveexec_b64 s[2:3], vcc
	s_cbranch_execz .LBB89_61
; %bb.60:
	s_waitcnt lgkmcnt(1)
	v_add_co_u32_e32 v38, vcc, v33, v42
	v_addc_co_u32_e32 v34, vcc, 0, v34, vcc
	v_add_co_u32_e32 v33, vcc, 0, v38
	s_waitcnt lgkmcnt(0)
	v_addc_co_u32_e32 v34, vcc, v41, v34, vcc
.LBB89_61:
	s_or_b64 exec, exec, s[2:3]
	v_cmp_gt_u32_e32 vcc, 48, v39
	v_cndmask_b32_e64 v39, 0, 16, vcc
	v_add_lshl_u32 v56, v39, v40, 2
	s_waitcnt lgkmcnt(0)
	ds_bpermute_b32 v41, v56, v38
	ds_bpermute_b32 v39, v56, v34
	v_add_u32_e32 v57, 16, v40
	v_cmp_le_u32_e32 vcc, v57, v36
	s_and_saveexec_b64 s[2:3], vcc
	s_cbranch_execz .LBB89_63
; %bb.62:
	s_waitcnt lgkmcnt(1)
	v_add_co_u32_e32 v38, vcc, v33, v41
	v_addc_co_u32_e32 v34, vcc, 0, v34, vcc
	v_add_co_u32_e32 v33, vcc, 0, v38
	s_waitcnt lgkmcnt(0)
	v_addc_co_u32_e32 v34, vcc, v39, v34, vcc
.LBB89_63:
	s_or_b64 exec, exec, s[2:3]
	s_waitcnt lgkmcnt(0)
	v_mov_b32_e32 v39, 0x80
	v_lshl_or_b32 v58, v40, 2, v39
	ds_bpermute_b32 v39, v58, v38
	v_add_u32_e32 v59, 32, v40
	ds_bpermute_b32 v40, v58, v34
	v_mov_b32_e32 v38, 0
	v_mov_b32_e32 v60, 2
	s_waitcnt lgkmcnt(1)
	v_add_co_u32_e32 v39, vcc, v33, v39
	v_addc_co_u32_e32 v41, vcc, 0, v34, vcc
	v_add_co_u32_e32 v39, vcc, 0, v39
	s_waitcnt lgkmcnt(0)
	v_addc_co_u32_e32 v40, vcc, v41, v40, vcc
	v_cmp_gt_u32_e32 vcc, v59, v36
	v_cndmask_b32_e32 v34, v40, v34, vcc
	v_cndmask_b32_e32 v33, v39, v33, vcc
	s_branch .LBB89_66
.LBB89_64:                              ;   in Loop: Header=BB89_66 Depth=1
	s_or_b64 exec, exec, s[2:3]
	ds_bpermute_b32 v41, v58, v41
	s_waitcnt lgkmcnt(1)
	ds_bpermute_b32 v42, v58, v34
	v_subrev_u32_e32 v37, 64, v37
	s_mov_b64 s[2:3], 0
	s_waitcnt lgkmcnt(1)
	v_add_co_u32_e32 v41, vcc, v33, v41
	v_addc_co_u32_e32 v61, vcc, 0, v34, vcc
	v_add_co_u32_e32 v41, vcc, 0, v41
	s_waitcnt lgkmcnt(0)
	v_addc_co_u32_e32 v42, vcc, v61, v42, vcc
	v_cmp_gt_u32_e32 vcc, v59, v36
	v_cndmask_b32_e32 v33, v41, v33, vcc
	v_cndmask_b32_e32 v34, v42, v34, vcc
	v_add_co_u32_e32 v33, vcc, v33, v39
	v_addc_co_u32_e32 v34, vcc, v34, v40, vcc
.LBB89_65:                              ;   in Loop: Header=BB89_66 Depth=1
	s_and_b64 vcc, exec, s[2:3]
	s_cbranch_vccnz .LBB89_81
.LBB89_66:                              ; =>This Loop Header: Depth=1
                                        ;     Child Loop BB89_69 Depth 2
	v_mov_b32_e32 v40, v34
	v_cmp_ne_u16_sdwa s[2:3], v35, v60 src0_sel:BYTE_0 src1_sel:DWORD
	v_mov_b32_e32 v39, v33
	s_cmp_lg_u64 s[2:3], exec
	s_mov_b64 s[2:3], -1
                                        ; implicit-def: $vgpr33_vgpr34
                                        ; implicit-def: $vgpr35
	s_cbranch_scc1 .LBB89_65
; %bb.67:                               ;   in Loop: Header=BB89_66 Depth=1
	v_lshlrev_b64 v[33:34], 4, v[37:38]
	v_mov_b32_e32 v35, s19
	v_add_co_u32_e32 v41, vcc, s18, v33
	v_addc_co_u32_e32 v42, vcc, v35, v34, vcc
	;;#ASMSTART
	global_load_dwordx4 v[33:36], v[41:42] off glc	
s_waitcnt vmcnt(0)
	;;#ASMEND
	v_cmp_eq_u16_sdwa s[20:21], v35, v38 src0_sel:BYTE_0 src1_sel:DWORD
	s_and_saveexec_b64 s[2:3], s[20:21]
	s_cbranch_execz .LBB89_71
; %bb.68:                               ;   in Loop: Header=BB89_66 Depth=1
	s_mov_b64 s[20:21], 0
.LBB89_69:                              ;   Parent Loop BB89_66 Depth=1
                                        ; =>  This Inner Loop Header: Depth=2
	;;#ASMSTART
	global_load_dwordx4 v[33:36], v[41:42] off glc	
s_waitcnt vmcnt(0)
	;;#ASMEND
	v_cmp_ne_u16_sdwa s[24:25], v35, v38 src0_sel:BYTE_0 src1_sel:DWORD
	s_or_b64 s[20:21], s[24:25], s[20:21]
	s_andn2_b64 exec, exec, s[20:21]
	s_cbranch_execnz .LBB89_69
; %bb.70:                               ;   in Loop: Header=BB89_66 Depth=1
	s_or_b64 exec, exec, s[20:21]
.LBB89_71:                              ;   in Loop: Header=BB89_66 Depth=1
	s_or_b64 exec, exec, s[2:3]
	v_cmp_eq_u16_sdwa s[2:3], v35, v60 src0_sel:BYTE_0 src1_sel:DWORD
	v_and_b32_e32 v36, s3, v32
	v_or_b32_e32 v36, 0x80000000, v36
	ds_bpermute_b32 v61, v48, v33
	ds_bpermute_b32 v42, v48, v34
	v_and_b32_e32 v41, s2, v31
	v_ffbl_b32_e32 v36, v36
	v_add_u32_e32 v36, 32, v36
	v_ffbl_b32_e32 v41, v41
	v_min_u32_e32 v36, v41, v36
	v_cmp_le_u32_e32 vcc, v49, v36
	v_mov_b32_e32 v41, v33
	s_and_saveexec_b64 s[2:3], vcc
	s_cbranch_execz .LBB89_73
; %bb.72:                               ;   in Loop: Header=BB89_66 Depth=1
	s_waitcnt lgkmcnt(1)
	v_add_co_u32_e32 v41, vcc, v33, v61
	v_addc_co_u32_e32 v34, vcc, 0, v34, vcc
	v_add_co_u32_e32 v33, vcc, 0, v41
	s_waitcnt lgkmcnt(0)
	v_addc_co_u32_e32 v34, vcc, v42, v34, vcc
.LBB89_73:                              ;   in Loop: Header=BB89_66 Depth=1
	s_or_b64 exec, exec, s[2:3]
	s_waitcnt lgkmcnt(1)
	ds_bpermute_b32 v61, v50, v41
	s_waitcnt lgkmcnt(1)
	ds_bpermute_b32 v42, v50, v34
	v_cmp_le_u32_e32 vcc, v51, v36
	s_and_saveexec_b64 s[2:3], vcc
	s_cbranch_execz .LBB89_75
; %bb.74:                               ;   in Loop: Header=BB89_66 Depth=1
	s_waitcnt lgkmcnt(1)
	v_add_co_u32_e32 v41, vcc, v33, v61
	v_addc_co_u32_e32 v34, vcc, 0, v34, vcc
	v_add_co_u32_e32 v33, vcc, 0, v41
	s_waitcnt lgkmcnt(0)
	v_addc_co_u32_e32 v34, vcc, v42, v34, vcc
.LBB89_75:                              ;   in Loop: Header=BB89_66 Depth=1
	s_or_b64 exec, exec, s[2:3]
	s_waitcnt lgkmcnt(1)
	ds_bpermute_b32 v61, v52, v41
	s_waitcnt lgkmcnt(1)
	ds_bpermute_b32 v42, v52, v34
	v_cmp_le_u32_e32 vcc, v53, v36
	;; [unrolled: 16-line block ×4, first 2 shown]
	s_and_saveexec_b64 s[2:3], vcc
	s_cbranch_execz .LBB89_64
; %bb.80:                               ;   in Loop: Header=BB89_66 Depth=1
	s_waitcnt lgkmcnt(1)
	v_add_co_u32_e32 v41, vcc, v33, v61
	v_addc_co_u32_e32 v34, vcc, 0, v34, vcc
	v_add_co_u32_e32 v33, vcc, 0, v41
	s_waitcnt lgkmcnt(0)
	v_addc_co_u32_e32 v34, vcc, v42, v34, vcc
	s_branch .LBB89_64
.LBB89_81:
	s_and_saveexec_b64 s[2:3], s[0:1]
	s_cbranch_execz .LBB89_83
; %bb.82:
	s_add_i32 s0, s6, 64
	s_mov_b32 s1, 0
	s_lshl_b64 s[0:1], s[0:1], 4
	s_add_u32 s0, s18, s0
	s_addc_u32 s1, s19, s1
	v_add_co_u32_e32 v29, vcc, v39, v29
	v_mov_b32_e32 v34, s1
	v_addc_co_u32_e32 v30, vcc, v40, v30, vcc
	v_mov_b32_e32 v31, 2
	v_mov_b32_e32 v32, 0
	;; [unrolled: 1-line block ×3, first 2 shown]
	;;#ASMSTART
	global_store_dwordx4 v[33:34], v[29:32] off	
s_waitcnt vmcnt(0)
	;;#ASMEND
.LBB89_83:
	s_or_b64 exec, exec, s[2:3]
	v_cmp_eq_u32_e32 vcc, 0, v0
	s_and_saveexec_b64 s[0:1], vcc
; %bb.84:
	v_mov_b32_e32 v29, 0
	ds_write_b64 v29, v[39:40]
; %bb.85:
	s_or_b64 exec, exec, s[0:1]
	v_mov_b32_e32 v29, 0
	s_waitcnt lgkmcnt(0)
	; wave barrier
	ds_read_b64 v[29:30], v29
	v_cndmask_b32_e64 v32, v46, 0, vcc
	v_cndmask_b32_e64 v31, v47, 0, vcc
	s_waitcnt lgkmcnt(0)
	v_add_co_u32_e32 v29, vcc, v29, v32
	v_addc_co_u32_e32 v30, vcc, v30, v31, vcc
	s_load_dwordx4 s[0:3], s[4:5], 0x38
	s_branch .LBB89_104
.LBB89_86:
                                        ; implicit-def: $vgpr29_vgpr30
	s_load_dwordx4 s[0:3], s[4:5], 0x38
	s_cbranch_execz .LBB89_104
; %bb.87:
	s_load_dword s6, s[4:5], 0x48
	v_mov_b32_e32 v32, s15
	v_mov_b32_e32 v31, s14
	s_waitcnt lgkmcnt(0)
	s_bitcmp0_b32 s6, 0
	s_cbranch_scc1 .LBB89_89
; %bb.88:
	v_mov_b32_e32 v33, 0
	global_load_dwordx2 v[29:30], v33, s[8:9] offset:-8
	global_load_dwordx2 v[31:32], v33, s[0:1]
	s_waitcnt vmcnt(0)
	v_add_co_u32_e32 v31, vcc, v31, v29
	v_addc_co_u32_e32 v32, vcc, v32, v30, vcc
.LBB89_89:
	v_add_co_u32_e32 v29, vcc, v27, v25
	v_addc_co_u32_e32 v30, vcc, v28, v26, vcc
	v_add_co_u32_e32 v29, vcc, v29, v21
	v_addc_co_u32_e32 v30, vcc, v30, v22, vcc
	;; [unrolled: 2-line block ×12, first 2 shown]
	v_add_co_u32_e32 v3, vcc, v29, v3
	v_mbcnt_hi_u32_b32 v29, -1, v45
	v_addc_co_u32_e32 v4, vcc, v30, v4, vcc
	v_and_b32_e32 v33, 15, v29
	v_mov_b32_dpp v35, v3 row_shr:1 row_mask:0xf bank_mask:0xf
	v_mov_b32_dpp v34, v4 row_shr:1 row_mask:0xf bank_mask:0xf
	v_cmp_ne_u32_e32 vcc, 0, v33
	v_mov_b32_e32 v30, v3
	s_and_saveexec_b64 s[0:1], vcc
; %bb.90:
	v_add_co_u32_e32 v30, vcc, v3, v35
	v_addc_co_u32_e32 v4, vcc, 0, v4, vcc
	v_add_co_u32_e32 v3, vcc, 0, v30
	v_addc_co_u32_e32 v4, vcc, v34, v4, vcc
; %bb.91:
	s_or_b64 exec, exec, s[0:1]
	v_mov_b32_dpp v35, v30 row_shr:2 row_mask:0xf bank_mask:0xf
	v_mov_b32_dpp v34, v4 row_shr:2 row_mask:0xf bank_mask:0xf
	v_cmp_lt_u32_e32 vcc, 1, v33
	s_and_saveexec_b64 s[0:1], vcc
; %bb.92:
	v_add_co_u32_e32 v30, vcc, v3, v35
	v_addc_co_u32_e32 v4, vcc, 0, v4, vcc
	v_add_co_u32_e32 v3, vcc, 0, v30
	v_addc_co_u32_e32 v4, vcc, v34, v4, vcc
; %bb.93:
	s_or_b64 exec, exec, s[0:1]
	v_mov_b32_dpp v35, v30 row_shr:4 row_mask:0xf bank_mask:0xf
	v_mov_b32_dpp v34, v4 row_shr:4 row_mask:0xf bank_mask:0xf
	v_cmp_lt_u32_e32 vcc, 3, v33
	;; [unrolled: 11-line block ×3, first 2 shown]
	s_and_saveexec_b64 s[0:1], vcc
; %bb.96:
	v_add_co_u32_e32 v30, vcc, v3, v35
	v_addc_co_u32_e32 v4, vcc, 0, v4, vcc
	v_add_co_u32_e32 v3, vcc, 0, v30
	v_addc_co_u32_e32 v4, vcc, v34, v4, vcc
; %bb.97:
	s_or_b64 exec, exec, s[0:1]
	v_and_b32_e32 v35, 16, v29
	v_mov_b32_dpp v34, v30 row_bcast:15 row_mask:0xf bank_mask:0xf
	v_mov_b32_dpp v33, v4 row_bcast:15 row_mask:0xf bank_mask:0xf
	v_cmp_ne_u32_e32 vcc, 0, v35
	s_and_saveexec_b64 s[0:1], vcc
; %bb.98:
	v_add_co_u32_e32 v30, vcc, v3, v34
	v_addc_co_u32_e32 v4, vcc, 0, v4, vcc
	v_add_co_u32_e32 v3, vcc, 0, v30
	v_addc_co_u32_e32 v4, vcc, v33, v4, vcc
; %bb.99:
	s_or_b64 exec, exec, s[0:1]
	v_mov_b32_dpp v33, v30 row_bcast:31 row_mask:0xf bank_mask:0xf
	v_add_co_u32_e32 v33, vcc, v3, v33
	v_addc_co_u32_e32 v35, vcc, 0, v4, vcc
	v_mov_b32_dpp v34, v4 row_bcast:31 row_mask:0xf bank_mask:0xf
	v_add_co_u32_e32 v33, vcc, 0, v33
	v_addc_co_u32_e32 v34, vcc, v35, v34, vcc
	v_cmp_lt_u32_e32 vcc, 31, v29
	v_mov_b32_e32 v30, 0
	v_cndmask_b32_e32 v4, v4, v34, vcc
	v_cndmask_b32_e32 v3, v3, v33, vcc
	v_cmp_eq_u32_e32 vcc, 63, v0
	s_and_saveexec_b64 s[0:1], vcc
; %bb.100:
	ds_write_b64 v30, v[3:4]
; %bb.101:
	s_or_b64 exec, exec, s[0:1]
	v_add_co_u32_e32 v3, vcc, v3, v31
	v_addc_co_u32_e32 v4, vcc, v4, v32, vcc
	v_subrev_co_u32_e32 v30, vcc, 1, v29
	v_and_b32_e32 v33, 64, v29
	v_cmp_lt_i32_e64 s[0:1], v30, v33
	v_cndmask_b32_e64 v29, v30, v29, s[0:1]
	v_lshlrev_b32_e32 v29, 2, v29
	ds_bpermute_b32 v4, v29, v4
	ds_bpermute_b32 v3, v29, v3
	v_cmp_eq_u32_e64 s[0:1], 0, v0
	s_or_b64 vcc, s[0:1], vcc
	s_waitcnt lgkmcnt(0)
	v_cndmask_b32_e32 v30, v4, v32, vcc
	v_cndmask_b32_e32 v29, v3, v31, vcc
	; wave barrier
	s_and_saveexec_b64 s[6:7], s[0:1]
	s_cbranch_execz .LBB89_103
; %bb.102:
	v_mov_b32_e32 v36, 0
	ds_read_b64 v[3:4], v36
	s_add_u32 s0, s18, 0x400
	s_addc_u32 s1, s19, 0
	v_mov_b32_e32 v35, 2
	v_mov_b32_e32 v29, v31
	s_waitcnt lgkmcnt(0)
	v_add_co_u32_e32 v33, vcc, v3, v31
	v_addc_co_u32_e32 v34, vcc, v4, v32, vcc
	v_mov_b32_e32 v4, s1
	v_mov_b32_e32 v3, s0
	;;#ASMSTART
	global_store_dwordx4 v[3:4], v[33:36] off	
s_waitcnt vmcnt(0)
	;;#ASMEND
	v_mov_b32_e32 v30, v32
.LBB89_103:
	s_or_b64 exec, exec, s[6:7]
.LBB89_104:
	v_add_co_u32_e32 v31, vcc, v29, v25
	v_addc_co_u32_e32 v32, vcc, v30, v26, vcc
	v_add_co_u32_e32 v25, vcc, v31, v27
	v_addc_co_u32_e32 v26, vcc, v32, v28, vcc
	;; [unrolled: 2-line block ×13, first 2 shown]
	s_waitcnt lgkmcnt(0)
	s_add_u32 s0, s10, s16
	s_addc_u32 s1, s11, s17
	s_mov_b64 s[6:7], -1
	s_and_b64 vcc, exec, s[12:13]
	; wave barrier
	s_cbranch_vccz .LBB89_106
; %bb.105:
	ds_write_b128 v44, v[29:32]
	ds_write_b128 v44, v[25:28] offset:16
	ds_write_b128 v44, v[21:24] offset:32
	;; [unrolled: 1-line block ×6, first 2 shown]
	s_waitcnt lgkmcnt(0)
	; wave barrier
	ds_read2st64_b64 v[33:36], v43 offset1:1
	ds_read2st64_b64 v[37:40], v43 offset0:2 offset1:3
	ds_read2st64_b64 v[45:48], v43 offset0:4 offset1:5
	;; [unrolled: 1-line block ×6, first 2 shown]
	v_mov_b32_e32 v1, s1
	v_add_co_u32_e32 v2, vcc, s0, v43
	v_addc_co_u32_e32 v7, vcc, 0, v1, vcc
	v_add_co_u32_e32 v1, vcc, 0x1000, v2
	v_addc_co_u32_e32 v2, vcc, 0, v7, vcc
	s_waitcnt lgkmcnt(6)
	global_store_dwordx2 v43, v[33:34], s[0:1]
	global_store_dwordx2 v43, v[35:36], s[0:1] offset:512
	s_waitcnt lgkmcnt(5)
	global_store_dwordx2 v43, v[37:38], s[0:1] offset:1024
	global_store_dwordx2 v43, v[39:40], s[0:1] offset:1536
	s_waitcnt lgkmcnt(4)
	global_store_dwordx2 v43, v[45:46], s[0:1] offset:2048
	;; [unrolled: 3-line block ×3, first 2 shown]
	global_store_dwordx2 v43, v[51:52], s[0:1] offset:3584
	s_waitcnt lgkmcnt(2)
	global_store_dwordx2 v[1:2], v[53:54], off
	global_store_dwordx2 v[1:2], v[55:56], off offset:512
	s_waitcnt lgkmcnt(1)
	global_store_dwordx2 v[1:2], v[57:58], off offset:1024
	global_store_dwordx2 v[1:2], v[59:60], off offset:1536
	s_waitcnt lgkmcnt(0)
	global_store_dwordx2 v[1:2], v[61:62], off offset:2048
	global_store_dwordx2 v[1:2], v[63:64], off offset:2560
	s_mov_b64 s[6:7], 0
.LBB89_106:
	s_andn2_b64 vcc, exec, s[6:7]
	s_cbranch_vccnz .LBB89_186
; %bb.107:
	ds_write_b128 v44, v[29:32]
	ds_write_b128 v44, v[25:28] offset:16
	ds_write_b128 v44, v[21:24] offset:32
	;; [unrolled: 1-line block ×6, first 2 shown]
	s_waitcnt lgkmcnt(0)
	; wave barrier
	ds_read2st64_b64 v[6:9], v43 offset1:1
	ds_read2st64_b64 v[10:13], v43 offset0:2 offset1:3
	ds_read2st64_b64 v[14:17], v43 offset0:4 offset1:5
	ds_read2st64_b64 v[2:5], v43 offset0:6 offset1:7
	ds_read2st64_b64 v[22:25], v43 offset0:8 offset1:9
	ds_read2st64_b64 v[18:21], v43 offset0:10 offset1:11
	ds_read2st64_b64 v[26:29], v43 offset0:12 offset1:13
	v_mov_b32_e32 v31, s1
	v_add_co_u32_e32 v30, vcc, s0, v43
	v_addc_co_u32_e32 v31, vcc, 0, v31, vcc
	v_mov_b32_e32 v1, 0
	v_cmp_gt_u32_e32 vcc, s22, v0
	s_and_saveexec_b64 s[0:1], vcc
	s_cbranch_execz .LBB89_109
; %bb.108:
	s_waitcnt lgkmcnt(6)
	global_store_dwordx2 v[30:31], v[6:7], off
.LBB89_109:
	s_or_b64 exec, exec, s[0:1]
	v_or_b32_e32 v32, 64, v0
	v_cmp_gt_u32_e32 vcc, s22, v32
	s_and_saveexec_b64 s[0:1], vcc
	s_cbranch_execz .LBB89_111
; %bb.110:
	s_waitcnt lgkmcnt(6)
	global_store_dwordx2 v[30:31], v[8:9], off offset:512
.LBB89_111:
	s_or_b64 exec, exec, s[0:1]
	v_or_b32_e32 v32, 0x80, v0
	v_cmp_gt_u32_e32 vcc, s22, v32
	s_and_saveexec_b64 s[0:1], vcc
	s_cbranch_execz .LBB89_113
; %bb.112:
	s_waitcnt lgkmcnt(5)
	global_store_dwordx2 v[30:31], v[10:11], off offset:1024
.LBB89_113:
	;; [unrolled: 9-line block ×7, first 2 shown]
	s_or_b64 exec, exec, s[0:1]
	v_or_b32_e32 v32, 0x200, v0
	v_cmp_gt_u32_e32 vcc, s22, v32
	s_and_saveexec_b64 s[0:1], vcc
	s_cbranch_execz .LBB89_125
; %bb.124:
	v_add_co_u32_e32 v32, vcc, 0x1000, v30
	v_addc_co_u32_e32 v33, vcc, 0, v31, vcc
	s_waitcnt lgkmcnt(2)
	global_store_dwordx2 v[32:33], v[22:23], off
.LBB89_125:
	s_or_b64 exec, exec, s[0:1]
	v_or_b32_e32 v32, 0x240, v0
	v_cmp_gt_u32_e32 vcc, s22, v32
	s_and_saveexec_b64 s[0:1], vcc
	s_cbranch_execz .LBB89_127
; %bb.126:
	v_add_co_u32_e32 v32, vcc, 0x1000, v30
	v_addc_co_u32_e32 v33, vcc, 0, v31, vcc
	s_waitcnt lgkmcnt(2)
	global_store_dwordx2 v[32:33], v[24:25], off offset:512
.LBB89_127:
	s_or_b64 exec, exec, s[0:1]
	v_or_b32_e32 v32, 0x280, v0
	v_cmp_gt_u32_e32 vcc, s22, v32
	s_and_saveexec_b64 s[0:1], vcc
	s_cbranch_execz .LBB89_129
; %bb.128:
	v_add_co_u32_e32 v32, vcc, 0x1000, v30
	v_addc_co_u32_e32 v33, vcc, 0, v31, vcc
	s_waitcnt lgkmcnt(1)
	global_store_dwordx2 v[32:33], v[18:19], off offset:1024
.LBB89_129:
	;; [unrolled: 11-line block ×5, first 2 shown]
	s_or_b64 exec, exec, s[0:1]
	s_load_dword s0, s[4:5], 0x48
	s_waitcnt lgkmcnt(0)
	s_bfe_u32 s0, s0, 0x10008
	s_cmp_eq_u32 s0, 0
	s_cbranch_scc1 .LBB89_186
; %bb.136:
	s_add_u32 s0, s22, -1
	s_addc_u32 s1, s23, -1
	s_lshr_b64 s[4:5], s[0:1], 1
	s_lshr_b32 s7, s1, 1
	s_mul_hi_u32 s5, s4, 0x49249249
	s_mul_i32 s6, s4, 0x49249249
	s_mul_i32 s9, s7, 0x24924925
	s_mul_hi_u32 s4, s4, 0x24924925
	s_mul_hi_u32 s8, s7, 0x24924925
	s_add_u32 s4, s9, s4
	s_addc_u32 s8, s8, 0
	s_add_u32 s4, s6, s4
	s_addc_u32 s4, s5, 0
	;; [unrolled: 2-line block ×3, first 2 shown]
	s_mul_hi_u32 s6, s7, 0x49249249
	s_mul_i32 s7, s7, 0x49249249
	s_add_u32 s4, s7, s4
	s_addc_u32 s5, s6, s5
	s_lshr_b64 s[4:5], s[4:5], 1
	v_cmp_eq_u64_e32 vcc, s[4:5], v[0:1]
	s_and_saveexec_b64 s[4:5], vcc
	s_cbranch_execz .LBB89_186
; %bb.137:
	v_mul_hi_u32_u24_e32 v1, 14, v0
	v_mul_u32_u24_e32 v0, 14, v0
	v_mov_b32_e32 v30, s1
	v_sub_co_u32_e32 v0, vcc, s0, v0
	v_subb_co_u32_e32 v1, vcc, v30, v1, vcc
	v_cmp_lt_i64_e32 vcc, 6, v[0:1]
	s_and_saveexec_b64 s[0:1], vcc
	s_xor_b64 s[0:1], exec, s[0:1]
	s_cbranch_execz .LBB89_163
; %bb.138:
	v_cmp_lt_i64_e32 vcc, 9, v[0:1]
	s_and_saveexec_b64 s[4:5], vcc
	s_xor_b64 s[4:5], exec, s[4:5]
	s_cbranch_execz .LBB89_152
; %bb.139:
	;; [unrolled: 5-line block ×4, first 2 shown]
	v_mov_b32_e32 v0, 0
	global_store_dwordx2 v0, v[28:29], s[2:3]
                                        ; implicit-def: $vgpr26_vgpr27_vgpr28_vgpr29
.LBB89_142:
	s_andn2_saveexec_b64 s[8:9], s[8:9]
	s_cbranch_execz .LBB89_144
; %bb.143:
	v_mov_b32_e32 v0, 0
	global_store_dwordx2 v0, v[26:27], s[2:3]
.LBB89_144:
	s_or_b64 exec, exec, s[8:9]
                                        ; implicit-def: $vgpr18_vgpr19_vgpr20_vgpr21
                                        ; implicit-def: $vgpr0_vgpr1
.LBB89_145:
	s_andn2_saveexec_b64 s[6:7], s[6:7]
	s_cbranch_execz .LBB89_151
; %bb.146:
	v_cmp_lt_i64_e32 vcc, 10, v[0:1]
	s_and_saveexec_b64 s[8:9], vcc
	s_xor_b64 s[8:9], exec, s[8:9]
	s_cbranch_execz .LBB89_148
; %bb.147:
	v_mov_b32_e32 v0, 0
	global_store_dwordx2 v0, v[20:21], s[2:3]
                                        ; implicit-def: $vgpr18_vgpr19_vgpr20_vgpr21
.LBB89_148:
	s_andn2_saveexec_b64 s[8:9], s[8:9]
	s_cbranch_execz .LBB89_150
; %bb.149:
	v_mov_b32_e32 v0, 0
	global_store_dwordx2 v0, v[18:19], s[2:3]
.LBB89_150:
	s_or_b64 exec, exec, s[8:9]
.LBB89_151:
	s_or_b64 exec, exec, s[6:7]
                                        ; implicit-def: $vgpr2_vgpr3_vgpr4_vgpr5
                                        ; implicit-def: $vgpr0_vgpr1
                                        ; implicit-def: $vgpr22_vgpr23_vgpr24_vgpr25
.LBB89_152:
	s_andn2_saveexec_b64 s[4:5], s[4:5]
	s_cbranch_execz .LBB89_162
; %bb.153:
	v_cmp_lt_i64_e32 vcc, 7, v[0:1]
	s_and_saveexec_b64 s[6:7], vcc
	s_xor_b64 s[6:7], exec, s[6:7]
	s_cbranch_execz .LBB89_159
; %bb.154:
	v_cmp_lt_i64_e32 vcc, 8, v[0:1]
	s_and_saveexec_b64 s[8:9], vcc
	s_xor_b64 s[8:9], exec, s[8:9]
	s_cbranch_execz .LBB89_156
; %bb.155:
	v_mov_b32_e32 v0, 0
	global_store_dwordx2 v0, v[24:25], s[2:3]
                                        ; implicit-def: $vgpr22_vgpr23_vgpr24_vgpr25
.LBB89_156:
	s_andn2_saveexec_b64 s[8:9], s[8:9]
	s_cbranch_execz .LBB89_158
; %bb.157:
	v_mov_b32_e32 v0, 0
	global_store_dwordx2 v0, v[22:23], s[2:3]
.LBB89_158:
	s_or_b64 exec, exec, s[8:9]
                                        ; implicit-def: $vgpr2_vgpr3_vgpr4_vgpr5
.LBB89_159:
	s_andn2_saveexec_b64 s[6:7], s[6:7]
	s_cbranch_execz .LBB89_161
; %bb.160:
	v_mov_b32_e32 v0, 0
	global_store_dwordx2 v0, v[4:5], s[2:3]
.LBB89_161:
	s_or_b64 exec, exec, s[6:7]
.LBB89_162:
	s_or_b64 exec, exec, s[4:5]
                                        ; implicit-def: $vgpr0_vgpr1
                                        ; implicit-def: $vgpr14_vgpr15_vgpr16_vgpr17
                                        ; implicit-def: $vgpr6_vgpr7_vgpr8_vgpr9
                                        ; implicit-def: $vgpr10_vgpr11_vgpr12_vgpr13
                                        ; implicit-def: $vgpr2_vgpr3_vgpr4_vgpr5
.LBB89_163:
	s_andn2_saveexec_b64 s[0:1], s[0:1]
	s_cbranch_execz .LBB89_186
; %bb.164:
	v_cmp_lt_i64_e32 vcc, 3, v[0:1]
	s_and_saveexec_b64 s[0:1], vcc
	s_xor_b64 s[0:1], exec, s[0:1]
	s_cbranch_execz .LBB89_174
; %bb.165:
	v_cmp_lt_i64_e32 vcc, 4, v[0:1]
	s_and_saveexec_b64 s[4:5], vcc
	s_xor_b64 s[4:5], exec, s[4:5]
	;; [unrolled: 5-line block ×3, first 2 shown]
	s_cbranch_execz .LBB89_168
; %bb.167:
	v_mov_b32_e32 v0, 0
	global_store_dwordx2 v0, v[2:3], s[2:3]
                                        ; implicit-def: $vgpr14_vgpr15_vgpr16_vgpr17
.LBB89_168:
	s_andn2_saveexec_b64 s[6:7], s[6:7]
	s_cbranch_execz .LBB89_170
; %bb.169:
	v_mov_b32_e32 v0, 0
	global_store_dwordx2 v0, v[16:17], s[2:3]
.LBB89_170:
	s_or_b64 exec, exec, s[6:7]
                                        ; implicit-def: $vgpr14_vgpr15_vgpr16_vgpr17
.LBB89_171:
	s_andn2_saveexec_b64 s[4:5], s[4:5]
	s_cbranch_execz .LBB89_173
; %bb.172:
	v_mov_b32_e32 v0, 0
	global_store_dwordx2 v0, v[14:15], s[2:3]
.LBB89_173:
	s_or_b64 exec, exec, s[4:5]
                                        ; implicit-def: $vgpr0_vgpr1
                                        ; implicit-def: $vgpr6_vgpr7_vgpr8_vgpr9
                                        ; implicit-def: $vgpr10_vgpr11_vgpr12_vgpr13
.LBB89_174:
	s_andn2_saveexec_b64 s[0:1], s[0:1]
	s_cbranch_execz .LBB89_186
; %bb.175:
	v_cmp_lt_i64_e32 vcc, 1, v[0:1]
	s_and_saveexec_b64 s[0:1], vcc
	s_xor_b64 s[0:1], exec, s[0:1]
	s_cbranch_execz .LBB89_181
; %bb.176:
	v_cmp_lt_i64_e32 vcc, 2, v[0:1]
	s_and_saveexec_b64 s[4:5], vcc
	s_xor_b64 s[4:5], exec, s[4:5]
	s_cbranch_execz .LBB89_178
; %bb.177:
	v_mov_b32_e32 v0, 0
	global_store_dwordx2 v0, v[12:13], s[2:3]
                                        ; implicit-def: $vgpr10_vgpr11_vgpr12_vgpr13
.LBB89_178:
	s_andn2_saveexec_b64 s[4:5], s[4:5]
	s_cbranch_execz .LBB89_180
; %bb.179:
	v_mov_b32_e32 v0, 0
	global_store_dwordx2 v0, v[10:11], s[2:3]
.LBB89_180:
	s_or_b64 exec, exec, s[4:5]
                                        ; implicit-def: $vgpr6_vgpr7_vgpr8_vgpr9
                                        ; implicit-def: $vgpr0_vgpr1
.LBB89_181:
	s_andn2_saveexec_b64 s[0:1], s[0:1]
	s_cbranch_execz .LBB89_186
; %bb.182:
	v_cmp_ne_u64_e32 vcc, 1, v[0:1]
	s_and_saveexec_b64 s[0:1], vcc
	s_xor_b64 s[0:1], exec, s[0:1]
	s_cbranch_execz .LBB89_184
; %bb.183:
	v_mov_b32_e32 v0, 0
	global_store_dwordx2 v0, v[6:7], s[2:3]
                                        ; implicit-def: $vgpr6_vgpr7_vgpr8_vgpr9
.LBB89_184:
	s_andn2_saveexec_b64 s[0:1], s[0:1]
	s_cbranch_execz .LBB89_186
; %bb.185:
	v_mov_b32_e32 v0, 0
	global_store_dwordx2 v0, v[8:9], s[2:3]
.LBB89_186:
	s_endpgm
	.section	.rodata,"a",@progbits
	.p2align	6, 0x0
	.amdhsa_kernel _ZN7rocprim6detail20lookback_scan_kernelILNS0_25lookback_scan_determinismE0ELb1ENS0_19wrapped_scan_configINS_14default_configEmEEPmS6_N6hipcub3SumEmmNS0_19lookback_scan_stateImLb0ELb1EEEEEvT2_T3_mT5_T4_T7_jPT6_SH_bb
		.amdhsa_group_segment_fixed_size 7168
		.amdhsa_private_segment_fixed_size 0
		.amdhsa_kernarg_size 76
		.amdhsa_user_sgpr_count 6
		.amdhsa_user_sgpr_private_segment_buffer 1
		.amdhsa_user_sgpr_dispatch_ptr 0
		.amdhsa_user_sgpr_queue_ptr 0
		.amdhsa_user_sgpr_kernarg_segment_ptr 1
		.amdhsa_user_sgpr_dispatch_id 0
		.amdhsa_user_sgpr_flat_scratch_init 0
		.amdhsa_user_sgpr_private_segment_size 0
		.amdhsa_uses_dynamic_stack 0
		.amdhsa_system_sgpr_private_segment_wavefront_offset 0
		.amdhsa_system_sgpr_workgroup_id_x 1
		.amdhsa_system_sgpr_workgroup_id_y 0
		.amdhsa_system_sgpr_workgroup_id_z 0
		.amdhsa_system_sgpr_workgroup_info 0
		.amdhsa_system_vgpr_workitem_id 0
		.amdhsa_next_free_vgpr 65
		.amdhsa_next_free_sgpr 98
		.amdhsa_reserve_vcc 1
		.amdhsa_reserve_flat_scratch 0
		.amdhsa_float_round_mode_32 0
		.amdhsa_float_round_mode_16_64 0
		.amdhsa_float_denorm_mode_32 3
		.amdhsa_float_denorm_mode_16_64 3
		.amdhsa_dx10_clamp 1
		.amdhsa_ieee_mode 1
		.amdhsa_fp16_overflow 0
		.amdhsa_exception_fp_ieee_invalid_op 0
		.amdhsa_exception_fp_denorm_src 0
		.amdhsa_exception_fp_ieee_div_zero 0
		.amdhsa_exception_fp_ieee_overflow 0
		.amdhsa_exception_fp_ieee_underflow 0
		.amdhsa_exception_fp_ieee_inexact 0
		.amdhsa_exception_int_div_zero 0
	.end_amdhsa_kernel
	.section	.text._ZN7rocprim6detail20lookback_scan_kernelILNS0_25lookback_scan_determinismE0ELb1ENS0_19wrapped_scan_configINS_14default_configEmEEPmS6_N6hipcub3SumEmmNS0_19lookback_scan_stateImLb0ELb1EEEEEvT2_T3_mT5_T4_T7_jPT6_SH_bb,"axG",@progbits,_ZN7rocprim6detail20lookback_scan_kernelILNS0_25lookback_scan_determinismE0ELb1ENS0_19wrapped_scan_configINS_14default_configEmEEPmS6_N6hipcub3SumEmmNS0_19lookback_scan_stateImLb0ELb1EEEEEvT2_T3_mT5_T4_T7_jPT6_SH_bb,comdat
.Lfunc_end89:
	.size	_ZN7rocprim6detail20lookback_scan_kernelILNS0_25lookback_scan_determinismE0ELb1ENS0_19wrapped_scan_configINS_14default_configEmEEPmS6_N6hipcub3SumEmmNS0_19lookback_scan_stateImLb0ELb1EEEEEvT2_T3_mT5_T4_T7_jPT6_SH_bb, .Lfunc_end89-_ZN7rocprim6detail20lookback_scan_kernelILNS0_25lookback_scan_determinismE0ELb1ENS0_19wrapped_scan_configINS_14default_configEmEEPmS6_N6hipcub3SumEmmNS0_19lookback_scan_stateImLb0ELb1EEEEEvT2_T3_mT5_T4_T7_jPT6_SH_bb
                                        ; -- End function
	.set _ZN7rocprim6detail20lookback_scan_kernelILNS0_25lookback_scan_determinismE0ELb1ENS0_19wrapped_scan_configINS_14default_configEmEEPmS6_N6hipcub3SumEmmNS0_19lookback_scan_stateImLb0ELb1EEEEEvT2_T3_mT5_T4_T7_jPT6_SH_bb.num_vgpr, 65
	.set _ZN7rocprim6detail20lookback_scan_kernelILNS0_25lookback_scan_determinismE0ELb1ENS0_19wrapped_scan_configINS_14default_configEmEEPmS6_N6hipcub3SumEmmNS0_19lookback_scan_stateImLb0ELb1EEEEEvT2_T3_mT5_T4_T7_jPT6_SH_bb.num_agpr, 0
	.set _ZN7rocprim6detail20lookback_scan_kernelILNS0_25lookback_scan_determinismE0ELb1ENS0_19wrapped_scan_configINS_14default_configEmEEPmS6_N6hipcub3SumEmmNS0_19lookback_scan_stateImLb0ELb1EEEEEvT2_T3_mT5_T4_T7_jPT6_SH_bb.numbered_sgpr, 26
	.set _ZN7rocprim6detail20lookback_scan_kernelILNS0_25lookback_scan_determinismE0ELb1ENS0_19wrapped_scan_configINS_14default_configEmEEPmS6_N6hipcub3SumEmmNS0_19lookback_scan_stateImLb0ELb1EEEEEvT2_T3_mT5_T4_T7_jPT6_SH_bb.num_named_barrier, 0
	.set _ZN7rocprim6detail20lookback_scan_kernelILNS0_25lookback_scan_determinismE0ELb1ENS0_19wrapped_scan_configINS_14default_configEmEEPmS6_N6hipcub3SumEmmNS0_19lookback_scan_stateImLb0ELb1EEEEEvT2_T3_mT5_T4_T7_jPT6_SH_bb.private_seg_size, 0
	.set _ZN7rocprim6detail20lookback_scan_kernelILNS0_25lookback_scan_determinismE0ELb1ENS0_19wrapped_scan_configINS_14default_configEmEEPmS6_N6hipcub3SumEmmNS0_19lookback_scan_stateImLb0ELb1EEEEEvT2_T3_mT5_T4_T7_jPT6_SH_bb.uses_vcc, 1
	.set _ZN7rocprim6detail20lookback_scan_kernelILNS0_25lookback_scan_determinismE0ELb1ENS0_19wrapped_scan_configINS_14default_configEmEEPmS6_N6hipcub3SumEmmNS0_19lookback_scan_stateImLb0ELb1EEEEEvT2_T3_mT5_T4_T7_jPT6_SH_bb.uses_flat_scratch, 0
	.set _ZN7rocprim6detail20lookback_scan_kernelILNS0_25lookback_scan_determinismE0ELb1ENS0_19wrapped_scan_configINS_14default_configEmEEPmS6_N6hipcub3SumEmmNS0_19lookback_scan_stateImLb0ELb1EEEEEvT2_T3_mT5_T4_T7_jPT6_SH_bb.has_dyn_sized_stack, 0
	.set _ZN7rocprim6detail20lookback_scan_kernelILNS0_25lookback_scan_determinismE0ELb1ENS0_19wrapped_scan_configINS_14default_configEmEEPmS6_N6hipcub3SumEmmNS0_19lookback_scan_stateImLb0ELb1EEEEEvT2_T3_mT5_T4_T7_jPT6_SH_bb.has_recursion, 0
	.set _ZN7rocprim6detail20lookback_scan_kernelILNS0_25lookback_scan_determinismE0ELb1ENS0_19wrapped_scan_configINS_14default_configEmEEPmS6_N6hipcub3SumEmmNS0_19lookback_scan_stateImLb0ELb1EEEEEvT2_T3_mT5_T4_T7_jPT6_SH_bb.has_indirect_call, 0
	.section	.AMDGPU.csdata,"",@progbits
; Kernel info:
; codeLenInByte = 5528
; TotalNumSgprs: 30
; NumVgprs: 65
; ScratchSize: 0
; MemoryBound: 1
; FloatMode: 240
; IeeeMode: 1
; LDSByteSize: 7168 bytes/workgroup (compile time only)
; SGPRBlocks: 12
; VGPRBlocks: 16
; NumSGPRsForWavesPerEU: 102
; NumVGPRsForWavesPerEU: 65
; Occupancy: 3
; WaveLimiterHint : 1
; COMPUTE_PGM_RSRC2:SCRATCH_EN: 0
; COMPUTE_PGM_RSRC2:USER_SGPR: 6
; COMPUTE_PGM_RSRC2:TRAP_HANDLER: 0
; COMPUTE_PGM_RSRC2:TGID_X_EN: 1
; COMPUTE_PGM_RSRC2:TGID_Y_EN: 0
; COMPUTE_PGM_RSRC2:TGID_Z_EN: 0
; COMPUTE_PGM_RSRC2:TIDIG_COMP_CNT: 0
	.section	.text._ZN7rocprim6detail18single_scan_kernelILb1ENS0_19wrapped_scan_configINS_14default_configEmEEPmS5_N6hipcub3SumEmmEEvT1_mT4_T2_T3_,"axG",@progbits,_ZN7rocprim6detail18single_scan_kernelILb1ENS0_19wrapped_scan_configINS_14default_configEmEEPmS5_N6hipcub3SumEmmEEvT1_mT4_T2_T3_,comdat
	.protected	_ZN7rocprim6detail18single_scan_kernelILb1ENS0_19wrapped_scan_configINS_14default_configEmEEPmS5_N6hipcub3SumEmmEEvT1_mT4_T2_T3_ ; -- Begin function _ZN7rocprim6detail18single_scan_kernelILb1ENS0_19wrapped_scan_configINS_14default_configEmEEPmS5_N6hipcub3SumEmmEEvT1_mT4_T2_T3_
	.globl	_ZN7rocprim6detail18single_scan_kernelILb1ENS0_19wrapped_scan_configINS_14default_configEmEEPmS5_N6hipcub3SumEmmEEvT1_mT4_T2_T3_
	.p2align	8
	.type	_ZN7rocprim6detail18single_scan_kernelILb1ENS0_19wrapped_scan_configINS_14default_configEmEEPmS5_N6hipcub3SumEmmEEvT1_mT4_T2_T3_,@function
_ZN7rocprim6detail18single_scan_kernelILb1ENS0_19wrapped_scan_configINS_14default_configEmEEPmS5_N6hipcub3SumEmmEEvT1_mT4_T2_T3_: ; @_ZN7rocprim6detail18single_scan_kernelILb1ENS0_19wrapped_scan_configINS_14default_configEmEEPmS5_N6hipcub3SumEmmEEvT1_mT4_T2_T3_
; %bb.0:
	s_load_dwordx8 s[36:43], s[4:5], 0x0
	v_lshlrev_b32_e32 v31, 3, v0
	s_waitcnt lgkmcnt(0)
	s_load_dwordx2 s[28:29], s[36:37], 0x0
	v_mov_b32_e32 v1, s37
	v_add_co_u32_e32 v3, vcc, s36, v31
	v_addc_co_u32_e32 v4, vcc, 0, v1, vcc
	s_waitcnt lgkmcnt(0)
	v_mov_b32_e32 v1, s28
	v_cmp_gt_u32_e64 s[0:1], s38, v0
	v_mov_b32_e32 v2, s29
	s_and_saveexec_b64 s[2:3], s[0:1]
	s_cbranch_execz .LBB90_2
; %bb.1:
	global_load_dwordx2 v[1:2], v[3:4], off
.LBB90_2:
	s_or_b64 exec, exec, s[2:3]
	v_or_b32_e32 v5, 64, v0
	v_cmp_gt_u32_e64 s[2:3], s38, v5
	v_mov_b32_e32 v5, s28
	v_mov_b32_e32 v6, s29
	s_and_saveexec_b64 s[4:5], s[2:3]
	s_cbranch_execz .LBB90_4
; %bb.3:
	global_load_dwordx2 v[5:6], v[3:4], off offset:512
.LBB90_4:
	s_or_b64 exec, exec, s[4:5]
	v_or_b32_e32 v7, 0x80, v0
	v_cmp_gt_u32_e64 s[4:5], s38, v7
	v_mov_b32_e32 v7, s28
	v_mov_b32_e32 v8, s29
	s_and_saveexec_b64 s[6:7], s[4:5]
	s_cbranch_execz .LBB90_6
; %bb.5:
	global_load_dwordx2 v[7:8], v[3:4], off offset:1024
.LBB90_6:
	;; [unrolled: 10-line block ×7, first 2 shown]
	s_or_b64 exec, exec, s[16:17]
	v_or_b32_e32 v19, 0x200, v0
	v_cmp_gt_u32_e64 s[16:17], s38, v19
	v_mov_b32_e32 v19, s28
	v_mov_b32_e32 v20, s29
	s_and_saveexec_b64 s[18:19], s[16:17]
	s_cbranch_execz .LBB90_18
; %bb.17:
	v_add_co_u32_e32 v19, vcc, 0x1000, v3
	v_addc_co_u32_e32 v20, vcc, 0, v4, vcc
	global_load_dwordx2 v[19:20], v[19:20], off
.LBB90_18:
	s_or_b64 exec, exec, s[18:19]
	v_or_b32_e32 v21, 0x240, v0
	v_cmp_gt_u32_e64 s[18:19], s38, v21
	v_mov_b32_e32 v21, s28
	v_mov_b32_e32 v22, s29
	s_and_saveexec_b64 s[20:21], s[18:19]
	s_cbranch_execz .LBB90_20
; %bb.19:
	v_add_co_u32_e32 v21, vcc, 0x1000, v3
	v_addc_co_u32_e32 v22, vcc, 0, v4, vcc
	global_load_dwordx2 v[21:22], v[21:22], off offset:512
.LBB90_20:
	s_or_b64 exec, exec, s[20:21]
	v_or_b32_e32 v23, 0x280, v0
	v_cmp_gt_u32_e64 s[20:21], s38, v23
	v_mov_b32_e32 v23, s28
	v_mov_b32_e32 v24, s29
	s_and_saveexec_b64 s[22:23], s[20:21]
	s_cbranch_execz .LBB90_22
; %bb.21:
	v_add_co_u32_e32 v23, vcc, 0x1000, v3
	v_addc_co_u32_e32 v24, vcc, 0, v4, vcc
	global_load_dwordx2 v[23:24], v[23:24], off offset:1024
.LBB90_22:
	;; [unrolled: 12-line block ×5, first 2 shown]
	s_or_b64 exec, exec, s[28:29]
	s_movk_i32 s28, 0x68
	s_waitcnt vmcnt(0)
	ds_write2st64_b64 v31, v[1:2], v[5:6] offset1:1
	ds_write2st64_b64 v31, v[7:8], v[9:10] offset0:2 offset1:3
	ds_write2st64_b64 v31, v[11:12], v[13:14] offset0:4 offset1:5
	;; [unrolled: 1-line block ×6, first 2 shown]
	v_mad_u32_u24 v25, v0, s28, v31
	s_waitcnt lgkmcnt(0)
	; wave barrier
	ds_read_b128 v[13:16], v25
	ds_read_b128 v[9:12], v25 offset:16
	ds_read_b128 v[5:8], v25 offset:32
	;; [unrolled: 1-line block ×6, first 2 shown]
	s_waitcnt lgkmcnt(6)
	v_add_co_u32_e32 v29, vcc, v15, v13
	v_addc_co_u32_e32 v30, vcc, v16, v14, vcc
	s_waitcnt lgkmcnt(5)
	v_add_co_u32_e32 v29, vcc, v29, v9
	v_addc_co_u32_e32 v30, vcc, v30, v10, vcc
	v_add_co_u32_e32 v29, vcc, v29, v11
	v_addc_co_u32_e32 v30, vcc, v30, v12, vcc
	s_waitcnt lgkmcnt(4)
	v_add_co_u32_e32 v29, vcc, v29, v5
	v_addc_co_u32_e32 v30, vcc, v30, v6, vcc
	;; [unrolled: 5-line block ×6, first 2 shown]
	v_add_co_u32_e32 v27, vcc, v29, v27
	v_mbcnt_lo_u32_b32 v29, -1, 0
	v_mbcnt_hi_u32_b32 v29, -1, v29
	v_addc_co_u32_e32 v28, vcc, v30, v28, vcc
	v_and_b32_e32 v32, 15, v29
	v_mov_b32_dpp v34, v27 row_shr:1 row_mask:0xf bank_mask:0xf
	v_mov_b32_dpp v33, v28 row_shr:1 row_mask:0xf bank_mask:0xf
	v_cmp_ne_u32_e32 vcc, 0, v32
	v_mov_b32_e32 v30, v27
	; wave barrier
	s_and_saveexec_b64 s[28:29], vcc
; %bb.29:
	v_add_co_u32_e32 v30, vcc, v27, v34
	v_addc_co_u32_e32 v28, vcc, 0, v28, vcc
	v_add_co_u32_e32 v27, vcc, 0, v30
	v_addc_co_u32_e32 v28, vcc, v33, v28, vcc
; %bb.30:
	s_or_b64 exec, exec, s[28:29]
	v_mov_b32_dpp v34, v30 row_shr:2 row_mask:0xf bank_mask:0xf
	v_mov_b32_dpp v33, v28 row_shr:2 row_mask:0xf bank_mask:0xf
	v_cmp_lt_u32_e32 vcc, 1, v32
	s_and_saveexec_b64 s[28:29], vcc
; %bb.31:
	v_add_co_u32_e32 v30, vcc, v27, v34
	v_addc_co_u32_e32 v28, vcc, 0, v28, vcc
	v_add_co_u32_e32 v27, vcc, 0, v30
	v_addc_co_u32_e32 v28, vcc, v33, v28, vcc
; %bb.32:
	s_or_b64 exec, exec, s[28:29]
	v_mov_b32_dpp v34, v30 row_shr:4 row_mask:0xf bank_mask:0xf
	v_mov_b32_dpp v33, v28 row_shr:4 row_mask:0xf bank_mask:0xf
	v_cmp_lt_u32_e32 vcc, 3, v32
	;; [unrolled: 11-line block ×3, first 2 shown]
	s_and_saveexec_b64 s[28:29], vcc
; %bb.35:
	v_add_co_u32_e32 v30, vcc, v27, v34
	v_addc_co_u32_e32 v28, vcc, 0, v28, vcc
	v_add_co_u32_e32 v27, vcc, 0, v30
	v_addc_co_u32_e32 v28, vcc, v33, v28, vcc
; %bb.36:
	s_or_b64 exec, exec, s[28:29]
	v_and_b32_e32 v34, 16, v29
	v_mov_b32_dpp v33, v30 row_bcast:15 row_mask:0xf bank_mask:0xf
	v_mov_b32_dpp v32, v28 row_bcast:15 row_mask:0xf bank_mask:0xf
	v_cmp_ne_u32_e32 vcc, 0, v34
	s_and_saveexec_b64 s[28:29], vcc
; %bb.37:
	v_add_co_u32_e32 v30, vcc, v27, v33
	v_addc_co_u32_e32 v28, vcc, 0, v28, vcc
	v_add_co_u32_e32 v27, vcc, 0, v30
	v_addc_co_u32_e32 v28, vcc, v32, v28, vcc
; %bb.38:
	s_or_b64 exec, exec, s[28:29]
	v_mov_b32_dpp v33, v30 row_bcast:31 row_mask:0xf bank_mask:0xf
	v_add_co_u32_e32 v33, vcc, v27, v33
	v_addc_co_u32_e32 v35, vcc, 0, v28, vcc
	v_mov_b32_dpp v34, v28 row_bcast:31 row_mask:0xf bank_mask:0xf
	v_add_co_u32_e32 v33, vcc, 0, v33
	v_addc_co_u32_e32 v34, vcc, v35, v34, vcc
	v_cmp_lt_u32_e32 vcc, 31, v29
	v_mul_u32_u24_e32 v32, 0x68, v0
	v_mov_b32_e32 v30, 0
	v_cndmask_b32_e32 v28, v28, v34, vcc
	v_cndmask_b32_e32 v27, v27, v33, vcc
	v_cmp_eq_u32_e32 vcc, 63, v0
	s_and_saveexec_b64 s[28:29], vcc
; %bb.39:
	ds_write_b64 v30, v[27:28]
; %bb.40:
	s_or_b64 exec, exec, s[28:29]
	v_mov_b32_e32 v30, s41
	v_add_co_u32_e32 v27, vcc, s40, v27
	v_addc_co_u32_e32 v28, vcc, v28, v30, vcc
	v_subrev_co_u32_e32 v30, vcc, 1, v29
	v_and_b32_e32 v33, 64, v29
	v_cmp_lt_i32_e64 s[28:29], v30, v33
	v_cndmask_b32_e64 v29, v30, v29, s[28:29]
	v_lshlrev_b32_e32 v29, 2, v29
	ds_bpermute_b32 v28, v29, v28
	ds_bpermute_b32 v27, v29, v27
	v_cmp_eq_u32_e64 s[28:29], 0, v0
	v_mov_b32_e32 v0, s41
	s_or_b64 vcc, s[28:29], vcc
	s_waitcnt lgkmcnt(1)
	v_cndmask_b32_e32 v28, v28, v0, vcc
	v_mov_b32_e32 v0, s40
	s_waitcnt lgkmcnt(0)
	v_cndmask_b32_e32 v27, v27, v0, vcc
	v_add_co_u32_e32 v29, vcc, v27, v13
	v_addc_co_u32_e32 v30, vcc, v28, v14, vcc
	v_add_co_u32_e32 v13, vcc, v29, v15
	v_addc_co_u32_e32 v14, vcc, v30, v16, vcc
	;; [unrolled: 2-line block ×13, first 2 shown]
	v_add_u32_e32 v4, v31, v32
	; wave barrier
	; wave barrier
	ds_write_b128 v4, v[27:30]
	ds_write_b128 v4, v[13:16] offset:16
	ds_write_b128 v4, v[9:12] offset:32
	;; [unrolled: 1-line block ×6, first 2 shown]
	s_waitcnt lgkmcnt(0)
	; wave barrier
	ds_read2st64_b64 v[20:23], v31 offset0:1 offset1:2
	ds_read2st64_b64 v[16:19], v31 offset0:3 offset1:4
	;; [unrolled: 1-line block ×6, first 2 shown]
	ds_read_b64 v[24:25], v31 offset:6656
	v_mov_b32_e32 v27, s43
	v_add_co_u32_e32 v26, vcc, s42, v31
	v_addc_co_u32_e32 v27, vcc, 0, v27, vcc
	s_and_saveexec_b64 s[28:29], s[0:1]
	s_cbranch_execnz .LBB90_55
; %bb.41:
	s_or_b64 exec, exec, s[28:29]
	s_and_saveexec_b64 s[0:1], s[2:3]
	s_cbranch_execnz .LBB90_56
.LBB90_42:
	s_or_b64 exec, exec, s[0:1]
	s_and_saveexec_b64 s[0:1], s[4:5]
	s_cbranch_execnz .LBB90_57
.LBB90_43:
	s_or_b64 exec, exec, s[0:1]
	s_and_saveexec_b64 s[0:1], s[6:7]
	s_cbranch_execnz .LBB90_58
.LBB90_44:
	s_or_b64 exec, exec, s[0:1]
	s_and_saveexec_b64 s[0:1], s[8:9]
	s_cbranch_execnz .LBB90_59
.LBB90_45:
	s_or_b64 exec, exec, s[0:1]
	s_and_saveexec_b64 s[0:1], s[10:11]
	s_cbranch_execnz .LBB90_60
.LBB90_46:
	s_or_b64 exec, exec, s[0:1]
	s_and_saveexec_b64 s[0:1], s[12:13]
	s_cbranch_execnz .LBB90_61
.LBB90_47:
	s_or_b64 exec, exec, s[0:1]
	s_and_saveexec_b64 s[0:1], s[14:15]
	s_cbranch_execnz .LBB90_62
.LBB90_48:
	s_or_b64 exec, exec, s[0:1]
	s_and_saveexec_b64 s[0:1], s[16:17]
	s_cbranch_execnz .LBB90_63
.LBB90_49:
	s_or_b64 exec, exec, s[0:1]
	s_and_saveexec_b64 s[0:1], s[18:19]
	s_cbranch_execnz .LBB90_64
.LBB90_50:
	s_or_b64 exec, exec, s[0:1]
	s_and_saveexec_b64 s[0:1], s[20:21]
	s_cbranch_execnz .LBB90_65
.LBB90_51:
	s_or_b64 exec, exec, s[0:1]
	s_and_saveexec_b64 s[0:1], s[22:23]
	s_cbranch_execnz .LBB90_66
.LBB90_52:
	s_or_b64 exec, exec, s[0:1]
	s_and_saveexec_b64 s[0:1], s[24:25]
	s_cbranch_execnz .LBB90_67
.LBB90_53:
	s_or_b64 exec, exec, s[0:1]
	s_and_saveexec_b64 s[0:1], s[26:27]
	s_cbranch_execnz .LBB90_68
.LBB90_54:
	s_endpgm
.LBB90_55:
	ds_read_b64 v[28:29], v31
	s_waitcnt lgkmcnt(0)
	global_store_dwordx2 v[26:27], v[28:29], off
	s_or_b64 exec, exec, s[28:29]
	s_and_saveexec_b64 s[0:1], s[2:3]
	s_cbranch_execz .LBB90_42
.LBB90_56:
	s_waitcnt lgkmcnt(6)
	global_store_dwordx2 v[26:27], v[20:21], off offset:512
	s_or_b64 exec, exec, s[0:1]
	s_and_saveexec_b64 s[0:1], s[4:5]
	s_cbranch_execz .LBB90_43
.LBB90_57:
	s_waitcnt lgkmcnt(6)
	global_store_dwordx2 v[26:27], v[22:23], off offset:1024
	s_or_b64 exec, exec, s[0:1]
	s_and_saveexec_b64 s[0:1], s[6:7]
	s_cbranch_execz .LBB90_44
.LBB90_58:
	s_waitcnt lgkmcnt(5)
	global_store_dwordx2 v[26:27], v[16:17], off offset:1536
	s_or_b64 exec, exec, s[0:1]
	s_and_saveexec_b64 s[0:1], s[8:9]
	s_cbranch_execz .LBB90_45
.LBB90_59:
	s_waitcnt lgkmcnt(5)
	global_store_dwordx2 v[26:27], v[18:19], off offset:2048
	s_or_b64 exec, exec, s[0:1]
	s_and_saveexec_b64 s[0:1], s[10:11]
	s_cbranch_execz .LBB90_46
.LBB90_60:
	s_waitcnt lgkmcnt(4)
	global_store_dwordx2 v[26:27], v[12:13], off offset:2560
	s_or_b64 exec, exec, s[0:1]
	s_and_saveexec_b64 s[0:1], s[12:13]
	s_cbranch_execz .LBB90_47
.LBB90_61:
	s_waitcnt lgkmcnt(4)
	global_store_dwordx2 v[26:27], v[14:15], off offset:3072
	s_or_b64 exec, exec, s[0:1]
	s_and_saveexec_b64 s[0:1], s[14:15]
	s_cbranch_execz .LBB90_48
.LBB90_62:
	s_waitcnt lgkmcnt(3)
	global_store_dwordx2 v[26:27], v[8:9], off offset:3584
	s_or_b64 exec, exec, s[0:1]
	s_and_saveexec_b64 s[0:1], s[16:17]
	s_cbranch_execz .LBB90_49
.LBB90_63:
	s_waitcnt lgkmcnt(3)
	v_add_co_u32_e32 v8, vcc, 0x1000, v26
	v_addc_co_u32_e32 v9, vcc, 0, v27, vcc
	global_store_dwordx2 v[8:9], v[10:11], off
	s_or_b64 exec, exec, s[0:1]
	s_and_saveexec_b64 s[0:1], s[18:19]
	s_cbranch_execz .LBB90_50
.LBB90_64:
	s_waitcnt lgkmcnt(3)
	v_add_co_u32_e32 v8, vcc, 0x1000, v26
	v_addc_co_u32_e32 v9, vcc, 0, v27, vcc
	s_waitcnt lgkmcnt(2)
	global_store_dwordx2 v[8:9], v[4:5], off offset:512
	s_or_b64 exec, exec, s[0:1]
	s_and_saveexec_b64 s[0:1], s[20:21]
	s_cbranch_execz .LBB90_51
.LBB90_65:
	s_waitcnt lgkmcnt(2)
	v_add_co_u32_e32 v4, vcc, 0x1000, v26
	v_addc_co_u32_e32 v5, vcc, 0, v27, vcc
	global_store_dwordx2 v[4:5], v[6:7], off offset:1024
	s_or_b64 exec, exec, s[0:1]
	s_and_saveexec_b64 s[0:1], s[22:23]
	s_cbranch_execz .LBB90_52
.LBB90_66:
	s_waitcnt lgkmcnt(2)
	v_add_co_u32_e32 v4, vcc, 0x1000, v26
	v_addc_co_u32_e32 v5, vcc, 0, v27, vcc
	s_waitcnt lgkmcnt(1)
	global_store_dwordx2 v[4:5], v[0:1], off offset:1536
	s_or_b64 exec, exec, s[0:1]
	s_and_saveexec_b64 s[0:1], s[24:25]
	s_cbranch_execz .LBB90_53
.LBB90_67:
	s_waitcnt lgkmcnt(1)
	v_add_co_u32_e32 v0, vcc, 0x1000, v26
	v_addc_co_u32_e32 v1, vcc, 0, v27, vcc
	global_store_dwordx2 v[0:1], v[2:3], off offset:2048
	s_or_b64 exec, exec, s[0:1]
	s_and_saveexec_b64 s[0:1], s[26:27]
	s_cbranch_execz .LBB90_54
.LBB90_68:
	s_waitcnt lgkmcnt(1)
	v_add_co_u32_e32 v0, vcc, 0x1000, v26
	v_addc_co_u32_e32 v1, vcc, 0, v27, vcc
	s_waitcnt lgkmcnt(0)
	global_store_dwordx2 v[0:1], v[24:25], off offset:2560
	s_endpgm
	.section	.rodata,"a",@progbits
	.p2align	6, 0x0
	.amdhsa_kernel _ZN7rocprim6detail18single_scan_kernelILb1ENS0_19wrapped_scan_configINS_14default_configEmEEPmS5_N6hipcub3SumEmmEEvT1_mT4_T2_T3_
		.amdhsa_group_segment_fixed_size 7168
		.amdhsa_private_segment_fixed_size 0
		.amdhsa_kernarg_size 36
		.amdhsa_user_sgpr_count 6
		.amdhsa_user_sgpr_private_segment_buffer 1
		.amdhsa_user_sgpr_dispatch_ptr 0
		.amdhsa_user_sgpr_queue_ptr 0
		.amdhsa_user_sgpr_kernarg_segment_ptr 1
		.amdhsa_user_sgpr_dispatch_id 0
		.amdhsa_user_sgpr_flat_scratch_init 0
		.amdhsa_user_sgpr_private_segment_size 0
		.amdhsa_uses_dynamic_stack 0
		.amdhsa_system_sgpr_private_segment_wavefront_offset 0
		.amdhsa_system_sgpr_workgroup_id_x 1
		.amdhsa_system_sgpr_workgroup_id_y 0
		.amdhsa_system_sgpr_workgroup_id_z 0
		.amdhsa_system_sgpr_workgroup_info 0
		.amdhsa_system_vgpr_workitem_id 0
		.amdhsa_next_free_vgpr 65
		.amdhsa_next_free_sgpr 98
		.amdhsa_reserve_vcc 1
		.amdhsa_reserve_flat_scratch 0
		.amdhsa_float_round_mode_32 0
		.amdhsa_float_round_mode_16_64 0
		.amdhsa_float_denorm_mode_32 3
		.amdhsa_float_denorm_mode_16_64 3
		.amdhsa_dx10_clamp 1
		.amdhsa_ieee_mode 1
		.amdhsa_fp16_overflow 0
		.amdhsa_exception_fp_ieee_invalid_op 0
		.amdhsa_exception_fp_denorm_src 0
		.amdhsa_exception_fp_ieee_div_zero 0
		.amdhsa_exception_fp_ieee_overflow 0
		.amdhsa_exception_fp_ieee_underflow 0
		.amdhsa_exception_fp_ieee_inexact 0
		.amdhsa_exception_int_div_zero 0
	.end_amdhsa_kernel
	.section	.text._ZN7rocprim6detail18single_scan_kernelILb1ENS0_19wrapped_scan_configINS_14default_configEmEEPmS5_N6hipcub3SumEmmEEvT1_mT4_T2_T3_,"axG",@progbits,_ZN7rocprim6detail18single_scan_kernelILb1ENS0_19wrapped_scan_configINS_14default_configEmEEPmS5_N6hipcub3SumEmmEEvT1_mT4_T2_T3_,comdat
.Lfunc_end90:
	.size	_ZN7rocprim6detail18single_scan_kernelILb1ENS0_19wrapped_scan_configINS_14default_configEmEEPmS5_N6hipcub3SumEmmEEvT1_mT4_T2_T3_, .Lfunc_end90-_ZN7rocprim6detail18single_scan_kernelILb1ENS0_19wrapped_scan_configINS_14default_configEmEEPmS5_N6hipcub3SumEmmEEvT1_mT4_T2_T3_
                                        ; -- End function
	.set _ZN7rocprim6detail18single_scan_kernelILb1ENS0_19wrapped_scan_configINS_14default_configEmEEPmS5_N6hipcub3SumEmmEEvT1_mT4_T2_T3_.num_vgpr, 36
	.set _ZN7rocprim6detail18single_scan_kernelILb1ENS0_19wrapped_scan_configINS_14default_configEmEEPmS5_N6hipcub3SumEmmEEvT1_mT4_T2_T3_.num_agpr, 0
	.set _ZN7rocprim6detail18single_scan_kernelILb1ENS0_19wrapped_scan_configINS_14default_configEmEEPmS5_N6hipcub3SumEmmEEvT1_mT4_T2_T3_.numbered_sgpr, 44
	.set _ZN7rocprim6detail18single_scan_kernelILb1ENS0_19wrapped_scan_configINS_14default_configEmEEPmS5_N6hipcub3SumEmmEEvT1_mT4_T2_T3_.num_named_barrier, 0
	.set _ZN7rocprim6detail18single_scan_kernelILb1ENS0_19wrapped_scan_configINS_14default_configEmEEPmS5_N6hipcub3SumEmmEEvT1_mT4_T2_T3_.private_seg_size, 0
	.set _ZN7rocprim6detail18single_scan_kernelILb1ENS0_19wrapped_scan_configINS_14default_configEmEEPmS5_N6hipcub3SumEmmEEvT1_mT4_T2_T3_.uses_vcc, 1
	.set _ZN7rocprim6detail18single_scan_kernelILb1ENS0_19wrapped_scan_configINS_14default_configEmEEPmS5_N6hipcub3SumEmmEEvT1_mT4_T2_T3_.uses_flat_scratch, 0
	.set _ZN7rocprim6detail18single_scan_kernelILb1ENS0_19wrapped_scan_configINS_14default_configEmEEPmS5_N6hipcub3SumEmmEEvT1_mT4_T2_T3_.has_dyn_sized_stack, 0
	.set _ZN7rocprim6detail18single_scan_kernelILb1ENS0_19wrapped_scan_configINS_14default_configEmEEPmS5_N6hipcub3SumEmmEEvT1_mT4_T2_T3_.has_recursion, 0
	.set _ZN7rocprim6detail18single_scan_kernelILb1ENS0_19wrapped_scan_configINS_14default_configEmEEPmS5_N6hipcub3SumEmmEEvT1_mT4_T2_T3_.has_indirect_call, 0
	.section	.AMDGPU.csdata,"",@progbits
; Kernel info:
; codeLenInByte = 2220
; TotalNumSgprs: 48
; NumVgprs: 36
; ScratchSize: 0
; MemoryBound: 0
; FloatMode: 240
; IeeeMode: 1
; LDSByteSize: 7168 bytes/workgroup (compile time only)
; SGPRBlocks: 12
; VGPRBlocks: 16
; NumSGPRsForWavesPerEU: 102
; NumVGPRsForWavesPerEU: 65
; Occupancy: 3
; WaveLimiterHint : 0
; COMPUTE_PGM_RSRC2:SCRATCH_EN: 0
; COMPUTE_PGM_RSRC2:USER_SGPR: 6
; COMPUTE_PGM_RSRC2:TRAP_HANDLER: 0
; COMPUTE_PGM_RSRC2:TGID_X_EN: 1
; COMPUTE_PGM_RSRC2:TGID_Y_EN: 0
; COMPUTE_PGM_RSRC2:TGID_Z_EN: 0
; COMPUTE_PGM_RSRC2:TIDIG_COMP_CNT: 0
	.section	.text._ZN7rocprim6detail20lookback_scan_kernelILNS0_25lookback_scan_determinismE0ELb1ENS0_19wrapped_scan_configINS_14default_configEyEEPyS6_N6hipcub3MinEyyNS0_19lookback_scan_stateIyLb1ELb1EEEEEvT2_T3_mT5_T4_T7_jPT6_SH_bb,"axG",@progbits,_ZN7rocprim6detail20lookback_scan_kernelILNS0_25lookback_scan_determinismE0ELb1ENS0_19wrapped_scan_configINS_14default_configEyEEPyS6_N6hipcub3MinEyyNS0_19lookback_scan_stateIyLb1ELb1EEEEEvT2_T3_mT5_T4_T7_jPT6_SH_bb,comdat
	.protected	_ZN7rocprim6detail20lookback_scan_kernelILNS0_25lookback_scan_determinismE0ELb1ENS0_19wrapped_scan_configINS_14default_configEyEEPyS6_N6hipcub3MinEyyNS0_19lookback_scan_stateIyLb1ELb1EEEEEvT2_T3_mT5_T4_T7_jPT6_SH_bb ; -- Begin function _ZN7rocprim6detail20lookback_scan_kernelILNS0_25lookback_scan_determinismE0ELb1ENS0_19wrapped_scan_configINS_14default_configEyEEPyS6_N6hipcub3MinEyyNS0_19lookback_scan_stateIyLb1ELb1EEEEEvT2_T3_mT5_T4_T7_jPT6_SH_bb
	.globl	_ZN7rocprim6detail20lookback_scan_kernelILNS0_25lookback_scan_determinismE0ELb1ENS0_19wrapped_scan_configINS_14default_configEyEEPyS6_N6hipcub3MinEyyNS0_19lookback_scan_stateIyLb1ELb1EEEEEvT2_T3_mT5_T4_T7_jPT6_SH_bb
	.p2align	8
	.type	_ZN7rocprim6detail20lookback_scan_kernelILNS0_25lookback_scan_determinismE0ELb1ENS0_19wrapped_scan_configINS_14default_configEyEEPyS6_N6hipcub3MinEyyNS0_19lookback_scan_stateIyLb1ELb1EEEEEvT2_T3_mT5_T4_T7_jPT6_SH_bb,@function
_ZN7rocprim6detail20lookback_scan_kernelILNS0_25lookback_scan_determinismE0ELb1ENS0_19wrapped_scan_configINS_14default_configEyEEPyS6_N6hipcub3MinEyyNS0_19lookback_scan_stateIyLb1ELb1EEEEEvT2_T3_mT5_T4_T7_jPT6_SH_bb: ; @_ZN7rocprim6detail20lookback_scan_kernelILNS0_25lookback_scan_determinismE0ELb1ENS0_19wrapped_scan_configINS_14default_configEyEEPyS6_N6hipcub3MinEyyNS0_19lookback_scan_stateIyLb1ELb1EEEEEvT2_T3_mT5_T4_T7_jPT6_SH_bb
; %bb.0:
	s_endpgm
	.section	.rodata,"a",@progbits
	.p2align	6, 0x0
	.amdhsa_kernel _ZN7rocprim6detail20lookback_scan_kernelILNS0_25lookback_scan_determinismE0ELb1ENS0_19wrapped_scan_configINS_14default_configEyEEPyS6_N6hipcub3MinEyyNS0_19lookback_scan_stateIyLb1ELb1EEEEEvT2_T3_mT5_T4_T7_jPT6_SH_bb
		.amdhsa_group_segment_fixed_size 0
		.amdhsa_private_segment_fixed_size 0
		.amdhsa_kernarg_size 76
		.amdhsa_user_sgpr_count 6
		.amdhsa_user_sgpr_private_segment_buffer 1
		.amdhsa_user_sgpr_dispatch_ptr 0
		.amdhsa_user_sgpr_queue_ptr 0
		.amdhsa_user_sgpr_kernarg_segment_ptr 1
		.amdhsa_user_sgpr_dispatch_id 0
		.amdhsa_user_sgpr_flat_scratch_init 0
		.amdhsa_user_sgpr_private_segment_size 0
		.amdhsa_uses_dynamic_stack 0
		.amdhsa_system_sgpr_private_segment_wavefront_offset 0
		.amdhsa_system_sgpr_workgroup_id_x 1
		.amdhsa_system_sgpr_workgroup_id_y 0
		.amdhsa_system_sgpr_workgroup_id_z 0
		.amdhsa_system_sgpr_workgroup_info 0
		.amdhsa_system_vgpr_workitem_id 0
		.amdhsa_next_free_vgpr 1
		.amdhsa_next_free_sgpr 0
		.amdhsa_reserve_vcc 0
		.amdhsa_reserve_flat_scratch 0
		.amdhsa_float_round_mode_32 0
		.amdhsa_float_round_mode_16_64 0
		.amdhsa_float_denorm_mode_32 3
		.amdhsa_float_denorm_mode_16_64 3
		.amdhsa_dx10_clamp 1
		.amdhsa_ieee_mode 1
		.amdhsa_fp16_overflow 0
		.amdhsa_exception_fp_ieee_invalid_op 0
		.amdhsa_exception_fp_denorm_src 0
		.amdhsa_exception_fp_ieee_div_zero 0
		.amdhsa_exception_fp_ieee_overflow 0
		.amdhsa_exception_fp_ieee_underflow 0
		.amdhsa_exception_fp_ieee_inexact 0
		.amdhsa_exception_int_div_zero 0
	.end_amdhsa_kernel
	.section	.text._ZN7rocprim6detail20lookback_scan_kernelILNS0_25lookback_scan_determinismE0ELb1ENS0_19wrapped_scan_configINS_14default_configEyEEPyS6_N6hipcub3MinEyyNS0_19lookback_scan_stateIyLb1ELb1EEEEEvT2_T3_mT5_T4_T7_jPT6_SH_bb,"axG",@progbits,_ZN7rocprim6detail20lookback_scan_kernelILNS0_25lookback_scan_determinismE0ELb1ENS0_19wrapped_scan_configINS_14default_configEyEEPyS6_N6hipcub3MinEyyNS0_19lookback_scan_stateIyLb1ELb1EEEEEvT2_T3_mT5_T4_T7_jPT6_SH_bb,comdat
.Lfunc_end91:
	.size	_ZN7rocprim6detail20lookback_scan_kernelILNS0_25lookback_scan_determinismE0ELb1ENS0_19wrapped_scan_configINS_14default_configEyEEPyS6_N6hipcub3MinEyyNS0_19lookback_scan_stateIyLb1ELb1EEEEEvT2_T3_mT5_T4_T7_jPT6_SH_bb, .Lfunc_end91-_ZN7rocprim6detail20lookback_scan_kernelILNS0_25lookback_scan_determinismE0ELb1ENS0_19wrapped_scan_configINS_14default_configEyEEPyS6_N6hipcub3MinEyyNS0_19lookback_scan_stateIyLb1ELb1EEEEEvT2_T3_mT5_T4_T7_jPT6_SH_bb
                                        ; -- End function
	.set _ZN7rocprim6detail20lookback_scan_kernelILNS0_25lookback_scan_determinismE0ELb1ENS0_19wrapped_scan_configINS_14default_configEyEEPyS6_N6hipcub3MinEyyNS0_19lookback_scan_stateIyLb1ELb1EEEEEvT2_T3_mT5_T4_T7_jPT6_SH_bb.num_vgpr, 0
	.set _ZN7rocprim6detail20lookback_scan_kernelILNS0_25lookback_scan_determinismE0ELb1ENS0_19wrapped_scan_configINS_14default_configEyEEPyS6_N6hipcub3MinEyyNS0_19lookback_scan_stateIyLb1ELb1EEEEEvT2_T3_mT5_T4_T7_jPT6_SH_bb.num_agpr, 0
	.set _ZN7rocprim6detail20lookback_scan_kernelILNS0_25lookback_scan_determinismE0ELb1ENS0_19wrapped_scan_configINS_14default_configEyEEPyS6_N6hipcub3MinEyyNS0_19lookback_scan_stateIyLb1ELb1EEEEEvT2_T3_mT5_T4_T7_jPT6_SH_bb.numbered_sgpr, 0
	.set _ZN7rocprim6detail20lookback_scan_kernelILNS0_25lookback_scan_determinismE0ELb1ENS0_19wrapped_scan_configINS_14default_configEyEEPyS6_N6hipcub3MinEyyNS0_19lookback_scan_stateIyLb1ELb1EEEEEvT2_T3_mT5_T4_T7_jPT6_SH_bb.num_named_barrier, 0
	.set _ZN7rocprim6detail20lookback_scan_kernelILNS0_25lookback_scan_determinismE0ELb1ENS0_19wrapped_scan_configINS_14default_configEyEEPyS6_N6hipcub3MinEyyNS0_19lookback_scan_stateIyLb1ELb1EEEEEvT2_T3_mT5_T4_T7_jPT6_SH_bb.private_seg_size, 0
	.set _ZN7rocprim6detail20lookback_scan_kernelILNS0_25lookback_scan_determinismE0ELb1ENS0_19wrapped_scan_configINS_14default_configEyEEPyS6_N6hipcub3MinEyyNS0_19lookback_scan_stateIyLb1ELb1EEEEEvT2_T3_mT5_T4_T7_jPT6_SH_bb.uses_vcc, 0
	.set _ZN7rocprim6detail20lookback_scan_kernelILNS0_25lookback_scan_determinismE0ELb1ENS0_19wrapped_scan_configINS_14default_configEyEEPyS6_N6hipcub3MinEyyNS0_19lookback_scan_stateIyLb1ELb1EEEEEvT2_T3_mT5_T4_T7_jPT6_SH_bb.uses_flat_scratch, 0
	.set _ZN7rocprim6detail20lookback_scan_kernelILNS0_25lookback_scan_determinismE0ELb1ENS0_19wrapped_scan_configINS_14default_configEyEEPyS6_N6hipcub3MinEyyNS0_19lookback_scan_stateIyLb1ELb1EEEEEvT2_T3_mT5_T4_T7_jPT6_SH_bb.has_dyn_sized_stack, 0
	.set _ZN7rocprim6detail20lookback_scan_kernelILNS0_25lookback_scan_determinismE0ELb1ENS0_19wrapped_scan_configINS_14default_configEyEEPyS6_N6hipcub3MinEyyNS0_19lookback_scan_stateIyLb1ELb1EEEEEvT2_T3_mT5_T4_T7_jPT6_SH_bb.has_recursion, 0
	.set _ZN7rocprim6detail20lookback_scan_kernelILNS0_25lookback_scan_determinismE0ELb1ENS0_19wrapped_scan_configINS_14default_configEyEEPyS6_N6hipcub3MinEyyNS0_19lookback_scan_stateIyLb1ELb1EEEEEvT2_T3_mT5_T4_T7_jPT6_SH_bb.has_indirect_call, 0
	.section	.AMDGPU.csdata,"",@progbits
; Kernel info:
; codeLenInByte = 4
; TotalNumSgprs: 4
; NumVgprs: 0
; ScratchSize: 0
; MemoryBound: 0
; FloatMode: 240
; IeeeMode: 1
; LDSByteSize: 0 bytes/workgroup (compile time only)
; SGPRBlocks: 0
; VGPRBlocks: 0
; NumSGPRsForWavesPerEU: 4
; NumVGPRsForWavesPerEU: 1
; Occupancy: 10
; WaveLimiterHint : 0
; COMPUTE_PGM_RSRC2:SCRATCH_EN: 0
; COMPUTE_PGM_RSRC2:USER_SGPR: 6
; COMPUTE_PGM_RSRC2:TRAP_HANDLER: 0
; COMPUTE_PGM_RSRC2:TGID_X_EN: 1
; COMPUTE_PGM_RSRC2:TGID_Y_EN: 0
; COMPUTE_PGM_RSRC2:TGID_Z_EN: 0
; COMPUTE_PGM_RSRC2:TIDIG_COMP_CNT: 0
	.section	.text._ZN7rocprim6detail20lookback_scan_kernelILNS0_25lookback_scan_determinismE0ELb1ENS0_19wrapped_scan_configINS_14default_configEyEEPyS6_N6hipcub3MinEyyNS0_19lookback_scan_stateIyLb0ELb1EEEEEvT2_T3_mT5_T4_T7_jPT6_SH_bb,"axG",@progbits,_ZN7rocprim6detail20lookback_scan_kernelILNS0_25lookback_scan_determinismE0ELb1ENS0_19wrapped_scan_configINS_14default_configEyEEPyS6_N6hipcub3MinEyyNS0_19lookback_scan_stateIyLb0ELb1EEEEEvT2_T3_mT5_T4_T7_jPT6_SH_bb,comdat
	.protected	_ZN7rocprim6detail20lookback_scan_kernelILNS0_25lookback_scan_determinismE0ELb1ENS0_19wrapped_scan_configINS_14default_configEyEEPyS6_N6hipcub3MinEyyNS0_19lookback_scan_stateIyLb0ELb1EEEEEvT2_T3_mT5_T4_T7_jPT6_SH_bb ; -- Begin function _ZN7rocprim6detail20lookback_scan_kernelILNS0_25lookback_scan_determinismE0ELb1ENS0_19wrapped_scan_configINS_14default_configEyEEPyS6_N6hipcub3MinEyyNS0_19lookback_scan_stateIyLb0ELb1EEEEEvT2_T3_mT5_T4_T7_jPT6_SH_bb
	.globl	_ZN7rocprim6detail20lookback_scan_kernelILNS0_25lookback_scan_determinismE0ELb1ENS0_19wrapped_scan_configINS_14default_configEyEEPyS6_N6hipcub3MinEyyNS0_19lookback_scan_stateIyLb0ELb1EEEEEvT2_T3_mT5_T4_T7_jPT6_SH_bb
	.p2align	8
	.type	_ZN7rocprim6detail20lookback_scan_kernelILNS0_25lookback_scan_determinismE0ELb1ENS0_19wrapped_scan_configINS_14default_configEyEEPyS6_N6hipcub3MinEyyNS0_19lookback_scan_stateIyLb0ELb1EEEEEvT2_T3_mT5_T4_T7_jPT6_SH_bb,@function
_ZN7rocprim6detail20lookback_scan_kernelILNS0_25lookback_scan_determinismE0ELb1ENS0_19wrapped_scan_configINS_14default_configEyEEPyS6_N6hipcub3MinEyyNS0_19lookback_scan_stateIyLb0ELb1EEEEEvT2_T3_mT5_T4_T7_jPT6_SH_bb: ; @_ZN7rocprim6detail20lookback_scan_kernelILNS0_25lookback_scan_determinismE0ELb1ENS0_19wrapped_scan_configINS_14default_configEyEEPyS6_N6hipcub3MinEyyNS0_19lookback_scan_stateIyLb0ELb1EEEEEvT2_T3_mT5_T4_T7_jPT6_SH_bb
; %bb.0:
	s_load_dword s1, s[4:5], 0x30
	s_load_dwordx8 s[8:15], s[4:5], 0x0
	s_mul_i32 s0, s6, 0x380
	v_lshlrev_b32_e32 v59, 3, v0
	s_waitcnt lgkmcnt(0)
	s_add_i32 s2, s1, -1
	s_mul_i32 s3, s2, 0x380
	s_sub_u32 s22, s12, s3
	s_subb_u32 s23, s13, 0
	s_mov_b32 s1, 0
	s_cmp_lg_u32 s6, s2
	s_cselect_b64 s[12:13], -1, 0
	s_lshl_b64 s[16:17], s[0:1], 3
	s_add_u32 s18, s8, s16
	s_addc_u32 s19, s9, s17
	s_mov_b64 s[0:1], -1
	s_and_b64 vcc, exec, s[12:13]
	s_cbranch_vccz .LBB92_2
; %bb.1:
	v_mov_b32_e32 v1, s19
	v_add_co_u32_e32 v17, vcc, s18, v59
	v_addc_co_u32_e32 v18, vcc, 0, v1, vcc
	v_add_co_u32_e32 v17, vcc, 0x1000, v17
	v_addc_co_u32_e32 v18, vcc, 0, v18, vcc
	global_load_dwordx2 v[1:2], v59, s[18:19]
	global_load_dwordx2 v[3:4], v59, s[18:19] offset:512
	global_load_dwordx2 v[5:6], v59, s[18:19] offset:1024
	;; [unrolled: 1-line block ×7, first 2 shown]
	global_load_dwordx2 v[19:20], v[17:18], off
	global_load_dwordx2 v[21:22], v[17:18], off offset:512
	global_load_dwordx2 v[23:24], v[17:18], off offset:1024
	;; [unrolled: 1-line block ×5, first 2 shown]
	s_mov_b64 s[0:1], 0
	s_waitcnt vmcnt(12)
	ds_write2st64_b64 v59, v[1:2], v[3:4] offset1:1
	s_waitcnt vmcnt(10)
	ds_write2st64_b64 v59, v[5:6], v[7:8] offset0:2 offset1:3
	s_waitcnt vmcnt(8)
	ds_write2st64_b64 v59, v[9:10], v[11:12] offset0:4 offset1:5
	;; [unrolled: 2-line block ×6, first 2 shown]
	s_waitcnt lgkmcnt(0)
	; wave barrier
.LBB92_2:
	s_andn2_b64 vcc, exec, s[0:1]
	v_cmp_gt_u32_e64 s[0:1], s22, v0
	s_cbranch_vccnz .LBB92_32
; %bb.3:
	s_load_dwordx2 s[2:3], s[18:19], 0x0
	v_mov_b32_e32 v1, s19
	v_add_co_u32_e32 v3, vcc, s18, v59
	v_addc_co_u32_e32 v4, vcc, 0, v1, vcc
	s_waitcnt lgkmcnt(0)
	v_mov_b32_e32 v1, s2
	v_mov_b32_e32 v2, s3
	s_and_saveexec_b64 s[18:19], s[0:1]
	s_cbranch_execz .LBB92_5
; %bb.4:
	global_load_dwordx2 v[1:2], v[3:4], off
.LBB92_5:
	s_or_b64 exec, exec, s[18:19]
	v_or_b32_e32 v5, 64, v0
	v_cmp_gt_u32_e32 vcc, s22, v5
	v_mov_b32_e32 v6, s3
	v_mov_b32_e32 v5, s2
	s_and_saveexec_b64 s[0:1], vcc
	s_cbranch_execz .LBB92_7
; %bb.6:
	global_load_dwordx2 v[5:6], v[3:4], off offset:512
.LBB92_7:
	s_or_b64 exec, exec, s[0:1]
	v_or_b32_e32 v7, 0x80, v0
	v_cmp_gt_u32_e32 vcc, s22, v7
	v_mov_b32_e32 v8, s3
	v_mov_b32_e32 v7, s2
	s_and_saveexec_b64 s[0:1], vcc
	s_cbranch_execz .LBB92_9
; %bb.8:
	global_load_dwordx2 v[7:8], v[3:4], off offset:1024
.LBB92_9:
	;; [unrolled: 10-line block ×7, first 2 shown]
	s_or_b64 exec, exec, s[0:1]
	v_or_b32_e32 v19, 0x200, v0
	v_cmp_gt_u32_e32 vcc, s22, v19
	v_mov_b32_e32 v20, s3
	v_mov_b32_e32 v19, s2
	s_and_saveexec_b64 s[0:1], vcc
	s_cbranch_execz .LBB92_21
; %bb.20:
	v_add_co_u32_e32 v19, vcc, 0x1000, v3
	v_addc_co_u32_e32 v20, vcc, 0, v4, vcc
	global_load_dwordx2 v[19:20], v[19:20], off
.LBB92_21:
	s_or_b64 exec, exec, s[0:1]
	v_or_b32_e32 v21, 0x240, v0
	v_cmp_gt_u32_e32 vcc, s22, v21
	v_mov_b32_e32 v22, s3
	v_mov_b32_e32 v21, s2
	s_and_saveexec_b64 s[0:1], vcc
	s_cbranch_execz .LBB92_23
; %bb.22:
	v_add_co_u32_e32 v21, vcc, 0x1000, v3
	v_addc_co_u32_e32 v22, vcc, 0, v4, vcc
	global_load_dwordx2 v[21:22], v[21:22], off offset:512
.LBB92_23:
	s_or_b64 exec, exec, s[0:1]
	v_or_b32_e32 v23, 0x280, v0
	v_cmp_gt_u32_e32 vcc, s22, v23
	v_mov_b32_e32 v24, s3
	v_mov_b32_e32 v23, s2
	s_and_saveexec_b64 s[0:1], vcc
	s_cbranch_execz .LBB92_25
; %bb.24:
	v_add_co_u32_e32 v23, vcc, 0x1000, v3
	v_addc_co_u32_e32 v24, vcc, 0, v4, vcc
	global_load_dwordx2 v[23:24], v[23:24], off offset:1024
.LBB92_25:
	;; [unrolled: 12-line block ×5, first 2 shown]
	s_or_b64 exec, exec, s[0:1]
	s_waitcnt vmcnt(0)
	ds_write2st64_b64 v59, v[1:2], v[5:6] offset1:1
	ds_write2st64_b64 v59, v[7:8], v[9:10] offset0:2 offset1:3
	ds_write2st64_b64 v59, v[11:12], v[13:14] offset0:4 offset1:5
	;; [unrolled: 1-line block ×6, first 2 shown]
	s_waitcnt lgkmcnt(0)
	; wave barrier
.LBB92_32:
	s_load_dwordx2 s[18:19], s[4:5], 0x28
	v_mul_u32_u24_e32 v60, 0x70, v0
	s_waitcnt lgkmcnt(0)
	ds_read_b128 v[25:28], v60
	ds_read_b128 v[21:24], v60 offset:16
	ds_read_b128 v[17:20], v60 offset:32
	;; [unrolled: 1-line block ×6, first 2 shown]
	s_waitcnt lgkmcnt(6)
	v_cmp_lt_u64_e32 vcc, v[25:26], v[27:28]
	s_cmp_lg_u32 s6, 0
	v_mbcnt_lo_u32_b32 v61, -1, 0
	s_waitcnt lgkmcnt(0)
	; wave barrier
	s_cbranch_scc0 .LBB92_86
; %bb.33:
	v_cndmask_b32_e32 v30, v28, v26, vcc
	v_cndmask_b32_e32 v29, v27, v25, vcc
	v_cmp_lt_u64_e32 vcc, v[29:30], v[21:22]
	v_mbcnt_hi_u32_b32 v41, -1, v61
	v_cndmask_b32_e32 v30, v22, v30, vcc
	v_cndmask_b32_e32 v29, v21, v29, vcc
	v_cmp_lt_u64_e32 vcc, v[29:30], v[23:24]
	v_and_b32_e32 v33, 15, v41
	v_cndmask_b32_e32 v30, v24, v30, vcc
	v_cndmask_b32_e32 v29, v23, v29, vcc
	v_cmp_lt_u64_e32 vcc, v[29:30], v[17:18]
	v_cndmask_b32_e32 v30, v18, v30, vcc
	v_cndmask_b32_e32 v29, v17, v29, vcc
	v_cmp_lt_u64_e32 vcc, v[29:30], v[19:20]
	;; [unrolled: 3-line block ×10, first 2 shown]
	v_cndmask_b32_e32 v30, v12, v30, vcc
	v_cndmask_b32_e32 v29, v11, v29, vcc
	s_nop 0
	v_mov_b32_dpp v34, v30 row_shr:1 row_mask:0xf bank_mask:0xf
	v_cmp_ne_u32_e32 vcc, 0, v33
	v_mov_b32_dpp v31, v29 row_shr:1 row_mask:0xf bank_mask:0xf
	s_and_saveexec_b64 s[0:1], vcc
; %bb.34:
	v_mov_b32_e32 v32, v34
	v_cmp_lt_u64_e32 vcc, v[31:32], v[29:30]
	v_cndmask_b32_e32 v30, v30, v34, vcc
	v_cndmask_b32_e32 v29, v29, v31, vcc
; %bb.35:
	s_or_b64 exec, exec, s[0:1]
	s_nop 0
	v_mov_b32_dpp v31, v29 row_shr:2 row_mask:0xf bank_mask:0xf
	v_mov_b32_dpp v34, v30 row_shr:2 row_mask:0xf bank_mask:0xf
	v_cmp_lt_u32_e32 vcc, 1, v33
	s_and_saveexec_b64 s[0:1], vcc
; %bb.36:
	v_mov_b32_e32 v32, v34
	v_cmp_lt_u64_e32 vcc, v[31:32], v[29:30]
	v_cndmask_b32_e32 v30, v30, v34, vcc
	v_cndmask_b32_e32 v29, v29, v31, vcc
; %bb.37:
	s_or_b64 exec, exec, s[0:1]
	s_nop 0
	v_mov_b32_dpp v31, v29 row_shr:4 row_mask:0xf bank_mask:0xf
	v_mov_b32_dpp v34, v30 row_shr:4 row_mask:0xf bank_mask:0xf
	v_cmp_lt_u32_e32 vcc, 3, v33
	;; [unrolled: 12-line block ×3, first 2 shown]
	s_and_saveexec_b64 s[0:1], vcc
; %bb.40:
	v_mov_b32_e32 v32, v34
	v_cmp_lt_u64_e32 vcc, v[31:32], v[29:30]
	v_cndmask_b32_e32 v30, v30, v34, vcc
	v_cndmask_b32_e32 v29, v29, v31, vcc
; %bb.41:
	s_or_b64 exec, exec, s[0:1]
	v_and_b32_e32 v32, 16, v41
	v_mov_b32_dpp v31, v29 row_bcast:15 row_mask:0xf bank_mask:0xf
	v_mov_b32_dpp v33, v30 row_bcast:15 row_mask:0xf bank_mask:0xf
	v_cmp_ne_u32_e32 vcc, 0, v32
	s_and_saveexec_b64 s[0:1], vcc
; %bb.42:
	v_mov_b32_e32 v32, v33
	v_cmp_lt_u64_e32 vcc, v[31:32], v[29:30]
	v_cndmask_b32_e32 v30, v30, v33, vcc
	v_cndmask_b32_e32 v29, v29, v31, vcc
; %bb.43:
	s_or_b64 exec, exec, s[0:1]
	s_nop 0
	v_mov_b32_dpp v31, v29 row_bcast:31 row_mask:0xf bank_mask:0xf
	v_mov_b32_dpp v33, v30 row_bcast:31 row_mask:0xf bank_mask:0xf
	v_cmp_lt_u32_e32 vcc, 31, v41
	s_and_saveexec_b64 s[0:1], vcc
; %bb.44:
	v_mov_b32_e32 v32, v33
	v_cmp_lt_u64_e32 vcc, v[31:32], v[29:30]
	v_cndmask_b32_e32 v30, v30, v33, vcc
	v_cndmask_b32_e32 v29, v29, v31, vcc
; %bb.45:
	s_or_b64 exec, exec, s[0:1]
	v_cmp_eq_u32_e32 vcc, 63, v0
	s_and_saveexec_b64 s[0:1], vcc
; %bb.46:
	v_mov_b32_e32 v31, 0
	ds_write_b64 v31, v[29:30]
; %bb.47:
	s_or_b64 exec, exec, s[0:1]
	v_subrev_co_u32_e64 v31, s[0:1], 1, v41
	v_and_b32_e32 v32, 64, v41
	v_cmp_lt_i32_e32 vcc, v31, v32
	v_cndmask_b32_e32 v31, v31, v41, vcc
	v_lshlrev_b32_e32 v31, 2, v31
	v_mov_b32_e32 v32, 0
	s_waitcnt lgkmcnt(0)
	; wave barrier
	ds_bpermute_b32 v37, v31, v29
	ds_bpermute_b32 v44, v31, v30
	ds_read_b64 v[29:30], v32
	s_and_saveexec_b64 s[2:3], s[0:1]
	s_cbranch_execz .LBB92_49
; %bb.48:
	s_add_i32 s20, s6, 64
	s_mov_b32 s21, 0
	s_lshl_b64 s[20:21], s[20:21], 4
	s_add_u32 s20, s18, s20
	s_addc_u32 s21, s19, s21
	v_mov_b32_e32 v34, s21
	v_mov_b32_e32 v31, 1
	;; [unrolled: 1-line block ×3, first 2 shown]
	s_waitcnt lgkmcnt(0)
	;;#ASMSTART
	global_store_dwordx4 v[33:34], v[29:32] off	
s_waitcnt vmcnt(0)
	;;#ASMEND
.LBB92_49:
	s_or_b64 exec, exec, s[2:3]
	v_xad_u32 v38, v41, -1, s6
	v_add_u32_e32 v31, 64, v38
	v_lshlrev_b64 v[33:34], 4, v[31:32]
	v_mov_b32_e32 v31, s19
	v_add_co_u32_e32 v39, vcc, s18, v33
	v_addc_co_u32_e32 v40, vcc, v31, v34, vcc
	;;#ASMSTART
	global_load_dwordx4 v[33:36], v[39:40] off glc	
s_waitcnt vmcnt(0)
	;;#ASMEND
	v_cmp_eq_u16_sdwa s[20:21], v35, v32 src0_sel:BYTE_0 src1_sel:DWORD
	s_and_saveexec_b64 s[2:3], s[20:21]
	s_cbranch_execz .LBB92_53
; %bb.50:
	s_mov_b64 s[20:21], 0
	v_mov_b32_e32 v31, 0
.LBB92_51:                              ; =>This Inner Loop Header: Depth=1
	;;#ASMSTART
	global_load_dwordx4 v[33:36], v[39:40] off glc	
s_waitcnt vmcnt(0)
	;;#ASMEND
	v_cmp_ne_u16_sdwa s[24:25], v35, v31 src0_sel:BYTE_0 src1_sel:DWORD
	s_or_b64 s[20:21], s[24:25], s[20:21]
	s_andn2_b64 exec, exec, s[20:21]
	s_cbranch_execnz .LBB92_51
; %bb.52:
	s_or_b64 exec, exec, s[20:21]
.LBB92_53:
	s_or_b64 exec, exec, s[2:3]
	v_and_b32_e32 v42, 63, v41
	v_mov_b32_e32 v36, 2
	v_lshlrev_b64 v[31:32], v41, -1
	v_cmp_ne_u32_e32 vcc, 63, v42
	v_cmp_eq_u16_sdwa s[2:3], v35, v36 src0_sel:BYTE_0 src1_sel:DWORD
	v_addc_co_u32_e32 v39, vcc, 0, v41, vcc
	v_and_b32_e32 v36, s3, v32
	v_lshlrev_b32_e32 v45, 2, v39
	v_or_b32_e32 v36, 0x80000000, v36
	ds_bpermute_b32 v39, v45, v33
	ds_bpermute_b32 v43, v45, v34
	v_and_b32_e32 v40, s2, v31
	v_ffbl_b32_e32 v36, v36
	v_add_u32_e32 v36, 32, v36
	v_ffbl_b32_e32 v40, v40
	v_min_u32_e32 v36, v40, v36
	v_add_u32_e32 v46, 1, v41
	v_cmp_le_u32_e32 vcc, v46, v36
	s_and_saveexec_b64 s[2:3], vcc
	s_cbranch_execz .LBB92_55
; %bb.54:
	s_waitcnt lgkmcnt(0)
	v_mov_b32_e32 v40, v43
	v_cmp_lt_u64_e32 vcc, v[39:40], v[33:34]
	v_cndmask_b32_e32 v34, v34, v43, vcc
	v_cndmask_b32_e32 v33, v33, v39, vcc
.LBB92_55:
	s_or_b64 exec, exec, s[2:3]
	v_cmp_gt_u32_e32 vcc, 62, v42
	s_waitcnt lgkmcnt(1)
	v_cndmask_b32_e64 v39, 0, 2, vcc
	v_add_lshl_u32 v47, v39, v41, 2
	ds_bpermute_b32 v39, v47, v33
	s_waitcnt lgkmcnt(1)
	ds_bpermute_b32 v43, v47, v34
	v_add_u32_e32 v48, 2, v41
	v_cmp_le_u32_e32 vcc, v48, v36
	s_and_saveexec_b64 s[2:3], vcc
	s_cbranch_execz .LBB92_57
; %bb.56:
	s_waitcnt lgkmcnt(0)
	v_mov_b32_e32 v40, v43
	v_cmp_lt_u64_e32 vcc, v[39:40], v[33:34]
	v_cndmask_b32_e32 v34, v34, v43, vcc
	v_cndmask_b32_e32 v33, v33, v39, vcc
.LBB92_57:
	s_or_b64 exec, exec, s[2:3]
	v_cmp_gt_u32_e32 vcc, 60, v42
	s_waitcnt lgkmcnt(1)
	v_cndmask_b32_e64 v39, 0, 4, vcc
	v_add_lshl_u32 v49, v39, v41, 2
	ds_bpermute_b32 v39, v49, v33
	s_waitcnt lgkmcnt(1)
	ds_bpermute_b32 v43, v49, v34
	;; [unrolled: 19-line block ×3, first 2 shown]
	v_add_u32_e32 v52, 8, v41
	v_cmp_le_u32_e32 vcc, v52, v36
	s_and_saveexec_b64 s[2:3], vcc
	s_cbranch_execz .LBB92_61
; %bb.60:
	s_waitcnt lgkmcnt(0)
	v_mov_b32_e32 v40, v43
	v_cmp_lt_u64_e32 vcc, v[39:40], v[33:34]
	v_cndmask_b32_e32 v34, v34, v43, vcc
	v_cndmask_b32_e32 v33, v33, v39, vcc
.LBB92_61:
	s_or_b64 exec, exec, s[2:3]
	v_cmp_gt_u32_e32 vcc, 48, v42
	s_waitcnt lgkmcnt(1)
	v_cndmask_b32_e64 v39, 0, 16, vcc
	v_add_lshl_u32 v53, v39, v41, 2
	ds_bpermute_b32 v39, v53, v33
	ds_bpermute_b32 v42, v53, v34
	v_add_u32_e32 v54, 16, v41
	v_cmp_le_u32_e32 vcc, v54, v36
	s_and_saveexec_b64 s[2:3], vcc
	s_cbranch_execz .LBB92_63
; %bb.62:
	s_waitcnt lgkmcnt(0)
	v_mov_b32_e32 v40, v42
	v_cmp_lt_u64_e32 vcc, v[39:40], v[33:34]
	v_cndmask_b32_e32 v34, v34, v42, vcc
	v_cndmask_b32_e32 v33, v33, v39, vcc
.LBB92_63:
	s_or_b64 exec, exec, s[2:3]
	s_waitcnt lgkmcnt(1)
	v_mov_b32_e32 v39, 0x80
	v_lshl_or_b32 v55, v41, 2, v39
	s_waitcnt lgkmcnt(0)
	ds_bpermute_b32 v42, v55, v34
	ds_bpermute_b32 v39, v55, v33
	v_add_u32_e32 v56, 32, v41
	v_mov_b32_e32 v57, 2
	s_waitcnt lgkmcnt(1)
	v_mov_b32_e32 v40, v42
	s_waitcnt lgkmcnt(0)
	v_cmp_lt_u64_e32 vcc, v[39:40], v[33:34]
	v_cndmask_b32_e32 v39, v33, v39, vcc
	v_cndmask_b32_e32 v40, v34, v42, vcc
	v_cmp_gt_u32_e32 vcc, v56, v36
	v_cndmask_b32_e32 v34, v40, v34, vcc
	v_cndmask_b32_e32 v33, v39, v33, vcc
	v_mov_b32_e32 v39, 0
	s_branch .LBB92_66
.LBB92_64:                              ;   in Loop: Header=BB92_66 Depth=1
	s_or_b64 exec, exec, s[2:3]
	s_waitcnt lgkmcnt(0)
	ds_bpermute_b32 v58, v55, v34
	ds_bpermute_b32 v42, v55, v33
	v_subrev_u32_e32 v38, 64, v38
	s_mov_b64 s[2:3], 0
	s_waitcnt lgkmcnt(1)
	v_mov_b32_e32 v43, v58
	s_waitcnt lgkmcnt(0)
	v_cmp_lt_u64_e32 vcc, v[42:43], v[33:34]
	v_cndmask_b32_e32 v42, v33, v42, vcc
	v_cndmask_b32_e32 v43, v34, v58, vcc
	v_cmp_gt_u32_e32 vcc, v56, v36
	v_cndmask_b32_e32 v34, v43, v34, vcc
	v_cndmask_b32_e32 v33, v42, v33, vcc
	v_cmp_lt_u64_e32 vcc, v[33:34], v[40:41]
	v_cndmask_b32_e32 v34, v41, v34, vcc
	v_cndmask_b32_e32 v33, v40, v33, vcc
.LBB92_65:                              ;   in Loop: Header=BB92_66 Depth=1
	s_and_b64 vcc, exec, s[2:3]
	s_cbranch_vccnz .LBB92_81
.LBB92_66:                              ; =>This Loop Header: Depth=1
                                        ;     Child Loop BB92_69 Depth 2
	v_mov_b32_e32 v41, v34
	v_cmp_ne_u16_sdwa s[2:3], v35, v57 src0_sel:BYTE_0 src1_sel:DWORD
	v_mov_b32_e32 v40, v33
	s_cmp_lg_u64 s[2:3], exec
	s_mov_b64 s[2:3], -1
                                        ; implicit-def: $vgpr33_vgpr34
                                        ; implicit-def: $vgpr35
	s_cbranch_scc1 .LBB92_65
; %bb.67:                               ;   in Loop: Header=BB92_66 Depth=1
	v_lshlrev_b64 v[33:34], 4, v[38:39]
	v_mov_b32_e32 v35, s19
	v_add_co_u32_e32 v42, vcc, s18, v33
	v_addc_co_u32_e32 v43, vcc, v35, v34, vcc
	;;#ASMSTART
	global_load_dwordx4 v[33:36], v[42:43] off glc	
s_waitcnt vmcnt(0)
	;;#ASMEND
	v_cmp_eq_u16_sdwa s[20:21], v35, v39 src0_sel:BYTE_0 src1_sel:DWORD
	s_and_saveexec_b64 s[2:3], s[20:21]
	s_cbranch_execz .LBB92_71
; %bb.68:                               ;   in Loop: Header=BB92_66 Depth=1
	s_mov_b64 s[20:21], 0
.LBB92_69:                              ;   Parent Loop BB92_66 Depth=1
                                        ; =>  This Inner Loop Header: Depth=2
	;;#ASMSTART
	global_load_dwordx4 v[33:36], v[42:43] off glc	
s_waitcnt vmcnt(0)
	;;#ASMEND
	v_cmp_ne_u16_sdwa s[24:25], v35, v39 src0_sel:BYTE_0 src1_sel:DWORD
	s_or_b64 s[20:21], s[24:25], s[20:21]
	s_andn2_b64 exec, exec, s[20:21]
	s_cbranch_execnz .LBB92_69
; %bb.70:                               ;   in Loop: Header=BB92_66 Depth=1
	s_or_b64 exec, exec, s[20:21]
.LBB92_71:                              ;   in Loop: Header=BB92_66 Depth=1
	s_or_b64 exec, exec, s[2:3]
	v_cmp_eq_u16_sdwa s[2:3], v35, v57 src0_sel:BYTE_0 src1_sel:DWORD
	v_and_b32_e32 v36, s3, v32
	v_or_b32_e32 v36, 0x80000000, v36
	ds_bpermute_b32 v42, v45, v33
	ds_bpermute_b32 v58, v45, v34
	v_and_b32_e32 v43, s2, v31
	v_ffbl_b32_e32 v36, v36
	v_add_u32_e32 v36, 32, v36
	v_ffbl_b32_e32 v43, v43
	v_min_u32_e32 v36, v43, v36
	v_cmp_le_u32_e32 vcc, v46, v36
	s_and_saveexec_b64 s[2:3], vcc
	s_cbranch_execz .LBB92_73
; %bb.72:                               ;   in Loop: Header=BB92_66 Depth=1
	s_waitcnt lgkmcnt(0)
	v_mov_b32_e32 v43, v58
	v_cmp_lt_u64_e32 vcc, v[42:43], v[33:34]
	v_cndmask_b32_e32 v34, v34, v58, vcc
	v_cndmask_b32_e32 v33, v33, v42, vcc
.LBB92_73:                              ;   in Loop: Header=BB92_66 Depth=1
	s_or_b64 exec, exec, s[2:3]
	s_waitcnt lgkmcnt(1)
	ds_bpermute_b32 v42, v47, v33
	s_waitcnt lgkmcnt(1)
	ds_bpermute_b32 v58, v47, v34
	v_cmp_le_u32_e32 vcc, v48, v36
	s_and_saveexec_b64 s[2:3], vcc
	s_cbranch_execz .LBB92_75
; %bb.74:                               ;   in Loop: Header=BB92_66 Depth=1
	s_waitcnt lgkmcnt(0)
	v_mov_b32_e32 v43, v58
	v_cmp_lt_u64_e32 vcc, v[42:43], v[33:34]
	v_cndmask_b32_e32 v34, v34, v58, vcc
	v_cndmask_b32_e32 v33, v33, v42, vcc
.LBB92_75:                              ;   in Loop: Header=BB92_66 Depth=1
	s_or_b64 exec, exec, s[2:3]
	s_waitcnt lgkmcnt(1)
	ds_bpermute_b32 v42, v49, v33
	s_waitcnt lgkmcnt(1)
	ds_bpermute_b32 v58, v49, v34
	v_cmp_le_u32_e32 vcc, v50, v36
	s_and_saveexec_b64 s[2:3], vcc
	s_cbranch_execz .LBB92_77
; %bb.76:                               ;   in Loop: Header=BB92_66 Depth=1
	s_waitcnt lgkmcnt(0)
	v_mov_b32_e32 v43, v58
	v_cmp_lt_u64_e32 vcc, v[42:43], v[33:34]
	v_cndmask_b32_e32 v34, v34, v58, vcc
	v_cndmask_b32_e32 v33, v33, v42, vcc
.LBB92_77:                              ;   in Loop: Header=BB92_66 Depth=1
	s_or_b64 exec, exec, s[2:3]
	s_waitcnt lgkmcnt(1)
	ds_bpermute_b32 v42, v51, v33
	s_waitcnt lgkmcnt(1)
	ds_bpermute_b32 v58, v51, v34
	v_cmp_le_u32_e32 vcc, v52, v36
	s_and_saveexec_b64 s[2:3], vcc
	s_cbranch_execz .LBB92_79
; %bb.78:                               ;   in Loop: Header=BB92_66 Depth=1
	s_waitcnt lgkmcnt(0)
	v_mov_b32_e32 v43, v58
	v_cmp_lt_u64_e32 vcc, v[42:43], v[33:34]
	v_cndmask_b32_e32 v34, v34, v58, vcc
	v_cndmask_b32_e32 v33, v33, v42, vcc
.LBB92_79:                              ;   in Loop: Header=BB92_66 Depth=1
	s_or_b64 exec, exec, s[2:3]
	s_waitcnt lgkmcnt(1)
	ds_bpermute_b32 v42, v53, v33
	s_waitcnt lgkmcnt(1)
	ds_bpermute_b32 v58, v53, v34
	v_cmp_le_u32_e32 vcc, v54, v36
	s_and_saveexec_b64 s[2:3], vcc
	s_cbranch_execz .LBB92_64
; %bb.80:                               ;   in Loop: Header=BB92_66 Depth=1
	s_waitcnt lgkmcnt(0)
	v_mov_b32_e32 v43, v58
	v_cmp_lt_u64_e32 vcc, v[42:43], v[33:34]
	v_cndmask_b32_e32 v34, v34, v58, vcc
	v_cndmask_b32_e32 v33, v33, v42, vcc
	s_branch .LBB92_64
.LBB92_81:
	s_and_saveexec_b64 s[2:3], s[0:1]
	s_cbranch_execz .LBB92_83
; %bb.82:
	s_add_i32 s0, s6, 64
	s_mov_b32 s1, 0
	s_lshl_b64 s[0:1], s[0:1], 4
	s_add_u32 s0, s18, s0
	v_cmp_lt_u64_e32 vcc, v[40:41], v[29:30]
	s_addc_u32 s1, s19, s1
	v_mov_b32_e32 v34, s1
	v_cndmask_b32_e32 v30, v30, v41, vcc
	v_cndmask_b32_e32 v29, v29, v40, vcc
	v_mov_b32_e32 v31, 2
	v_mov_b32_e32 v32, 0
	;; [unrolled: 1-line block ×3, first 2 shown]
	;;#ASMSTART
	global_store_dwordx4 v[33:34], v[29:32] off	
s_waitcnt vmcnt(0)
	;;#ASMEND
.LBB92_83:
	s_or_b64 exec, exec, s[2:3]
	v_cmp_eq_u32_e32 vcc, 0, v0
	s_and_saveexec_b64 s[0:1], vcc
; %bb.84:
	v_mov_b32_e32 v29, 0
	ds_write_b64 v29, v[40:41]
; %bb.85:
	s_or_b64 exec, exec, s[0:1]
	v_mov_b32_e32 v29, 0
	s_waitcnt lgkmcnt(0)
	; wave barrier
	ds_read_b64 v[29:30], v29
	v_mov_b32_e32 v38, v44
	s_waitcnt lgkmcnt(0)
	v_cmp_lt_u64_e64 s[0:1], v[29:30], v[37:38]
	v_cndmask_b32_e64 v31, v44, v30, s[0:1]
	v_cndmask_b32_e32 v30, v31, v30, vcc
	v_cndmask_b32_e64 v31, v37, v29, s[0:1]
	v_cndmask_b32_e32 v29, v31, v29, vcc
	v_cmp_lt_u64_e32 vcc, v[29:30], v[25:26]
	v_cndmask_b32_e32 v32, v26, v30, vcc
	v_cndmask_b32_e32 v31, v25, v29, vcc
	v_cmp_lt_u64_e32 vcc, v[31:32], v[27:28]
	v_cndmask_b32_e32 v34, v28, v32, vcc
	;; [unrolled: 3-line block ×13, first 2 shown]
	v_cndmask_b32_e32 v55, v9, v53, vcc
	s_load_dwordx4 s[0:3], s[4:5], 0x38
	s_branch .LBB92_104
.LBB92_86:
                                        ; implicit-def: $vgpr29_vgpr30
                                        ; implicit-def: $vgpr33_vgpr34
                                        ; implicit-def: $vgpr37_vgpr38
                                        ; implicit-def: $vgpr41_vgpr42
                                        ; implicit-def: $vgpr45_vgpr46
                                        ; implicit-def: $vgpr49_vgpr50
                                        ; implicit-def: $vgpr53_vgpr54
	s_load_dwordx4 s[0:3], s[4:5], 0x38
	s_cbranch_execz .LBB92_104
; %bb.87:
	s_load_dword s6, s[4:5], 0x48
	v_mov_b32_e32 v58, s15
	v_mov_b32_e32 v57, s14
	s_waitcnt lgkmcnt(0)
	s_bitcmp0_b32 s6, 0
	s_cbranch_scc1 .LBB92_89
; %bb.88:
	v_mov_b32_e32 v33, 0
	global_load_dwordx2 v[29:30], v33, s[8:9] offset:-8
	global_load_dwordx2 v[31:32], v33, s[0:1]
	s_waitcnt vmcnt(0)
	v_cmp_lt_u64_e32 vcc, v[31:32], v[29:30]
	v_cndmask_b32_e32 v58, v30, v32, vcc
	v_cndmask_b32_e32 v57, v29, v31, vcc
.LBB92_89:
	v_cmp_lt_u64_e32 vcc, v[25:26], v[27:28]
	v_mbcnt_hi_u32_b32 v31, -1, v61
	v_cndmask_b32_e32 v30, v28, v26, vcc
	v_cndmask_b32_e32 v29, v27, v25, vcc
	v_cmp_lt_u64_e32 vcc, v[29:30], v[21:22]
	v_and_b32_e32 v32, 15, v31
	v_cndmask_b32_e32 v30, v22, v30, vcc
	v_cndmask_b32_e32 v29, v21, v29, vcc
	v_cmp_lt_u64_e32 vcc, v[29:30], v[23:24]
	v_cndmask_b32_e32 v30, v24, v30, vcc
	v_cndmask_b32_e32 v29, v23, v29, vcc
	v_cmp_lt_u64_e32 vcc, v[29:30], v[17:18]
	;; [unrolled: 3-line block ×11, first 2 shown]
	v_cndmask_b32_e32 v12, v12, v30, vcc
	v_cndmask_b32_e32 v11, v11, v29, vcc
	s_nop 0
	v_mov_b32_dpp v33, v12 row_shr:1 row_mask:0xf bank_mask:0xf
	v_cmp_ne_u32_e32 vcc, 0, v32
	v_mov_b32_dpp v29, v11 row_shr:1 row_mask:0xf bank_mask:0xf
	s_and_saveexec_b64 s[0:1], vcc
; %bb.90:
	v_mov_b32_e32 v30, v33
	v_cmp_lt_u64_e32 vcc, v[29:30], v[11:12]
	v_cndmask_b32_e32 v12, v12, v33, vcc
	v_cndmask_b32_e32 v11, v11, v29, vcc
; %bb.91:
	s_or_b64 exec, exec, s[0:1]
	s_nop 0
	v_mov_b32_dpp v29, v11 row_shr:2 row_mask:0xf bank_mask:0xf
	v_mov_b32_dpp v33, v12 row_shr:2 row_mask:0xf bank_mask:0xf
	v_cmp_lt_u32_e32 vcc, 1, v32
	s_and_saveexec_b64 s[0:1], vcc
; %bb.92:
	v_mov_b32_e32 v30, v33
	v_cmp_lt_u64_e32 vcc, v[29:30], v[11:12]
	v_cndmask_b32_e32 v12, v12, v33, vcc
	v_cndmask_b32_e32 v11, v11, v29, vcc
; %bb.93:
	s_or_b64 exec, exec, s[0:1]
	s_nop 0
	v_mov_b32_dpp v29, v11 row_shr:4 row_mask:0xf bank_mask:0xf
	v_mov_b32_dpp v33, v12 row_shr:4 row_mask:0xf bank_mask:0xf
	v_cmp_lt_u32_e32 vcc, 3, v32
	;; [unrolled: 12-line block ×3, first 2 shown]
	s_and_saveexec_b64 s[0:1], vcc
; %bb.96:
	v_mov_b32_e32 v30, v33
	v_cmp_lt_u64_e32 vcc, v[29:30], v[11:12]
	v_cndmask_b32_e32 v12, v12, v33, vcc
	v_cndmask_b32_e32 v11, v11, v29, vcc
; %bb.97:
	s_or_b64 exec, exec, s[0:1]
	v_and_b32_e32 v30, 16, v31
	v_mov_b32_dpp v29, v11 row_bcast:15 row_mask:0xf bank_mask:0xf
	v_mov_b32_dpp v32, v12 row_bcast:15 row_mask:0xf bank_mask:0xf
	v_cmp_ne_u32_e32 vcc, 0, v30
	s_and_saveexec_b64 s[0:1], vcc
; %bb.98:
	v_mov_b32_e32 v30, v32
	v_cmp_lt_u64_e32 vcc, v[29:30], v[11:12]
	v_cndmask_b32_e32 v12, v12, v32, vcc
	v_cndmask_b32_e32 v11, v11, v29, vcc
; %bb.99:
	s_or_b64 exec, exec, s[0:1]
	s_nop 0
	v_mov_b32_dpp v29, v11 row_bcast:31 row_mask:0xf bank_mask:0xf
	v_mov_b32_dpp v30, v12 row_bcast:31 row_mask:0xf bank_mask:0xf
	v_cmp_lt_u64_e32 vcc, v[29:30], v[11:12]
	v_cmp_lt_u32_e64 s[0:1], 31, v31
	s_and_b64 vcc, s[0:1], vcc
	v_cndmask_b32_e32 v12, v12, v30, vcc
	v_cndmask_b32_e32 v11, v11, v29, vcc
	v_cmp_eq_u32_e32 vcc, 63, v0
	s_and_saveexec_b64 s[0:1], vcc
; %bb.100:
	v_mov_b32_e32 v29, 0
	ds_write_b64 v29, v[11:12]
; %bb.101:
	s_or_b64 exec, exec, s[0:1]
	v_cmp_lt_u64_e32 vcc, v[57:58], v[11:12]
	v_and_b32_e32 v30, 64, v31
	v_cndmask_b32_e32 v12, v12, v58, vcc
	v_cndmask_b32_e32 v11, v11, v57, vcc
	v_subrev_co_u32_e32 v29, vcc, 1, v31
	v_cmp_lt_i32_e64 s[0:1], v29, v30
	v_cndmask_b32_e64 v29, v29, v31, s[0:1]
	v_lshlrev_b32_e32 v29, 2, v29
	ds_bpermute_b32 v11, v29, v11
	ds_bpermute_b32 v12, v29, v12
	v_cmp_eq_u32_e64 s[0:1], 0, v0
	s_or_b64 vcc, s[0:1], vcc
	s_waitcnt lgkmcnt(0)
	v_cndmask_b32_e32 v29, v11, v57, vcc
	v_cndmask_b32_e32 v30, v12, v58, vcc
	v_cmp_lt_u64_e32 vcc, v[29:30], v[25:26]
	; wave barrier
	v_cndmask_b32_e32 v32, v26, v30, vcc
	v_cndmask_b32_e32 v31, v25, v29, vcc
	v_cmp_lt_u64_e32 vcc, v[31:32], v[27:28]
	v_cndmask_b32_e32 v34, v28, v32, vcc
	v_cndmask_b32_e32 v33, v27, v31, vcc
	v_cmp_lt_u64_e32 vcc, v[33:34], v[21:22]
	v_cndmask_b32_e32 v36, v22, v34, vcc
	v_cndmask_b32_e32 v35, v21, v33, vcc
	v_cmp_lt_u64_e32 vcc, v[35:36], v[23:24]
	v_cndmask_b32_e32 v38, v24, v36, vcc
	v_cndmask_b32_e32 v37, v23, v35, vcc
	v_cmp_lt_u64_e32 vcc, v[37:38], v[17:18]
	v_cndmask_b32_e32 v40, v18, v38, vcc
	v_cndmask_b32_e32 v39, v17, v37, vcc
	v_cmp_lt_u64_e32 vcc, v[39:40], v[19:20]
	v_cndmask_b32_e32 v42, v20, v40, vcc
	v_cndmask_b32_e32 v41, v19, v39, vcc
	v_cmp_lt_u64_e32 vcc, v[41:42], v[1:2]
	v_cndmask_b32_e32 v44, v2, v42, vcc
	v_cndmask_b32_e32 v43, v1, v41, vcc
	v_cmp_lt_u64_e32 vcc, v[43:44], v[3:4]
	v_cndmask_b32_e32 v46, v4, v44, vcc
	v_cndmask_b32_e32 v45, v3, v43, vcc
	v_cmp_lt_u64_e32 vcc, v[45:46], v[13:14]
	v_cndmask_b32_e32 v48, v14, v46, vcc
	v_cndmask_b32_e32 v47, v13, v45, vcc
	v_cmp_lt_u64_e32 vcc, v[47:48], v[15:16]
	v_cndmask_b32_e32 v50, v16, v48, vcc
	v_cndmask_b32_e32 v49, v15, v47, vcc
	v_cmp_lt_u64_e32 vcc, v[49:50], v[5:6]
	v_cndmask_b32_e32 v52, v6, v50, vcc
	v_cndmask_b32_e32 v51, v5, v49, vcc
	v_cmp_lt_u64_e32 vcc, v[51:52], v[7:8]
	v_cndmask_b32_e32 v54, v8, v52, vcc
	v_cndmask_b32_e32 v53, v7, v51, vcc
	v_cmp_lt_u64_e32 vcc, v[53:54], v[9:10]
	v_cndmask_b32_e32 v56, v10, v54, vcc
	v_cndmask_b32_e32 v55, v9, v53, vcc
	s_and_saveexec_b64 s[6:7], s[0:1]
	s_cbranch_execz .LBB92_103
; %bb.102:
	v_mov_b32_e32 v4, 0
	ds_read_b64 v[1:2], v4
	s_add_u32 s0, s18, 0x400
	s_addc_u32 s1, s19, 0
	v_mov_b32_e32 v6, s1
	v_mov_b32_e32 v3, 2
	s_waitcnt lgkmcnt(0)
	v_cmp_lt_u64_e32 vcc, v[57:58], v[1:2]
	v_mov_b32_e32 v5, s0
	v_cndmask_b32_e32 v2, v2, v58, vcc
	v_cndmask_b32_e32 v1, v1, v57, vcc
	;;#ASMSTART
	global_store_dwordx4 v[5:6], v[1:4] off	
s_waitcnt vmcnt(0)
	;;#ASMEND
	v_mov_b32_e32 v29, v57
	v_mov_b32_e32 v30, v58
.LBB92_103:
	s_or_b64 exec, exec, s[6:7]
.LBB92_104:
	s_waitcnt lgkmcnt(0)
	s_add_u32 s0, s10, s16
	s_addc_u32 s1, s11, s17
	s_mov_b64 s[6:7], -1
	s_and_b64 vcc, exec, s[12:13]
	; wave barrier
	s_cbranch_vccz .LBB92_106
; %bb.105:
	ds_write_b128 v60, v[29:32]
	ds_write_b128 v60, v[33:36] offset:16
	ds_write_b128 v60, v[37:40] offset:32
	;; [unrolled: 1-line block ×6, first 2 shown]
	s_waitcnt lgkmcnt(0)
	; wave barrier
	ds_read2st64_b64 v[1:4], v59 offset1:1
	ds_read2st64_b64 v[5:8], v59 offset0:2 offset1:3
	ds_read2st64_b64 v[9:12], v59 offset0:4 offset1:5
	;; [unrolled: 1-line block ×6, first 2 shown]
	v_mov_b32_e32 v57, s1
	v_add_co_u32_e32 v58, vcc, s0, v59
	v_addc_co_u32_e32 v57, vcc, 0, v57, vcc
	s_waitcnt lgkmcnt(6)
	global_store_dwordx2 v59, v[1:2], s[0:1]
	global_store_dwordx2 v59, v[3:4], s[0:1] offset:512
	s_waitcnt lgkmcnt(5)
	global_store_dwordx2 v59, v[5:6], s[0:1] offset:1024
	global_store_dwordx2 v59, v[7:8], s[0:1] offset:1536
	s_waitcnt lgkmcnt(4)
	global_store_dwordx2 v59, v[9:10], s[0:1] offset:2048
	;; [unrolled: 3-line block ×3, first 2 shown]
	global_store_dwordx2 v59, v[15:16], s[0:1] offset:3584
	v_add_co_u32_e32 v1, vcc, 0x1000, v58
	v_addc_co_u32_e32 v2, vcc, 0, v57, vcc
	s_waitcnt lgkmcnt(2)
	global_store_dwordx2 v[1:2], v[17:18], off
	global_store_dwordx2 v[1:2], v[19:20], off offset:512
	s_waitcnt lgkmcnt(1)
	global_store_dwordx2 v[1:2], v[21:22], off offset:1024
	global_store_dwordx2 v[1:2], v[23:24], off offset:1536
	s_waitcnt lgkmcnt(0)
	global_store_dwordx2 v[1:2], v[25:26], off offset:2048
	global_store_dwordx2 v[1:2], v[27:28], off offset:2560
	s_mov_b64 s[6:7], 0
.LBB92_106:
	s_andn2_b64 vcc, exec, s[6:7]
	s_cbranch_vccnz .LBB92_186
; %bb.107:
	s_movk_i32 s6, 0xff98
	v_mad_i32_i24 v26, v0, s6, v60
	ds_write_b128 v60, v[29:32]
	ds_write_b128 v60, v[33:36] offset:16
	ds_write_b128 v60, v[37:40] offset:32
	;; [unrolled: 1-line block ×6, first 2 shown]
	s_waitcnt lgkmcnt(0)
	; wave barrier
	ds_read2st64_b64 v[6:9], v26 offset1:1
	ds_read2st64_b64 v[10:13], v26 offset0:2 offset1:3
	ds_read2st64_b64 v[14:17], v26 offset0:4 offset1:5
	;; [unrolled: 1-line block ×6, first 2 shown]
	v_mov_b32_e32 v31, s1
	v_add_co_u32_e32 v30, vcc, s0, v59
	v_addc_co_u32_e32 v31, vcc, 0, v31, vcc
	v_mov_b32_e32 v1, 0
	v_cmp_gt_u32_e32 vcc, s22, v0
	s_and_saveexec_b64 s[0:1], vcc
	s_cbranch_execz .LBB92_109
; %bb.108:
	s_waitcnt lgkmcnt(6)
	global_store_dwordx2 v[30:31], v[6:7], off
.LBB92_109:
	s_or_b64 exec, exec, s[0:1]
	v_or_b32_e32 v32, 64, v0
	v_cmp_gt_u32_e32 vcc, s22, v32
	s_and_saveexec_b64 s[0:1], vcc
	s_cbranch_execz .LBB92_111
; %bb.110:
	s_waitcnt lgkmcnt(6)
	global_store_dwordx2 v[30:31], v[8:9], off offset:512
.LBB92_111:
	s_or_b64 exec, exec, s[0:1]
	v_or_b32_e32 v32, 0x80, v0
	v_cmp_gt_u32_e32 vcc, s22, v32
	s_and_saveexec_b64 s[0:1], vcc
	s_cbranch_execz .LBB92_113
; %bb.112:
	s_waitcnt lgkmcnt(5)
	global_store_dwordx2 v[30:31], v[10:11], off offset:1024
.LBB92_113:
	;; [unrolled: 9-line block ×7, first 2 shown]
	s_or_b64 exec, exec, s[0:1]
	v_or_b32_e32 v32, 0x200, v0
	v_cmp_gt_u32_e32 vcc, s22, v32
	s_and_saveexec_b64 s[0:1], vcc
	s_cbranch_execz .LBB92_125
; %bb.124:
	v_add_co_u32_e32 v32, vcc, 0x1000, v30
	v_addc_co_u32_e32 v33, vcc, 0, v31, vcc
	s_waitcnt lgkmcnt(2)
	global_store_dwordx2 v[32:33], v[22:23], off
.LBB92_125:
	s_or_b64 exec, exec, s[0:1]
	v_or_b32_e32 v32, 0x240, v0
	v_cmp_gt_u32_e32 vcc, s22, v32
	s_and_saveexec_b64 s[0:1], vcc
	s_cbranch_execz .LBB92_127
; %bb.126:
	v_add_co_u32_e32 v32, vcc, 0x1000, v30
	v_addc_co_u32_e32 v33, vcc, 0, v31, vcc
	s_waitcnt lgkmcnt(2)
	global_store_dwordx2 v[32:33], v[24:25], off offset:512
.LBB92_127:
	s_or_b64 exec, exec, s[0:1]
	v_or_b32_e32 v32, 0x280, v0
	v_cmp_gt_u32_e32 vcc, s22, v32
	s_and_saveexec_b64 s[0:1], vcc
	s_cbranch_execz .LBB92_129
; %bb.128:
	v_add_co_u32_e32 v32, vcc, 0x1000, v30
	v_addc_co_u32_e32 v33, vcc, 0, v31, vcc
	s_waitcnt lgkmcnt(1)
	global_store_dwordx2 v[32:33], v[18:19], off offset:1024
.LBB92_129:
	;; [unrolled: 11-line block ×5, first 2 shown]
	s_or_b64 exec, exec, s[0:1]
	s_load_dword s0, s[4:5], 0x48
	s_waitcnt lgkmcnt(0)
	s_bfe_u32 s0, s0, 0x10008
	s_cmp_eq_u32 s0, 0
	s_cbranch_scc1 .LBB92_186
; %bb.136:
	s_add_u32 s0, s22, -1
	s_addc_u32 s1, s23, -1
	s_lshr_b64 s[4:5], s[0:1], 1
	s_lshr_b32 s7, s1, 1
	s_mul_hi_u32 s5, s4, 0x49249249
	s_mul_i32 s6, s4, 0x49249249
	s_mul_i32 s9, s7, 0x24924925
	s_mul_hi_u32 s4, s4, 0x24924925
	s_mul_hi_u32 s8, s7, 0x24924925
	s_add_u32 s4, s9, s4
	s_addc_u32 s8, s8, 0
	s_add_u32 s4, s6, s4
	s_addc_u32 s4, s5, 0
	;; [unrolled: 2-line block ×3, first 2 shown]
	s_mul_hi_u32 s6, s7, 0x49249249
	s_mul_i32 s7, s7, 0x49249249
	s_add_u32 s4, s7, s4
	s_addc_u32 s5, s6, s5
	s_lshr_b64 s[4:5], s[4:5], 1
	v_cmp_eq_u64_e32 vcc, s[4:5], v[0:1]
	s_and_saveexec_b64 s[4:5], vcc
	s_cbranch_execz .LBB92_186
; %bb.137:
	v_mul_hi_u32_u24_e32 v1, 14, v0
	v_mul_u32_u24_e32 v0, 14, v0
	v_mov_b32_e32 v30, s1
	v_sub_co_u32_e32 v0, vcc, s0, v0
	v_subb_co_u32_e32 v1, vcc, v30, v1, vcc
	v_cmp_lt_i64_e32 vcc, 6, v[0:1]
	s_and_saveexec_b64 s[0:1], vcc
	s_xor_b64 s[0:1], exec, s[0:1]
	s_cbranch_execz .LBB92_163
; %bb.138:
	v_cmp_lt_i64_e32 vcc, 9, v[0:1]
	s_and_saveexec_b64 s[4:5], vcc
	s_xor_b64 s[4:5], exec, s[4:5]
	s_cbranch_execz .LBB92_152
; %bb.139:
	;; [unrolled: 5-line block ×4, first 2 shown]
	v_mov_b32_e32 v0, 0
	global_store_dwordx2 v0, v[28:29], s[2:3]
                                        ; implicit-def: $vgpr26_vgpr27_vgpr28_vgpr29
.LBB92_142:
	s_andn2_saveexec_b64 s[8:9], s[8:9]
	s_cbranch_execz .LBB92_144
; %bb.143:
	v_mov_b32_e32 v0, 0
	global_store_dwordx2 v0, v[26:27], s[2:3]
.LBB92_144:
	s_or_b64 exec, exec, s[8:9]
                                        ; implicit-def: $vgpr18_vgpr19_vgpr20_vgpr21
                                        ; implicit-def: $vgpr0_vgpr1
.LBB92_145:
	s_andn2_saveexec_b64 s[6:7], s[6:7]
	s_cbranch_execz .LBB92_151
; %bb.146:
	v_cmp_lt_i64_e32 vcc, 10, v[0:1]
	s_and_saveexec_b64 s[8:9], vcc
	s_xor_b64 s[8:9], exec, s[8:9]
	s_cbranch_execz .LBB92_148
; %bb.147:
	v_mov_b32_e32 v0, 0
	global_store_dwordx2 v0, v[20:21], s[2:3]
                                        ; implicit-def: $vgpr18_vgpr19_vgpr20_vgpr21
.LBB92_148:
	s_andn2_saveexec_b64 s[8:9], s[8:9]
	s_cbranch_execz .LBB92_150
; %bb.149:
	v_mov_b32_e32 v0, 0
	global_store_dwordx2 v0, v[18:19], s[2:3]
.LBB92_150:
	s_or_b64 exec, exec, s[8:9]
.LBB92_151:
	s_or_b64 exec, exec, s[6:7]
                                        ; implicit-def: $vgpr2_vgpr3_vgpr4_vgpr5
                                        ; implicit-def: $vgpr0_vgpr1
                                        ; implicit-def: $vgpr22_vgpr23_vgpr24_vgpr25
.LBB92_152:
	s_andn2_saveexec_b64 s[4:5], s[4:5]
	s_cbranch_execz .LBB92_162
; %bb.153:
	v_cmp_lt_i64_e32 vcc, 7, v[0:1]
	s_and_saveexec_b64 s[6:7], vcc
	s_xor_b64 s[6:7], exec, s[6:7]
	s_cbranch_execz .LBB92_159
; %bb.154:
	v_cmp_lt_i64_e32 vcc, 8, v[0:1]
	s_and_saveexec_b64 s[8:9], vcc
	s_xor_b64 s[8:9], exec, s[8:9]
	s_cbranch_execz .LBB92_156
; %bb.155:
	v_mov_b32_e32 v0, 0
	global_store_dwordx2 v0, v[24:25], s[2:3]
                                        ; implicit-def: $vgpr22_vgpr23_vgpr24_vgpr25
.LBB92_156:
	s_andn2_saveexec_b64 s[8:9], s[8:9]
	s_cbranch_execz .LBB92_158
; %bb.157:
	v_mov_b32_e32 v0, 0
	global_store_dwordx2 v0, v[22:23], s[2:3]
.LBB92_158:
	s_or_b64 exec, exec, s[8:9]
                                        ; implicit-def: $vgpr2_vgpr3_vgpr4_vgpr5
.LBB92_159:
	s_andn2_saveexec_b64 s[6:7], s[6:7]
	s_cbranch_execz .LBB92_161
; %bb.160:
	v_mov_b32_e32 v0, 0
	global_store_dwordx2 v0, v[4:5], s[2:3]
.LBB92_161:
	s_or_b64 exec, exec, s[6:7]
.LBB92_162:
	s_or_b64 exec, exec, s[4:5]
                                        ; implicit-def: $vgpr0_vgpr1
                                        ; implicit-def: $vgpr14_vgpr15_vgpr16_vgpr17
                                        ; implicit-def: $vgpr6_vgpr7_vgpr8_vgpr9
                                        ; implicit-def: $vgpr10_vgpr11_vgpr12_vgpr13
                                        ; implicit-def: $vgpr2_vgpr3_vgpr4_vgpr5
.LBB92_163:
	s_andn2_saveexec_b64 s[0:1], s[0:1]
	s_cbranch_execz .LBB92_186
; %bb.164:
	v_cmp_lt_i64_e32 vcc, 3, v[0:1]
	s_and_saveexec_b64 s[0:1], vcc
	s_xor_b64 s[0:1], exec, s[0:1]
	s_cbranch_execz .LBB92_174
; %bb.165:
	v_cmp_lt_i64_e32 vcc, 4, v[0:1]
	s_and_saveexec_b64 s[4:5], vcc
	s_xor_b64 s[4:5], exec, s[4:5]
	;; [unrolled: 5-line block ×3, first 2 shown]
	s_cbranch_execz .LBB92_168
; %bb.167:
	v_mov_b32_e32 v0, 0
	global_store_dwordx2 v0, v[2:3], s[2:3]
                                        ; implicit-def: $vgpr14_vgpr15_vgpr16_vgpr17
.LBB92_168:
	s_andn2_saveexec_b64 s[6:7], s[6:7]
	s_cbranch_execz .LBB92_170
; %bb.169:
	v_mov_b32_e32 v0, 0
	global_store_dwordx2 v0, v[16:17], s[2:3]
.LBB92_170:
	s_or_b64 exec, exec, s[6:7]
                                        ; implicit-def: $vgpr14_vgpr15_vgpr16_vgpr17
.LBB92_171:
	s_andn2_saveexec_b64 s[4:5], s[4:5]
	s_cbranch_execz .LBB92_173
; %bb.172:
	v_mov_b32_e32 v0, 0
	global_store_dwordx2 v0, v[14:15], s[2:3]
.LBB92_173:
	s_or_b64 exec, exec, s[4:5]
                                        ; implicit-def: $vgpr0_vgpr1
                                        ; implicit-def: $vgpr6_vgpr7_vgpr8_vgpr9
                                        ; implicit-def: $vgpr10_vgpr11_vgpr12_vgpr13
.LBB92_174:
	s_andn2_saveexec_b64 s[0:1], s[0:1]
	s_cbranch_execz .LBB92_186
; %bb.175:
	v_cmp_lt_i64_e32 vcc, 1, v[0:1]
	s_and_saveexec_b64 s[0:1], vcc
	s_xor_b64 s[0:1], exec, s[0:1]
	s_cbranch_execz .LBB92_181
; %bb.176:
	v_cmp_lt_i64_e32 vcc, 2, v[0:1]
	s_and_saveexec_b64 s[4:5], vcc
	s_xor_b64 s[4:5], exec, s[4:5]
	s_cbranch_execz .LBB92_178
; %bb.177:
	v_mov_b32_e32 v0, 0
	global_store_dwordx2 v0, v[12:13], s[2:3]
                                        ; implicit-def: $vgpr10_vgpr11_vgpr12_vgpr13
.LBB92_178:
	s_andn2_saveexec_b64 s[4:5], s[4:5]
	s_cbranch_execz .LBB92_180
; %bb.179:
	v_mov_b32_e32 v0, 0
	global_store_dwordx2 v0, v[10:11], s[2:3]
.LBB92_180:
	s_or_b64 exec, exec, s[4:5]
                                        ; implicit-def: $vgpr6_vgpr7_vgpr8_vgpr9
                                        ; implicit-def: $vgpr0_vgpr1
.LBB92_181:
	s_andn2_saveexec_b64 s[0:1], s[0:1]
	s_cbranch_execz .LBB92_186
; %bb.182:
	v_cmp_ne_u64_e32 vcc, 1, v[0:1]
	s_and_saveexec_b64 s[0:1], vcc
	s_xor_b64 s[0:1], exec, s[0:1]
	s_cbranch_execz .LBB92_184
; %bb.183:
	v_mov_b32_e32 v0, 0
	global_store_dwordx2 v0, v[6:7], s[2:3]
                                        ; implicit-def: $vgpr6_vgpr7_vgpr8_vgpr9
.LBB92_184:
	s_andn2_saveexec_b64 s[0:1], s[0:1]
	s_cbranch_execz .LBB92_186
; %bb.185:
	v_mov_b32_e32 v0, 0
	global_store_dwordx2 v0, v[8:9], s[2:3]
.LBB92_186:
	s_endpgm
	.section	.rodata,"a",@progbits
	.p2align	6, 0x0
	.amdhsa_kernel _ZN7rocprim6detail20lookback_scan_kernelILNS0_25lookback_scan_determinismE0ELb1ENS0_19wrapped_scan_configINS_14default_configEyEEPyS6_N6hipcub3MinEyyNS0_19lookback_scan_stateIyLb0ELb1EEEEEvT2_T3_mT5_T4_T7_jPT6_SH_bb
		.amdhsa_group_segment_fixed_size 7168
		.amdhsa_private_segment_fixed_size 0
		.amdhsa_kernarg_size 76
		.amdhsa_user_sgpr_count 6
		.amdhsa_user_sgpr_private_segment_buffer 1
		.amdhsa_user_sgpr_dispatch_ptr 0
		.amdhsa_user_sgpr_queue_ptr 0
		.amdhsa_user_sgpr_kernarg_segment_ptr 1
		.amdhsa_user_sgpr_dispatch_id 0
		.amdhsa_user_sgpr_flat_scratch_init 0
		.amdhsa_user_sgpr_private_segment_size 0
		.amdhsa_uses_dynamic_stack 0
		.amdhsa_system_sgpr_private_segment_wavefront_offset 0
		.amdhsa_system_sgpr_workgroup_id_x 1
		.amdhsa_system_sgpr_workgroup_id_y 0
		.amdhsa_system_sgpr_workgroup_id_z 0
		.amdhsa_system_sgpr_workgroup_info 0
		.amdhsa_system_vgpr_workitem_id 0
		.amdhsa_next_free_vgpr 65
		.amdhsa_next_free_sgpr 98
		.amdhsa_reserve_vcc 1
		.amdhsa_reserve_flat_scratch 0
		.amdhsa_float_round_mode_32 0
		.amdhsa_float_round_mode_16_64 0
		.amdhsa_float_denorm_mode_32 3
		.amdhsa_float_denorm_mode_16_64 3
		.amdhsa_dx10_clamp 1
		.amdhsa_ieee_mode 1
		.amdhsa_fp16_overflow 0
		.amdhsa_exception_fp_ieee_invalid_op 0
		.amdhsa_exception_fp_denorm_src 0
		.amdhsa_exception_fp_ieee_div_zero 0
		.amdhsa_exception_fp_ieee_overflow 0
		.amdhsa_exception_fp_ieee_underflow 0
		.amdhsa_exception_fp_ieee_inexact 0
		.amdhsa_exception_int_div_zero 0
	.end_amdhsa_kernel
	.section	.text._ZN7rocprim6detail20lookback_scan_kernelILNS0_25lookback_scan_determinismE0ELb1ENS0_19wrapped_scan_configINS_14default_configEyEEPyS6_N6hipcub3MinEyyNS0_19lookback_scan_stateIyLb0ELb1EEEEEvT2_T3_mT5_T4_T7_jPT6_SH_bb,"axG",@progbits,_ZN7rocprim6detail20lookback_scan_kernelILNS0_25lookback_scan_determinismE0ELb1ENS0_19wrapped_scan_configINS_14default_configEyEEPyS6_N6hipcub3MinEyyNS0_19lookback_scan_stateIyLb0ELb1EEEEEvT2_T3_mT5_T4_T7_jPT6_SH_bb,comdat
.Lfunc_end92:
	.size	_ZN7rocprim6detail20lookback_scan_kernelILNS0_25lookback_scan_determinismE0ELb1ENS0_19wrapped_scan_configINS_14default_configEyEEPyS6_N6hipcub3MinEyyNS0_19lookback_scan_stateIyLb0ELb1EEEEEvT2_T3_mT5_T4_T7_jPT6_SH_bb, .Lfunc_end92-_ZN7rocprim6detail20lookback_scan_kernelILNS0_25lookback_scan_determinismE0ELb1ENS0_19wrapped_scan_configINS_14default_configEyEEPyS6_N6hipcub3MinEyyNS0_19lookback_scan_stateIyLb0ELb1EEEEEvT2_T3_mT5_T4_T7_jPT6_SH_bb
                                        ; -- End function
	.set _ZN7rocprim6detail20lookback_scan_kernelILNS0_25lookback_scan_determinismE0ELb1ENS0_19wrapped_scan_configINS_14default_configEyEEPyS6_N6hipcub3MinEyyNS0_19lookback_scan_stateIyLb0ELb1EEEEEvT2_T3_mT5_T4_T7_jPT6_SH_bb.num_vgpr, 62
	.set _ZN7rocprim6detail20lookback_scan_kernelILNS0_25lookback_scan_determinismE0ELb1ENS0_19wrapped_scan_configINS_14default_configEyEEPyS6_N6hipcub3MinEyyNS0_19lookback_scan_stateIyLb0ELb1EEEEEvT2_T3_mT5_T4_T7_jPT6_SH_bb.num_agpr, 0
	.set _ZN7rocprim6detail20lookback_scan_kernelILNS0_25lookback_scan_determinismE0ELb1ENS0_19wrapped_scan_configINS_14default_configEyEEPyS6_N6hipcub3MinEyyNS0_19lookback_scan_stateIyLb0ELb1EEEEEvT2_T3_mT5_T4_T7_jPT6_SH_bb.numbered_sgpr, 26
	.set _ZN7rocprim6detail20lookback_scan_kernelILNS0_25lookback_scan_determinismE0ELb1ENS0_19wrapped_scan_configINS_14default_configEyEEPyS6_N6hipcub3MinEyyNS0_19lookback_scan_stateIyLb0ELb1EEEEEvT2_T3_mT5_T4_T7_jPT6_SH_bb.num_named_barrier, 0
	.set _ZN7rocprim6detail20lookback_scan_kernelILNS0_25lookback_scan_determinismE0ELb1ENS0_19wrapped_scan_configINS_14default_configEyEEPyS6_N6hipcub3MinEyyNS0_19lookback_scan_stateIyLb0ELb1EEEEEvT2_T3_mT5_T4_T7_jPT6_SH_bb.private_seg_size, 0
	.set _ZN7rocprim6detail20lookback_scan_kernelILNS0_25lookback_scan_determinismE0ELb1ENS0_19wrapped_scan_configINS_14default_configEyEEPyS6_N6hipcub3MinEyyNS0_19lookback_scan_stateIyLb0ELb1EEEEEvT2_T3_mT5_T4_T7_jPT6_SH_bb.uses_vcc, 1
	.set _ZN7rocprim6detail20lookback_scan_kernelILNS0_25lookback_scan_determinismE0ELb1ENS0_19wrapped_scan_configINS_14default_configEyEEPyS6_N6hipcub3MinEyyNS0_19lookback_scan_stateIyLb0ELb1EEEEEvT2_T3_mT5_T4_T7_jPT6_SH_bb.uses_flat_scratch, 0
	.set _ZN7rocprim6detail20lookback_scan_kernelILNS0_25lookback_scan_determinismE0ELb1ENS0_19wrapped_scan_configINS_14default_configEyEEPyS6_N6hipcub3MinEyyNS0_19lookback_scan_stateIyLb0ELb1EEEEEvT2_T3_mT5_T4_T7_jPT6_SH_bb.has_dyn_sized_stack, 0
	.set _ZN7rocprim6detail20lookback_scan_kernelILNS0_25lookback_scan_determinismE0ELb1ENS0_19wrapped_scan_configINS_14default_configEyEEPyS6_N6hipcub3MinEyyNS0_19lookback_scan_stateIyLb0ELb1EEEEEvT2_T3_mT5_T4_T7_jPT6_SH_bb.has_recursion, 0
	.set _ZN7rocprim6detail20lookback_scan_kernelILNS0_25lookback_scan_determinismE0ELb1ENS0_19wrapped_scan_configINS_14default_configEyEEPyS6_N6hipcub3MinEyyNS0_19lookback_scan_stateIyLb0ELb1EEEEEvT2_T3_mT5_T4_T7_jPT6_SH_bb.has_indirect_call, 0
	.section	.AMDGPU.csdata,"",@progbits
; Kernel info:
; codeLenInByte = 5860
; TotalNumSgprs: 30
; NumVgprs: 62
; ScratchSize: 0
; MemoryBound: 1
; FloatMode: 240
; IeeeMode: 1
; LDSByteSize: 7168 bytes/workgroup (compile time only)
; SGPRBlocks: 12
; VGPRBlocks: 16
; NumSGPRsForWavesPerEU: 102
; NumVGPRsForWavesPerEU: 65
; Occupancy: 3
; WaveLimiterHint : 1
; COMPUTE_PGM_RSRC2:SCRATCH_EN: 0
; COMPUTE_PGM_RSRC2:USER_SGPR: 6
; COMPUTE_PGM_RSRC2:TRAP_HANDLER: 0
; COMPUTE_PGM_RSRC2:TGID_X_EN: 1
; COMPUTE_PGM_RSRC2:TGID_Y_EN: 0
; COMPUTE_PGM_RSRC2:TGID_Z_EN: 0
; COMPUTE_PGM_RSRC2:TIDIG_COMP_CNT: 0
	.section	.text._ZN7rocprim6detail18single_scan_kernelILb1ENS0_19wrapped_scan_configINS_14default_configEyEEPyS5_N6hipcub3MinEyyEEvT1_mT4_T2_T3_,"axG",@progbits,_ZN7rocprim6detail18single_scan_kernelILb1ENS0_19wrapped_scan_configINS_14default_configEyEEPyS5_N6hipcub3MinEyyEEvT1_mT4_T2_T3_,comdat
	.protected	_ZN7rocprim6detail18single_scan_kernelILb1ENS0_19wrapped_scan_configINS_14default_configEyEEPyS5_N6hipcub3MinEyyEEvT1_mT4_T2_T3_ ; -- Begin function _ZN7rocprim6detail18single_scan_kernelILb1ENS0_19wrapped_scan_configINS_14default_configEyEEPyS5_N6hipcub3MinEyyEEvT1_mT4_T2_T3_
	.globl	_ZN7rocprim6detail18single_scan_kernelILb1ENS0_19wrapped_scan_configINS_14default_configEyEEPyS5_N6hipcub3MinEyyEEvT1_mT4_T2_T3_
	.p2align	8
	.type	_ZN7rocprim6detail18single_scan_kernelILb1ENS0_19wrapped_scan_configINS_14default_configEyEEPyS5_N6hipcub3MinEyyEEvT1_mT4_T2_T3_,@function
_ZN7rocprim6detail18single_scan_kernelILb1ENS0_19wrapped_scan_configINS_14default_configEyEEPyS5_N6hipcub3MinEyyEEvT1_mT4_T2_T3_: ; @_ZN7rocprim6detail18single_scan_kernelILb1ENS0_19wrapped_scan_configINS_14default_configEyEEPyS5_N6hipcub3MinEyyEEvT1_mT4_T2_T3_
; %bb.0:
	s_load_dwordx8 s[36:43], s[4:5], 0x0
	v_lshlrev_b32_e32 v31, 3, v0
	s_waitcnt lgkmcnt(0)
	s_load_dwordx2 s[28:29], s[36:37], 0x0
	v_mov_b32_e32 v1, s37
	v_add_co_u32_e32 v3, vcc, s36, v31
	v_addc_co_u32_e32 v4, vcc, 0, v1, vcc
	s_waitcnt lgkmcnt(0)
	v_mov_b32_e32 v1, s28
	v_cmp_gt_u32_e64 s[0:1], s38, v0
	v_mov_b32_e32 v2, s29
	s_and_saveexec_b64 s[2:3], s[0:1]
	s_cbranch_execz .LBB93_2
; %bb.1:
	global_load_dwordx2 v[1:2], v[3:4], off
.LBB93_2:
	s_or_b64 exec, exec, s[2:3]
	v_or_b32_e32 v5, 64, v0
	v_cmp_gt_u32_e64 s[2:3], s38, v5
	v_mov_b32_e32 v5, s28
	v_mov_b32_e32 v6, s29
	s_and_saveexec_b64 s[4:5], s[2:3]
	s_cbranch_execz .LBB93_4
; %bb.3:
	global_load_dwordx2 v[5:6], v[3:4], off offset:512
.LBB93_4:
	s_or_b64 exec, exec, s[4:5]
	v_or_b32_e32 v7, 0x80, v0
	v_cmp_gt_u32_e64 s[4:5], s38, v7
	v_mov_b32_e32 v7, s28
	v_mov_b32_e32 v8, s29
	s_and_saveexec_b64 s[6:7], s[4:5]
	s_cbranch_execz .LBB93_6
; %bb.5:
	global_load_dwordx2 v[7:8], v[3:4], off offset:1024
.LBB93_6:
	;; [unrolled: 10-line block ×7, first 2 shown]
	s_or_b64 exec, exec, s[16:17]
	v_or_b32_e32 v19, 0x200, v0
	v_cmp_gt_u32_e64 s[16:17], s38, v19
	v_mov_b32_e32 v19, s28
	v_mov_b32_e32 v20, s29
	s_and_saveexec_b64 s[18:19], s[16:17]
	s_cbranch_execz .LBB93_18
; %bb.17:
	v_add_co_u32_e32 v19, vcc, 0x1000, v3
	v_addc_co_u32_e32 v20, vcc, 0, v4, vcc
	global_load_dwordx2 v[19:20], v[19:20], off
.LBB93_18:
	s_or_b64 exec, exec, s[18:19]
	v_or_b32_e32 v21, 0x240, v0
	v_cmp_gt_u32_e64 s[18:19], s38, v21
	v_mov_b32_e32 v21, s28
	v_mov_b32_e32 v22, s29
	s_and_saveexec_b64 s[20:21], s[18:19]
	s_cbranch_execz .LBB93_20
; %bb.19:
	v_add_co_u32_e32 v21, vcc, 0x1000, v3
	v_addc_co_u32_e32 v22, vcc, 0, v4, vcc
	global_load_dwordx2 v[21:22], v[21:22], off offset:512
.LBB93_20:
	s_or_b64 exec, exec, s[20:21]
	v_or_b32_e32 v23, 0x280, v0
	v_cmp_gt_u32_e64 s[20:21], s38, v23
	v_mov_b32_e32 v23, s28
	v_mov_b32_e32 v24, s29
	s_and_saveexec_b64 s[22:23], s[20:21]
	s_cbranch_execz .LBB93_22
; %bb.21:
	v_add_co_u32_e32 v23, vcc, 0x1000, v3
	v_addc_co_u32_e32 v24, vcc, 0, v4, vcc
	global_load_dwordx2 v[23:24], v[23:24], off offset:1024
.LBB93_22:
	;; [unrolled: 12-line block ×5, first 2 shown]
	s_or_b64 exec, exec, s[28:29]
	s_movk_i32 s28, 0x68
	s_waitcnt vmcnt(0)
	ds_write2st64_b64 v31, v[1:2], v[5:6] offset1:1
	ds_write2st64_b64 v31, v[7:8], v[9:10] offset0:2 offset1:3
	ds_write2st64_b64 v31, v[11:12], v[13:14] offset0:4 offset1:5
	;; [unrolled: 1-line block ×6, first 2 shown]
	v_mad_u32_u24 v9, v0, s28, v31
	s_waitcnt lgkmcnt(0)
	; wave barrier
	ds_read_b128 v[25:28], v9
	ds_read_b128 v[21:24], v9 offset:16
	ds_read_b128 v[17:20], v9 offset:32
	;; [unrolled: 1-line block ×6, first 2 shown]
	s_waitcnt lgkmcnt(6)
	v_cmp_lt_u64_e32 vcc, v[25:26], v[27:28]
	s_waitcnt lgkmcnt(0)
	v_cndmask_b32_e32 v30, v28, v26, vcc
	v_cndmask_b32_e32 v29, v27, v25, vcc
	v_cmp_lt_u64_e32 vcc, v[29:30], v[21:22]
	; wave barrier
	v_cndmask_b32_e32 v30, v22, v30, vcc
	v_cndmask_b32_e32 v29, v21, v29, vcc
	v_cmp_lt_u64_e32 vcc, v[29:30], v[23:24]
	v_cndmask_b32_e32 v30, v24, v30, vcc
	v_cndmask_b32_e32 v29, v23, v29, vcc
	v_cmp_lt_u64_e32 vcc, v[29:30], v[17:18]
	;; [unrolled: 3-line block ×11, first 2 shown]
	v_cndmask_b32_e32 v11, v11, v29, vcc
	v_mbcnt_lo_u32_b32 v29, -1, 0
	v_mbcnt_hi_u32_b32 v32, -1, v29
	v_cndmask_b32_e32 v12, v12, v30, vcc
	v_and_b32_e32 v33, 15, v32
	v_mov_b32_dpp v29, v11 row_shr:1 row_mask:0xf bank_mask:0xf
	v_mov_b32_dpp v34, v12 row_shr:1 row_mask:0xf bank_mask:0xf
	v_cmp_ne_u32_e32 vcc, 0, v33
	s_and_saveexec_b64 s[28:29], vcc
; %bb.29:
	v_mov_b32_e32 v30, v34
	v_cmp_lt_u64_e32 vcc, v[29:30], v[11:12]
	v_cndmask_b32_e32 v12, v12, v34, vcc
	v_cndmask_b32_e32 v11, v11, v29, vcc
; %bb.30:
	s_or_b64 exec, exec, s[28:29]
	s_nop 0
	v_mov_b32_dpp v29, v11 row_shr:2 row_mask:0xf bank_mask:0xf
	v_mov_b32_dpp v34, v12 row_shr:2 row_mask:0xf bank_mask:0xf
	v_cmp_lt_u32_e32 vcc, 1, v33
	s_and_saveexec_b64 s[28:29], vcc
; %bb.31:
	v_mov_b32_e32 v30, v34
	v_cmp_lt_u64_e32 vcc, v[29:30], v[11:12]
	v_cndmask_b32_e32 v12, v12, v34, vcc
	v_cndmask_b32_e32 v11, v11, v29, vcc
; %bb.32:
	s_or_b64 exec, exec, s[28:29]
	s_nop 0
	v_mov_b32_dpp v29, v11 row_shr:4 row_mask:0xf bank_mask:0xf
	v_mov_b32_dpp v34, v12 row_shr:4 row_mask:0xf bank_mask:0xf
	v_cmp_lt_u32_e32 vcc, 3, v33
	;; [unrolled: 12-line block ×3, first 2 shown]
	s_and_saveexec_b64 s[28:29], vcc
; %bb.35:
	v_mov_b32_e32 v30, v34
	v_cmp_lt_u64_e32 vcc, v[29:30], v[11:12]
	v_cndmask_b32_e32 v12, v12, v34, vcc
	v_cndmask_b32_e32 v11, v11, v29, vcc
; %bb.36:
	s_or_b64 exec, exec, s[28:29]
	v_and_b32_e32 v30, 16, v32
	v_mov_b32_dpp v29, v11 row_bcast:15 row_mask:0xf bank_mask:0xf
	v_mov_b32_dpp v33, v12 row_bcast:15 row_mask:0xf bank_mask:0xf
	v_cmp_ne_u32_e32 vcc, 0, v30
	s_and_saveexec_b64 s[28:29], vcc
; %bb.37:
	v_mov_b32_e32 v30, v33
	v_cmp_lt_u64_e32 vcc, v[29:30], v[11:12]
	v_cndmask_b32_e32 v12, v12, v33, vcc
	v_cndmask_b32_e32 v11, v11, v29, vcc
; %bb.38:
	s_or_b64 exec, exec, s[28:29]
	s_nop 0
	v_mov_b32_dpp v33, v11 row_bcast:31 row_mask:0xf bank_mask:0xf
	v_mov_b32_dpp v34, v12 row_bcast:31 row_mask:0xf bank_mask:0xf
	v_cmp_lt_u64_e32 vcc, v[33:34], v[11:12]
	v_cmp_lt_u32_e64 s[28:29], 31, v32
	s_and_b64 vcc, s[28:29], vcc
	v_mul_u32_u24_e32 v29, 0x68, v0
	v_cndmask_b32_e32 v12, v12, v34, vcc
	v_cndmask_b32_e32 v11, v11, v33, vcc
	v_cmp_eq_u32_e32 vcc, 63, v0
	s_and_saveexec_b64 s[28:29], vcc
; %bb.39:
	v_mov_b32_e32 v30, 0
	ds_write_b64 v30, v[11:12]
; %bb.40:
	s_or_b64 exec, exec, s[28:29]
	v_cmp_lt_u64_e32 vcc, s[40:41], v[11:12]
	v_mov_b32_e32 v30, s41
	v_mov_b32_e32 v33, s40
	v_cndmask_b32_e32 v12, v12, v30, vcc
	v_cndmask_b32_e32 v11, v11, v33, vcc
	v_subrev_co_u32_e32 v34, vcc, 1, v32
	v_and_b32_e32 v35, 64, v32
	v_cmp_lt_i32_e64 s[28:29], v34, v35
	v_cndmask_b32_e64 v32, v34, v32, s[28:29]
	v_lshlrev_b32_e32 v32, 2, v32
	ds_bpermute_b32 v11, v32, v11
	ds_bpermute_b32 v12, v32, v12
	v_cmp_eq_u32_e64 s[28:29], 0, v0
	s_or_b64 vcc, s[28:29], vcc
	s_waitcnt lgkmcnt(0)
	v_cndmask_b32_e32 v32, v11, v33, vcc
	v_cndmask_b32_e32 v33, v12, v30, vcc
	v_cmp_lt_u64_e32 vcc, v[32:33], v[25:26]
	; wave barrier
	v_cndmask_b32_e32 v35, v26, v33, vcc
	v_cndmask_b32_e32 v34, v25, v32, vcc
	v_cmp_lt_u64_e32 vcc, v[34:35], v[27:28]
	v_cndmask_b32_e32 v26, v28, v35, vcc
	v_cndmask_b32_e32 v25, v27, v34, vcc
	v_cmp_lt_u64_e32 vcc, v[25:26], v[21:22]
	; wave barrier
	v_cndmask_b32_e32 v28, v22, v26, vcc
	v_cndmask_b32_e32 v27, v21, v25, vcc
	v_cmp_lt_u64_e32 vcc, v[27:28], v[23:24]
	v_cndmask_b32_e32 v22, v24, v28, vcc
	v_cndmask_b32_e32 v21, v23, v27, vcc
	v_cmp_lt_u64_e32 vcc, v[21:22], v[17:18]
	;; [unrolled: 3-line block ×10, first 2 shown]
	v_add_u32_e32 v8, v31, v29
	v_cndmask_b32_e32 v7, v10, v5, vcc
	v_cndmask_b32_e32 v6, v9, v4, vcc
	ds_write_b128 v8, v[32:35]
	ds_write_b128 v8, v[25:28] offset:16
	ds_write_b128 v8, v[21:24] offset:32
	;; [unrolled: 1-line block ×6, first 2 shown]
	s_waitcnt lgkmcnt(0)
	; wave barrier
	ds_read2st64_b64 v[20:23], v31 offset0:1 offset1:2
	ds_read2st64_b64 v[16:19], v31 offset0:3 offset1:4
	;; [unrolled: 1-line block ×6, first 2 shown]
	ds_read_b64 v[24:25], v31 offset:6656
	v_mov_b32_e32 v27, s43
	v_add_co_u32_e32 v26, vcc, s42, v31
	v_addc_co_u32_e32 v27, vcc, 0, v27, vcc
	s_and_saveexec_b64 s[28:29], s[0:1]
	s_cbranch_execnz .LBB93_55
; %bb.41:
	s_or_b64 exec, exec, s[28:29]
	s_and_saveexec_b64 s[0:1], s[2:3]
	s_cbranch_execnz .LBB93_56
.LBB93_42:
	s_or_b64 exec, exec, s[0:1]
	s_and_saveexec_b64 s[0:1], s[4:5]
	s_cbranch_execnz .LBB93_57
.LBB93_43:
	s_or_b64 exec, exec, s[0:1]
	s_and_saveexec_b64 s[0:1], s[6:7]
	s_cbranch_execnz .LBB93_58
.LBB93_44:
	s_or_b64 exec, exec, s[0:1]
	s_and_saveexec_b64 s[0:1], s[8:9]
	s_cbranch_execnz .LBB93_59
.LBB93_45:
	s_or_b64 exec, exec, s[0:1]
	s_and_saveexec_b64 s[0:1], s[10:11]
	s_cbranch_execnz .LBB93_60
.LBB93_46:
	s_or_b64 exec, exec, s[0:1]
	s_and_saveexec_b64 s[0:1], s[12:13]
	s_cbranch_execnz .LBB93_61
.LBB93_47:
	s_or_b64 exec, exec, s[0:1]
	s_and_saveexec_b64 s[0:1], s[14:15]
	s_cbranch_execnz .LBB93_62
.LBB93_48:
	s_or_b64 exec, exec, s[0:1]
	s_and_saveexec_b64 s[0:1], s[16:17]
	s_cbranch_execnz .LBB93_63
.LBB93_49:
	s_or_b64 exec, exec, s[0:1]
	s_and_saveexec_b64 s[0:1], s[18:19]
	s_cbranch_execnz .LBB93_64
.LBB93_50:
	s_or_b64 exec, exec, s[0:1]
	s_and_saveexec_b64 s[0:1], s[20:21]
	s_cbranch_execnz .LBB93_65
.LBB93_51:
	s_or_b64 exec, exec, s[0:1]
	s_and_saveexec_b64 s[0:1], s[22:23]
	s_cbranch_execnz .LBB93_66
.LBB93_52:
	s_or_b64 exec, exec, s[0:1]
	s_and_saveexec_b64 s[0:1], s[24:25]
	s_cbranch_execnz .LBB93_67
.LBB93_53:
	s_or_b64 exec, exec, s[0:1]
	s_and_saveexec_b64 s[0:1], s[26:27]
	s_cbranch_execnz .LBB93_68
.LBB93_54:
	s_endpgm
.LBB93_55:
	ds_read_b64 v[28:29], v31
	s_waitcnt lgkmcnt(0)
	global_store_dwordx2 v[26:27], v[28:29], off
	s_or_b64 exec, exec, s[28:29]
	s_and_saveexec_b64 s[0:1], s[2:3]
	s_cbranch_execz .LBB93_42
.LBB93_56:
	s_waitcnt lgkmcnt(6)
	global_store_dwordx2 v[26:27], v[20:21], off offset:512
	s_or_b64 exec, exec, s[0:1]
	s_and_saveexec_b64 s[0:1], s[4:5]
	s_cbranch_execz .LBB93_43
.LBB93_57:
	s_waitcnt lgkmcnt(6)
	global_store_dwordx2 v[26:27], v[22:23], off offset:1024
	s_or_b64 exec, exec, s[0:1]
	s_and_saveexec_b64 s[0:1], s[6:7]
	s_cbranch_execz .LBB93_44
.LBB93_58:
	s_waitcnt lgkmcnt(5)
	global_store_dwordx2 v[26:27], v[16:17], off offset:1536
	s_or_b64 exec, exec, s[0:1]
	s_and_saveexec_b64 s[0:1], s[8:9]
	s_cbranch_execz .LBB93_45
.LBB93_59:
	s_waitcnt lgkmcnt(5)
	global_store_dwordx2 v[26:27], v[18:19], off offset:2048
	s_or_b64 exec, exec, s[0:1]
	s_and_saveexec_b64 s[0:1], s[10:11]
	s_cbranch_execz .LBB93_46
.LBB93_60:
	s_waitcnt lgkmcnt(4)
	global_store_dwordx2 v[26:27], v[12:13], off offset:2560
	s_or_b64 exec, exec, s[0:1]
	s_and_saveexec_b64 s[0:1], s[12:13]
	s_cbranch_execz .LBB93_47
.LBB93_61:
	s_waitcnt lgkmcnt(4)
	global_store_dwordx2 v[26:27], v[14:15], off offset:3072
	s_or_b64 exec, exec, s[0:1]
	s_and_saveexec_b64 s[0:1], s[14:15]
	s_cbranch_execz .LBB93_48
.LBB93_62:
	s_waitcnt lgkmcnt(3)
	global_store_dwordx2 v[26:27], v[8:9], off offset:3584
	s_or_b64 exec, exec, s[0:1]
	s_and_saveexec_b64 s[0:1], s[16:17]
	s_cbranch_execz .LBB93_49
.LBB93_63:
	s_waitcnt lgkmcnt(3)
	v_add_co_u32_e32 v8, vcc, 0x1000, v26
	v_addc_co_u32_e32 v9, vcc, 0, v27, vcc
	global_store_dwordx2 v[8:9], v[10:11], off
	s_or_b64 exec, exec, s[0:1]
	s_and_saveexec_b64 s[0:1], s[18:19]
	s_cbranch_execz .LBB93_50
.LBB93_64:
	s_waitcnt lgkmcnt(3)
	v_add_co_u32_e32 v8, vcc, 0x1000, v26
	v_addc_co_u32_e32 v9, vcc, 0, v27, vcc
	s_waitcnt lgkmcnt(2)
	global_store_dwordx2 v[8:9], v[4:5], off offset:512
	s_or_b64 exec, exec, s[0:1]
	s_and_saveexec_b64 s[0:1], s[20:21]
	s_cbranch_execz .LBB93_51
.LBB93_65:
	s_waitcnt lgkmcnt(2)
	v_add_co_u32_e32 v4, vcc, 0x1000, v26
	v_addc_co_u32_e32 v5, vcc, 0, v27, vcc
	global_store_dwordx2 v[4:5], v[6:7], off offset:1024
	s_or_b64 exec, exec, s[0:1]
	s_and_saveexec_b64 s[0:1], s[22:23]
	s_cbranch_execz .LBB93_52
.LBB93_66:
	s_waitcnt lgkmcnt(2)
	v_add_co_u32_e32 v4, vcc, 0x1000, v26
	v_addc_co_u32_e32 v5, vcc, 0, v27, vcc
	s_waitcnt lgkmcnt(1)
	global_store_dwordx2 v[4:5], v[0:1], off offset:1536
	s_or_b64 exec, exec, s[0:1]
	s_and_saveexec_b64 s[0:1], s[24:25]
	s_cbranch_execz .LBB93_53
.LBB93_67:
	s_waitcnt lgkmcnt(1)
	v_add_co_u32_e32 v0, vcc, 0x1000, v26
	v_addc_co_u32_e32 v1, vcc, 0, v27, vcc
	global_store_dwordx2 v[0:1], v[2:3], off offset:2048
	s_or_b64 exec, exec, s[0:1]
	s_and_saveexec_b64 s[0:1], s[26:27]
	s_cbranch_execz .LBB93_54
.LBB93_68:
	s_waitcnt lgkmcnt(1)
	v_add_co_u32_e32 v0, vcc, 0x1000, v26
	v_addc_co_u32_e32 v1, vcc, 0, v27, vcc
	s_waitcnt lgkmcnt(0)
	global_store_dwordx2 v[0:1], v[24:25], off offset:2560
	s_endpgm
	.section	.rodata,"a",@progbits
	.p2align	6, 0x0
	.amdhsa_kernel _ZN7rocprim6detail18single_scan_kernelILb1ENS0_19wrapped_scan_configINS_14default_configEyEEPyS5_N6hipcub3MinEyyEEvT1_mT4_T2_T3_
		.amdhsa_group_segment_fixed_size 7168
		.amdhsa_private_segment_fixed_size 0
		.amdhsa_kernarg_size 36
		.amdhsa_user_sgpr_count 6
		.amdhsa_user_sgpr_private_segment_buffer 1
		.amdhsa_user_sgpr_dispatch_ptr 0
		.amdhsa_user_sgpr_queue_ptr 0
		.amdhsa_user_sgpr_kernarg_segment_ptr 1
		.amdhsa_user_sgpr_dispatch_id 0
		.amdhsa_user_sgpr_flat_scratch_init 0
		.amdhsa_user_sgpr_private_segment_size 0
		.amdhsa_uses_dynamic_stack 0
		.amdhsa_system_sgpr_private_segment_wavefront_offset 0
		.amdhsa_system_sgpr_workgroup_id_x 1
		.amdhsa_system_sgpr_workgroup_id_y 0
		.amdhsa_system_sgpr_workgroup_id_z 0
		.amdhsa_system_sgpr_workgroup_info 0
		.amdhsa_system_vgpr_workitem_id 0
		.amdhsa_next_free_vgpr 65
		.amdhsa_next_free_sgpr 98
		.amdhsa_reserve_vcc 1
		.amdhsa_reserve_flat_scratch 0
		.amdhsa_float_round_mode_32 0
		.amdhsa_float_round_mode_16_64 0
		.amdhsa_float_denorm_mode_32 3
		.amdhsa_float_denorm_mode_16_64 3
		.amdhsa_dx10_clamp 1
		.amdhsa_ieee_mode 1
		.amdhsa_fp16_overflow 0
		.amdhsa_exception_fp_ieee_invalid_op 0
		.amdhsa_exception_fp_denorm_src 0
		.amdhsa_exception_fp_ieee_div_zero 0
		.amdhsa_exception_fp_ieee_overflow 0
		.amdhsa_exception_fp_ieee_underflow 0
		.amdhsa_exception_fp_ieee_inexact 0
		.amdhsa_exception_int_div_zero 0
	.end_amdhsa_kernel
	.section	.text._ZN7rocprim6detail18single_scan_kernelILb1ENS0_19wrapped_scan_configINS_14default_configEyEEPyS5_N6hipcub3MinEyyEEvT1_mT4_T2_T3_,"axG",@progbits,_ZN7rocprim6detail18single_scan_kernelILb1ENS0_19wrapped_scan_configINS_14default_configEyEEPyS5_N6hipcub3MinEyyEEvT1_mT4_T2_T3_,comdat
.Lfunc_end93:
	.size	_ZN7rocprim6detail18single_scan_kernelILb1ENS0_19wrapped_scan_configINS_14default_configEyEEPyS5_N6hipcub3MinEyyEEvT1_mT4_T2_T3_, .Lfunc_end93-_ZN7rocprim6detail18single_scan_kernelILb1ENS0_19wrapped_scan_configINS_14default_configEyEEPyS5_N6hipcub3MinEyyEEvT1_mT4_T2_T3_
                                        ; -- End function
	.set _ZN7rocprim6detail18single_scan_kernelILb1ENS0_19wrapped_scan_configINS_14default_configEyEEPyS5_N6hipcub3MinEyyEEvT1_mT4_T2_T3_.num_vgpr, 36
	.set _ZN7rocprim6detail18single_scan_kernelILb1ENS0_19wrapped_scan_configINS_14default_configEyEEPyS5_N6hipcub3MinEyyEEvT1_mT4_T2_T3_.num_agpr, 0
	.set _ZN7rocprim6detail18single_scan_kernelILb1ENS0_19wrapped_scan_configINS_14default_configEyEEPyS5_N6hipcub3MinEyyEEvT1_mT4_T2_T3_.numbered_sgpr, 44
	.set _ZN7rocprim6detail18single_scan_kernelILb1ENS0_19wrapped_scan_configINS_14default_configEyEEPyS5_N6hipcub3MinEyyEEvT1_mT4_T2_T3_.num_named_barrier, 0
	.set _ZN7rocprim6detail18single_scan_kernelILb1ENS0_19wrapped_scan_configINS_14default_configEyEEPyS5_N6hipcub3MinEyyEEvT1_mT4_T2_T3_.private_seg_size, 0
	.set _ZN7rocprim6detail18single_scan_kernelILb1ENS0_19wrapped_scan_configINS_14default_configEyEEPyS5_N6hipcub3MinEyyEEvT1_mT4_T2_T3_.uses_vcc, 1
	.set _ZN7rocprim6detail18single_scan_kernelILb1ENS0_19wrapped_scan_configINS_14default_configEyEEPyS5_N6hipcub3MinEyyEEvT1_mT4_T2_T3_.uses_flat_scratch, 0
	.set _ZN7rocprim6detail18single_scan_kernelILb1ENS0_19wrapped_scan_configINS_14default_configEyEEPyS5_N6hipcub3MinEyyEEvT1_mT4_T2_T3_.has_dyn_sized_stack, 0
	.set _ZN7rocprim6detail18single_scan_kernelILb1ENS0_19wrapped_scan_configINS_14default_configEyEEPyS5_N6hipcub3MinEyyEEvT1_mT4_T2_T3_.has_recursion, 0
	.set _ZN7rocprim6detail18single_scan_kernelILb1ENS0_19wrapped_scan_configINS_14default_configEyEEPyS5_N6hipcub3MinEyyEEvT1_mT4_T2_T3_.has_indirect_call, 0
	.section	.AMDGPU.csdata,"",@progbits
; Kernel info:
; codeLenInByte = 2308
; TotalNumSgprs: 48
; NumVgprs: 36
; ScratchSize: 0
; MemoryBound: 0
; FloatMode: 240
; IeeeMode: 1
; LDSByteSize: 7168 bytes/workgroup (compile time only)
; SGPRBlocks: 12
; VGPRBlocks: 16
; NumSGPRsForWavesPerEU: 102
; NumVGPRsForWavesPerEU: 65
; Occupancy: 3
; WaveLimiterHint : 0
; COMPUTE_PGM_RSRC2:SCRATCH_EN: 0
; COMPUTE_PGM_RSRC2:USER_SGPR: 6
; COMPUTE_PGM_RSRC2:TRAP_HANDLER: 0
; COMPUTE_PGM_RSRC2:TGID_X_EN: 1
; COMPUTE_PGM_RSRC2:TGID_Y_EN: 0
; COMPUTE_PGM_RSRC2:TGID_Z_EN: 0
; COMPUTE_PGM_RSRC2:TIDIG_COMP_CNT: 0
	.section	.text._ZN7rocprim6detail25device_scan_by_key_kernelILNS0_25lookback_scan_determinismE0ELb1ENS0_26wrapped_scan_by_key_configINS_14default_configEiiEEPiN6hipcub22TransformInputIteratorIiNS7_6CastOpIiEES6_lEEPliNS7_8EqualityENS7_3SumENS0_19lookback_scan_stateINS_5tupleIJibEEELb1ELb1EEEiEEvT2_T3_T4_T5_T6_T7_T8_mmmPKNSG_IJT9_bEEE,"axG",@progbits,_ZN7rocprim6detail25device_scan_by_key_kernelILNS0_25lookback_scan_determinismE0ELb1ENS0_26wrapped_scan_by_key_configINS_14default_configEiiEEPiN6hipcub22TransformInputIteratorIiNS7_6CastOpIiEES6_lEEPliNS7_8EqualityENS7_3SumENS0_19lookback_scan_stateINS_5tupleIJibEEELb1ELb1EEEiEEvT2_T3_T4_T5_T6_T7_T8_mmmPKNSG_IJT9_bEEE,comdat
	.protected	_ZN7rocprim6detail25device_scan_by_key_kernelILNS0_25lookback_scan_determinismE0ELb1ENS0_26wrapped_scan_by_key_configINS_14default_configEiiEEPiN6hipcub22TransformInputIteratorIiNS7_6CastOpIiEES6_lEEPliNS7_8EqualityENS7_3SumENS0_19lookback_scan_stateINS_5tupleIJibEEELb1ELb1EEEiEEvT2_T3_T4_T5_T6_T7_T8_mmmPKNSG_IJT9_bEEE ; -- Begin function _ZN7rocprim6detail25device_scan_by_key_kernelILNS0_25lookback_scan_determinismE0ELb1ENS0_26wrapped_scan_by_key_configINS_14default_configEiiEEPiN6hipcub22TransformInputIteratorIiNS7_6CastOpIiEES6_lEEPliNS7_8EqualityENS7_3SumENS0_19lookback_scan_stateINS_5tupleIJibEEELb1ELb1EEEiEEvT2_T3_T4_T5_T6_T7_T8_mmmPKNSG_IJT9_bEEE
	.globl	_ZN7rocprim6detail25device_scan_by_key_kernelILNS0_25lookback_scan_determinismE0ELb1ENS0_26wrapped_scan_by_key_configINS_14default_configEiiEEPiN6hipcub22TransformInputIteratorIiNS7_6CastOpIiEES6_lEEPliNS7_8EqualityENS7_3SumENS0_19lookback_scan_stateINS_5tupleIJibEEELb1ELb1EEEiEEvT2_T3_T4_T5_T6_T7_T8_mmmPKNSG_IJT9_bEEE
	.p2align	8
	.type	_ZN7rocprim6detail25device_scan_by_key_kernelILNS0_25lookback_scan_determinismE0ELb1ENS0_26wrapped_scan_by_key_configINS_14default_configEiiEEPiN6hipcub22TransformInputIteratorIiNS7_6CastOpIiEES6_lEEPliNS7_8EqualityENS7_3SumENS0_19lookback_scan_stateINS_5tupleIJibEEELb1ELb1EEEiEEvT2_T3_T4_T5_T6_T7_T8_mmmPKNSG_IJT9_bEEE,@function
_ZN7rocprim6detail25device_scan_by_key_kernelILNS0_25lookback_scan_determinismE0ELb1ENS0_26wrapped_scan_by_key_configINS_14default_configEiiEEPiN6hipcub22TransformInputIteratorIiNS7_6CastOpIiEES6_lEEPliNS7_8EqualityENS7_3SumENS0_19lookback_scan_stateINS_5tupleIJibEEELb1ELb1EEEiEEvT2_T3_T4_T5_T6_T7_T8_mmmPKNSG_IJT9_bEEE: ; @_ZN7rocprim6detail25device_scan_by_key_kernelILNS0_25lookback_scan_determinismE0ELb1ENS0_26wrapped_scan_by_key_configINS_14default_configEiiEEPiN6hipcub22TransformInputIteratorIiNS7_6CastOpIiEES6_lEEPliNS7_8EqualityENS7_3SumENS0_19lookback_scan_stateINS_5tupleIJibEEELb1ELb1EEEiEEvT2_T3_T4_T5_T6_T7_T8_mmmPKNSG_IJT9_bEEE
; %bb.0:
	s_endpgm
	.section	.rodata,"a",@progbits
	.p2align	6, 0x0
	.amdhsa_kernel _ZN7rocprim6detail25device_scan_by_key_kernelILNS0_25lookback_scan_determinismE0ELb1ENS0_26wrapped_scan_by_key_configINS_14default_configEiiEEPiN6hipcub22TransformInputIteratorIiNS7_6CastOpIiEES6_lEEPliNS7_8EqualityENS7_3SumENS0_19lookback_scan_stateINS_5tupleIJibEEELb1ELb1EEEiEEvT2_T3_T4_T5_T6_T7_T8_mmmPKNSG_IJT9_bEEE
		.amdhsa_group_segment_fixed_size 0
		.amdhsa_private_segment_fixed_size 0
		.amdhsa_kernarg_size 80
		.amdhsa_user_sgpr_count 6
		.amdhsa_user_sgpr_private_segment_buffer 1
		.amdhsa_user_sgpr_dispatch_ptr 0
		.amdhsa_user_sgpr_queue_ptr 0
		.amdhsa_user_sgpr_kernarg_segment_ptr 1
		.amdhsa_user_sgpr_dispatch_id 0
		.amdhsa_user_sgpr_flat_scratch_init 0
		.amdhsa_user_sgpr_private_segment_size 0
		.amdhsa_uses_dynamic_stack 0
		.amdhsa_system_sgpr_private_segment_wavefront_offset 0
		.amdhsa_system_sgpr_workgroup_id_x 1
		.amdhsa_system_sgpr_workgroup_id_y 0
		.amdhsa_system_sgpr_workgroup_id_z 0
		.amdhsa_system_sgpr_workgroup_info 0
		.amdhsa_system_vgpr_workitem_id 0
		.amdhsa_next_free_vgpr 1
		.amdhsa_next_free_sgpr 0
		.amdhsa_reserve_vcc 0
		.amdhsa_reserve_flat_scratch 0
		.amdhsa_float_round_mode_32 0
		.amdhsa_float_round_mode_16_64 0
		.amdhsa_float_denorm_mode_32 3
		.amdhsa_float_denorm_mode_16_64 3
		.amdhsa_dx10_clamp 1
		.amdhsa_ieee_mode 1
		.amdhsa_fp16_overflow 0
		.amdhsa_exception_fp_ieee_invalid_op 0
		.amdhsa_exception_fp_denorm_src 0
		.amdhsa_exception_fp_ieee_div_zero 0
		.amdhsa_exception_fp_ieee_overflow 0
		.amdhsa_exception_fp_ieee_underflow 0
		.amdhsa_exception_fp_ieee_inexact 0
		.amdhsa_exception_int_div_zero 0
	.end_amdhsa_kernel
	.section	.text._ZN7rocprim6detail25device_scan_by_key_kernelILNS0_25lookback_scan_determinismE0ELb1ENS0_26wrapped_scan_by_key_configINS_14default_configEiiEEPiN6hipcub22TransformInputIteratorIiNS7_6CastOpIiEES6_lEEPliNS7_8EqualityENS7_3SumENS0_19lookback_scan_stateINS_5tupleIJibEEELb1ELb1EEEiEEvT2_T3_T4_T5_T6_T7_T8_mmmPKNSG_IJT9_bEEE,"axG",@progbits,_ZN7rocprim6detail25device_scan_by_key_kernelILNS0_25lookback_scan_determinismE0ELb1ENS0_26wrapped_scan_by_key_configINS_14default_configEiiEEPiN6hipcub22TransformInputIteratorIiNS7_6CastOpIiEES6_lEEPliNS7_8EqualityENS7_3SumENS0_19lookback_scan_stateINS_5tupleIJibEEELb1ELb1EEEiEEvT2_T3_T4_T5_T6_T7_T8_mmmPKNSG_IJT9_bEEE,comdat
.Lfunc_end94:
	.size	_ZN7rocprim6detail25device_scan_by_key_kernelILNS0_25lookback_scan_determinismE0ELb1ENS0_26wrapped_scan_by_key_configINS_14default_configEiiEEPiN6hipcub22TransformInputIteratorIiNS7_6CastOpIiEES6_lEEPliNS7_8EqualityENS7_3SumENS0_19lookback_scan_stateINS_5tupleIJibEEELb1ELb1EEEiEEvT2_T3_T4_T5_T6_T7_T8_mmmPKNSG_IJT9_bEEE, .Lfunc_end94-_ZN7rocprim6detail25device_scan_by_key_kernelILNS0_25lookback_scan_determinismE0ELb1ENS0_26wrapped_scan_by_key_configINS_14default_configEiiEEPiN6hipcub22TransformInputIteratorIiNS7_6CastOpIiEES6_lEEPliNS7_8EqualityENS7_3SumENS0_19lookback_scan_stateINS_5tupleIJibEEELb1ELb1EEEiEEvT2_T3_T4_T5_T6_T7_T8_mmmPKNSG_IJT9_bEEE
                                        ; -- End function
	.set _ZN7rocprim6detail25device_scan_by_key_kernelILNS0_25lookback_scan_determinismE0ELb1ENS0_26wrapped_scan_by_key_configINS_14default_configEiiEEPiN6hipcub22TransformInputIteratorIiNS7_6CastOpIiEES6_lEEPliNS7_8EqualityENS7_3SumENS0_19lookback_scan_stateINS_5tupleIJibEEELb1ELb1EEEiEEvT2_T3_T4_T5_T6_T7_T8_mmmPKNSG_IJT9_bEEE.num_vgpr, 0
	.set _ZN7rocprim6detail25device_scan_by_key_kernelILNS0_25lookback_scan_determinismE0ELb1ENS0_26wrapped_scan_by_key_configINS_14default_configEiiEEPiN6hipcub22TransformInputIteratorIiNS7_6CastOpIiEES6_lEEPliNS7_8EqualityENS7_3SumENS0_19lookback_scan_stateINS_5tupleIJibEEELb1ELb1EEEiEEvT2_T3_T4_T5_T6_T7_T8_mmmPKNSG_IJT9_bEEE.num_agpr, 0
	.set _ZN7rocprim6detail25device_scan_by_key_kernelILNS0_25lookback_scan_determinismE0ELb1ENS0_26wrapped_scan_by_key_configINS_14default_configEiiEEPiN6hipcub22TransformInputIteratorIiNS7_6CastOpIiEES6_lEEPliNS7_8EqualityENS7_3SumENS0_19lookback_scan_stateINS_5tupleIJibEEELb1ELb1EEEiEEvT2_T3_T4_T5_T6_T7_T8_mmmPKNSG_IJT9_bEEE.numbered_sgpr, 0
	.set _ZN7rocprim6detail25device_scan_by_key_kernelILNS0_25lookback_scan_determinismE0ELb1ENS0_26wrapped_scan_by_key_configINS_14default_configEiiEEPiN6hipcub22TransformInputIteratorIiNS7_6CastOpIiEES6_lEEPliNS7_8EqualityENS7_3SumENS0_19lookback_scan_stateINS_5tupleIJibEEELb1ELb1EEEiEEvT2_T3_T4_T5_T6_T7_T8_mmmPKNSG_IJT9_bEEE.num_named_barrier, 0
	.set _ZN7rocprim6detail25device_scan_by_key_kernelILNS0_25lookback_scan_determinismE0ELb1ENS0_26wrapped_scan_by_key_configINS_14default_configEiiEEPiN6hipcub22TransformInputIteratorIiNS7_6CastOpIiEES6_lEEPliNS7_8EqualityENS7_3SumENS0_19lookback_scan_stateINS_5tupleIJibEEELb1ELb1EEEiEEvT2_T3_T4_T5_T6_T7_T8_mmmPKNSG_IJT9_bEEE.private_seg_size, 0
	.set _ZN7rocprim6detail25device_scan_by_key_kernelILNS0_25lookback_scan_determinismE0ELb1ENS0_26wrapped_scan_by_key_configINS_14default_configEiiEEPiN6hipcub22TransformInputIteratorIiNS7_6CastOpIiEES6_lEEPliNS7_8EqualityENS7_3SumENS0_19lookback_scan_stateINS_5tupleIJibEEELb1ELb1EEEiEEvT2_T3_T4_T5_T6_T7_T8_mmmPKNSG_IJT9_bEEE.uses_vcc, 0
	.set _ZN7rocprim6detail25device_scan_by_key_kernelILNS0_25lookback_scan_determinismE0ELb1ENS0_26wrapped_scan_by_key_configINS_14default_configEiiEEPiN6hipcub22TransformInputIteratorIiNS7_6CastOpIiEES6_lEEPliNS7_8EqualityENS7_3SumENS0_19lookback_scan_stateINS_5tupleIJibEEELb1ELb1EEEiEEvT2_T3_T4_T5_T6_T7_T8_mmmPKNSG_IJT9_bEEE.uses_flat_scratch, 0
	.set _ZN7rocprim6detail25device_scan_by_key_kernelILNS0_25lookback_scan_determinismE0ELb1ENS0_26wrapped_scan_by_key_configINS_14default_configEiiEEPiN6hipcub22TransformInputIteratorIiNS7_6CastOpIiEES6_lEEPliNS7_8EqualityENS7_3SumENS0_19lookback_scan_stateINS_5tupleIJibEEELb1ELb1EEEiEEvT2_T3_T4_T5_T6_T7_T8_mmmPKNSG_IJT9_bEEE.has_dyn_sized_stack, 0
	.set _ZN7rocprim6detail25device_scan_by_key_kernelILNS0_25lookback_scan_determinismE0ELb1ENS0_26wrapped_scan_by_key_configINS_14default_configEiiEEPiN6hipcub22TransformInputIteratorIiNS7_6CastOpIiEES6_lEEPliNS7_8EqualityENS7_3SumENS0_19lookback_scan_stateINS_5tupleIJibEEELb1ELb1EEEiEEvT2_T3_T4_T5_T6_T7_T8_mmmPKNSG_IJT9_bEEE.has_recursion, 0
	.set _ZN7rocprim6detail25device_scan_by_key_kernelILNS0_25lookback_scan_determinismE0ELb1ENS0_26wrapped_scan_by_key_configINS_14default_configEiiEEPiN6hipcub22TransformInputIteratorIiNS7_6CastOpIiEES6_lEEPliNS7_8EqualityENS7_3SumENS0_19lookback_scan_stateINS_5tupleIJibEEELb1ELb1EEEiEEvT2_T3_T4_T5_T6_T7_T8_mmmPKNSG_IJT9_bEEE.has_indirect_call, 0
	.section	.AMDGPU.csdata,"",@progbits
; Kernel info:
; codeLenInByte = 4
; TotalNumSgprs: 4
; NumVgprs: 0
; ScratchSize: 0
; MemoryBound: 0
; FloatMode: 240
; IeeeMode: 1
; LDSByteSize: 0 bytes/workgroup (compile time only)
; SGPRBlocks: 0
; VGPRBlocks: 0
; NumSGPRsForWavesPerEU: 4
; NumVGPRsForWavesPerEU: 1
; Occupancy: 10
; WaveLimiterHint : 0
; COMPUTE_PGM_RSRC2:SCRATCH_EN: 0
; COMPUTE_PGM_RSRC2:USER_SGPR: 6
; COMPUTE_PGM_RSRC2:TRAP_HANDLER: 0
; COMPUTE_PGM_RSRC2:TGID_X_EN: 1
; COMPUTE_PGM_RSRC2:TGID_Y_EN: 0
; COMPUTE_PGM_RSRC2:TGID_Z_EN: 0
; COMPUTE_PGM_RSRC2:TIDIG_COMP_CNT: 0
	.section	.text._ZN7rocprim6detail25device_scan_by_key_kernelILNS0_25lookback_scan_determinismE0ELb1ENS0_26wrapped_scan_by_key_configINS_14default_configEiiEEPiN6hipcub22TransformInputIteratorIiNS7_6CastOpIiEES6_lEEPliNS7_8EqualityENS7_3SumENS0_19lookback_scan_stateINS_5tupleIJibEEELb0ELb1EEEiEEvT2_T3_T4_T5_T6_T7_T8_mmmPKNSG_IJT9_bEEE,"axG",@progbits,_ZN7rocprim6detail25device_scan_by_key_kernelILNS0_25lookback_scan_determinismE0ELb1ENS0_26wrapped_scan_by_key_configINS_14default_configEiiEEPiN6hipcub22TransformInputIteratorIiNS7_6CastOpIiEES6_lEEPliNS7_8EqualityENS7_3SumENS0_19lookback_scan_stateINS_5tupleIJibEEELb0ELb1EEEiEEvT2_T3_T4_T5_T6_T7_T8_mmmPKNSG_IJT9_bEEE,comdat
	.protected	_ZN7rocprim6detail25device_scan_by_key_kernelILNS0_25lookback_scan_determinismE0ELb1ENS0_26wrapped_scan_by_key_configINS_14default_configEiiEEPiN6hipcub22TransformInputIteratorIiNS7_6CastOpIiEES6_lEEPliNS7_8EqualityENS7_3SumENS0_19lookback_scan_stateINS_5tupleIJibEEELb0ELb1EEEiEEvT2_T3_T4_T5_T6_T7_T8_mmmPKNSG_IJT9_bEEE ; -- Begin function _ZN7rocprim6detail25device_scan_by_key_kernelILNS0_25lookback_scan_determinismE0ELb1ENS0_26wrapped_scan_by_key_configINS_14default_configEiiEEPiN6hipcub22TransformInputIteratorIiNS7_6CastOpIiEES6_lEEPliNS7_8EqualityENS7_3SumENS0_19lookback_scan_stateINS_5tupleIJibEEELb0ELb1EEEiEEvT2_T3_T4_T5_T6_T7_T8_mmmPKNSG_IJT9_bEEE
	.globl	_ZN7rocprim6detail25device_scan_by_key_kernelILNS0_25lookback_scan_determinismE0ELb1ENS0_26wrapped_scan_by_key_configINS_14default_configEiiEEPiN6hipcub22TransformInputIteratorIiNS7_6CastOpIiEES6_lEEPliNS7_8EqualityENS7_3SumENS0_19lookback_scan_stateINS_5tupleIJibEEELb0ELb1EEEiEEvT2_T3_T4_T5_T6_T7_T8_mmmPKNSG_IJT9_bEEE
	.p2align	8
	.type	_ZN7rocprim6detail25device_scan_by_key_kernelILNS0_25lookback_scan_determinismE0ELb1ENS0_26wrapped_scan_by_key_configINS_14default_configEiiEEPiN6hipcub22TransformInputIteratorIiNS7_6CastOpIiEES6_lEEPliNS7_8EqualityENS7_3SumENS0_19lookback_scan_stateINS_5tupleIJibEEELb0ELb1EEEiEEvT2_T3_T4_T5_T6_T7_T8_mmmPKNSG_IJT9_bEEE,@function
_ZN7rocprim6detail25device_scan_by_key_kernelILNS0_25lookback_scan_determinismE0ELb1ENS0_26wrapped_scan_by_key_configINS_14default_configEiiEEPiN6hipcub22TransformInputIteratorIiNS7_6CastOpIiEES6_lEEPliNS7_8EqualityENS7_3SumENS0_19lookback_scan_stateINS_5tupleIJibEEELb0ELb1EEEiEEvT2_T3_T4_T5_T6_T7_T8_mmmPKNSG_IJT9_bEEE: ; @_ZN7rocprim6detail25device_scan_by_key_kernelILNS0_25lookback_scan_determinismE0ELb1ENS0_26wrapped_scan_by_key_configINS_14default_configEiiEEPiN6hipcub22TransformInputIteratorIiNS7_6CastOpIiEES6_lEEPliNS7_8EqualityENS7_3SumENS0_19lookback_scan_stateINS_5tupleIJibEEELb0ELb1EEEiEEvT2_T3_T4_T5_T6_T7_T8_mmmPKNSG_IJT9_bEEE
; %bb.0:
	s_load_dwordx4 s[0:3], s[4:5], 0x0
	s_load_dword s56, s[4:5], 0x20
	s_load_dwordx8 s[44:51], s[4:5], 0x28
	s_load_dwordx2 s[54:55], s[4:5], 0x48
	s_mul_i32 s52, s6, 0xf00
	s_mov_b32 s53, 0
	s_lshl_b64 s[8:9], s[52:53], 2
	s_waitcnt lgkmcnt(0)
	s_add_u32 s40, s0, s8
	s_addc_u32 s41, s1, s9
	s_add_u32 s38, s2, s8
	s_addc_u32 s39, s3, s9
	;; [unrolled: 2-line block ×3, first 2 shown]
	s_add_u32 s8, s50, -1
	s_addc_u32 s9, s51, -1
	v_mov_b32_e32 v1, s8
	v_mov_b32_e32 v2, s9
	v_cmp_ge_u64_e64 s[0:1], s[0:1], v[1:2]
	s_mov_b64 s[2:3], -1
	s_and_b64 vcc, exec, s[0:1]
	s_mul_i32 s33, s8, 0xfffff100
	v_lshlrev_b32_e32 v70, 2, v0
	s_cbranch_vccz .LBB95_47
; %bb.1:
	s_load_dword s42, s[40:41], 0x0
	s_add_i32 s7, s33, s46
	v_mov_b32_e32 v2, s41
	v_add_co_u32_e32 v1, vcc, s40, v70
	v_addc_co_u32_e32 v2, vcc, 0, v2, vcc
	v_cmp_gt_u32_e64 s[2:3], s7, v0
	s_waitcnt lgkmcnt(0)
	v_mov_b32_e32 v3, s42
	s_and_saveexec_b64 s[8:9], s[2:3]
	s_cbranch_execz .LBB95_3
; %bb.2:
	global_load_dword v3, v[1:2], off
.LBB95_3:
	s_or_b64 exec, exec, s[8:9]
	v_or_b32_e32 v4, 0x100, v0
	v_cmp_gt_u32_e64 s[36:37], s7, v4
	v_mov_b32_e32 v4, s42
	s_and_saveexec_b64 s[8:9], s[36:37]
	s_cbranch_execz .LBB95_5
; %bb.4:
	global_load_dword v4, v[1:2], off offset:1024
.LBB95_5:
	s_or_b64 exec, exec, s[8:9]
	v_or_b32_e32 v5, 0x200, v0
	v_cmp_gt_u32_e64 s[8:9], s7, v5
	v_mov_b32_e32 v5, s42
	s_and_saveexec_b64 s[10:11], s[8:9]
	s_cbranch_execz .LBB95_7
; %bb.6:
	global_load_dword v5, v[1:2], off offset:2048
.LBB95_7:
	;; [unrolled: 9-line block ×3, first 2 shown]
	s_or_b64 exec, exec, s[12:13]
	v_or_b32_e32 v7, 0x400, v0
	v_cmp_gt_u32_e64 s[12:13], s7, v7
	v_mov_b32_e32 v7, s42
	s_and_saveexec_b64 s[14:15], s[12:13]
	s_cbranch_execz .LBB95_11
; %bb.10:
	v_add_co_u32_e32 v7, vcc, 0x1000, v1
	v_addc_co_u32_e32 v8, vcc, 0, v2, vcc
	global_load_dword v7, v[7:8], off
.LBB95_11:
	s_or_b64 exec, exec, s[14:15]
	v_or_b32_e32 v8, 0x500, v0
	v_cmp_gt_u32_e64 s[14:15], s7, v8
	v_mov_b32_e32 v8, s42
	s_and_saveexec_b64 s[16:17], s[14:15]
	s_cbranch_execz .LBB95_13
; %bb.12:
	v_add_co_u32_e32 v8, vcc, 0x1000, v1
	v_addc_co_u32_e32 v9, vcc, 0, v2, vcc
	global_load_dword v8, v[8:9], off offset:1024
.LBB95_13:
	s_or_b64 exec, exec, s[16:17]
	v_or_b32_e32 v9, 0x600, v0
	v_cmp_gt_u32_e64 s[16:17], s7, v9
	v_mov_b32_e32 v9, s42
	s_and_saveexec_b64 s[18:19], s[16:17]
	s_cbranch_execz .LBB95_15
; %bb.14:
	v_add_co_u32_e32 v9, vcc, 0x1000, v1
	v_addc_co_u32_e32 v10, vcc, 0, v2, vcc
	global_load_dword v9, v[9:10], off offset:2048
.LBB95_15:
	;; [unrolled: 11-line block ×3, first 2 shown]
	s_or_b64 exec, exec, s[20:21]
	v_or_b32_e32 v11, 0x800, v0
	v_cmp_gt_u32_e64 s[20:21], s7, v11
	v_mov_b32_e32 v11, s42
	s_and_saveexec_b64 s[22:23], s[20:21]
	s_cbranch_execz .LBB95_19
; %bb.18:
	v_add_co_u32_e32 v11, vcc, 0x2000, v1
	v_addc_co_u32_e32 v12, vcc, 0, v2, vcc
	global_load_dword v11, v[11:12], off
.LBB95_19:
	s_or_b64 exec, exec, s[22:23]
	v_or_b32_e32 v12, 0x900, v0
	v_cmp_gt_u32_e64 s[22:23], s7, v12
	v_mov_b32_e32 v12, s42
	s_and_saveexec_b64 s[24:25], s[22:23]
	s_cbranch_execz .LBB95_21
; %bb.20:
	v_add_co_u32_e32 v12, vcc, 0x2000, v1
	v_addc_co_u32_e32 v13, vcc, 0, v2, vcc
	global_load_dword v12, v[12:13], off offset:1024
.LBB95_21:
	s_or_b64 exec, exec, s[24:25]
	v_or_b32_e32 v13, 0xa00, v0
	v_cmp_gt_u32_e64 s[24:25], s7, v13
	v_mov_b32_e32 v13, s42
	s_and_saveexec_b64 s[26:27], s[24:25]
	s_cbranch_execz .LBB95_23
; %bb.22:
	v_add_co_u32_e32 v13, vcc, 0x2000, v1
	v_addc_co_u32_e32 v14, vcc, 0, v2, vcc
	global_load_dword v13, v[13:14], off offset:2048
.LBB95_23:
	;; [unrolled: 11-line block ×3, first 2 shown]
	s_or_b64 exec, exec, s[28:29]
	v_or_b32_e32 v15, 0xc00, v0
	v_cmp_gt_u32_e64 s[28:29], s7, v15
	v_mov_b32_e32 v15, s42
	s_and_saveexec_b64 s[30:31], s[28:29]
	s_cbranch_execz .LBB95_27
; %bb.26:
	v_add_co_u32_e32 v15, vcc, 0x3000, v1
	v_addc_co_u32_e32 v16, vcc, 0, v2, vcc
	global_load_dword v15, v[15:16], off
.LBB95_27:
	s_or_b64 exec, exec, s[30:31]
	v_or_b32_e32 v16, 0xd00, v0
	v_cmp_gt_u32_e64 s[30:31], s7, v16
	v_mov_b32_e32 v16, s42
	s_and_saveexec_b64 s[34:35], s[30:31]
	s_cbranch_execz .LBB95_29
; %bb.28:
	v_add_co_u32_e32 v16, vcc, 0x3000, v1
	v_addc_co_u32_e32 v17, vcc, 0, v2, vcc
	global_load_dword v16, v[16:17], off offset:1024
.LBB95_29:
	s_or_b64 exec, exec, s[34:35]
	v_or_b32_e32 v17, 0xe00, v0
	v_cmp_gt_u32_e64 s[34:35], s7, v17
	v_mov_b32_e32 v17, s42
	s_and_saveexec_b64 s[42:43], s[34:35]
	s_cbranch_execz .LBB95_31
; %bb.30:
	v_add_co_u32_e32 v1, vcc, 0x3000, v1
	v_addc_co_u32_e32 v2, vcc, 0, v2, vcc
	global_load_dword v17, v[1:2], off offset:2048
.LBB95_31:
	s_or_b64 exec, exec, s[42:43]
	v_mad_u32_u24 v72, v0, 56, v70
	s_waitcnt vmcnt(0)
	ds_write2st64_b32 v70, v3, v4 offset1:4
	ds_write2st64_b32 v70, v5, v6 offset0:8 offset1:12
	ds_write2st64_b32 v70, v7, v8 offset0:16 offset1:20
	;; [unrolled: 1-line block ×6, first 2 shown]
	ds_write_b32 v70, v17 offset:14336
	s_waitcnt lgkmcnt(0)
	s_barrier
	ds_read_b32 v74, v72
	ds_read2_b32 v[68:69], v72 offset0:1 offset1:2
	ds_read2_b32 v[66:67], v72 offset0:3 offset1:4
	;; [unrolled: 1-line block ×7, first 2 shown]
	s_load_dword s42, s[40:41], 0x0
	s_movk_i32 s43, 0xffc8
	v_mad_i32_i24 v1, v0, s43, v72
	s_movk_i32 s43, 0xff
	v_cmp_ne_u32_e32 vcc, s43, v0
	s_waitcnt lgkmcnt(0)
	v_mov_b32_e32 v71, s42
	ds_write_b32 v1, v74 offset:16384
	s_waitcnt lgkmcnt(0)
	s_barrier
	s_and_saveexec_b64 s[42:43], vcc
; %bb.32:
	v_mul_i32_i24_e32 v1, 0xffffffc8, v0
	v_add_u32_e32 v1, v72, v1
	ds_read_b32 v71, v1 offset:16388
; %bb.33:
	s_or_b64 exec, exec, s[42:43]
	v_mov_b32_e32 v2, s39
	v_add_co_u32_e32 v1, vcc, s38, v70
	v_addc_co_u32_e32 v2, vcc, 0, v2, vcc
	s_waitcnt lgkmcnt(0)
	s_barrier
                                        ; implicit-def: $vgpr3
	s_and_saveexec_b64 s[42:43], s[2:3]
	s_cbranch_execz .LBB95_48
; %bb.34:
	global_load_dword v3, v[1:2], off
	s_or_b64 exec, exec, s[42:43]
                                        ; implicit-def: $vgpr4
	s_and_saveexec_b64 s[2:3], s[36:37]
	s_cbranch_execnz .LBB95_49
.LBB95_35:
	s_or_b64 exec, exec, s[2:3]
                                        ; implicit-def: $vgpr5
	s_and_saveexec_b64 s[2:3], s[8:9]
	s_cbranch_execz .LBB95_50
.LBB95_36:
	global_load_dword v5, v[1:2], off offset:2048
	s_or_b64 exec, exec, s[2:3]
                                        ; implicit-def: $vgpr6
	s_and_saveexec_b64 s[2:3], s[10:11]
	s_cbranch_execnz .LBB95_51
.LBB95_37:
	s_or_b64 exec, exec, s[2:3]
                                        ; implicit-def: $vgpr7
	s_and_saveexec_b64 s[2:3], s[12:13]
	s_cbranch_execz .LBB95_52
.LBB95_38:
	v_add_co_u32_e32 v7, vcc, 0x1000, v1
	v_addc_co_u32_e32 v8, vcc, 0, v2, vcc
	global_load_dword v7, v[7:8], off
	s_or_b64 exec, exec, s[2:3]
                                        ; implicit-def: $vgpr8
	s_and_saveexec_b64 s[2:3], s[14:15]
	s_cbranch_execnz .LBB95_53
.LBB95_39:
	s_or_b64 exec, exec, s[2:3]
                                        ; implicit-def: $vgpr9
	s_and_saveexec_b64 s[2:3], s[16:17]
	s_cbranch_execz .LBB95_54
.LBB95_40:
	v_add_co_u32_e32 v9, vcc, 0x1000, v1
	v_addc_co_u32_e32 v10, vcc, 0, v2, vcc
	global_load_dword v9, v[9:10], off offset:2048
	s_or_b64 exec, exec, s[2:3]
                                        ; implicit-def: $vgpr10
	s_and_saveexec_b64 s[2:3], s[18:19]
	s_cbranch_execnz .LBB95_55
.LBB95_41:
	s_or_b64 exec, exec, s[2:3]
                                        ; implicit-def: $vgpr11
	s_and_saveexec_b64 s[2:3], s[20:21]
	s_cbranch_execz .LBB95_56
.LBB95_42:
	v_add_co_u32_e32 v11, vcc, 0x2000, v1
	v_addc_co_u32_e32 v12, vcc, 0, v2, vcc
	global_load_dword v11, v[11:12], off
	s_or_b64 exec, exec, s[2:3]
                                        ; implicit-def: $vgpr12
	s_and_saveexec_b64 s[2:3], s[22:23]
	s_cbranch_execnz .LBB95_57
.LBB95_43:
	s_or_b64 exec, exec, s[2:3]
                                        ; implicit-def: $vgpr13
	s_and_saveexec_b64 s[2:3], s[24:25]
	s_cbranch_execz .LBB95_58
.LBB95_44:
	v_add_co_u32_e32 v13, vcc, 0x2000, v1
	v_addc_co_u32_e32 v14, vcc, 0, v2, vcc
	global_load_dword v13, v[13:14], off offset:2048
	s_or_b64 exec, exec, s[2:3]
                                        ; implicit-def: $vgpr14
	s_and_saveexec_b64 s[2:3], s[26:27]
	s_cbranch_execnz .LBB95_59
.LBB95_45:
	s_or_b64 exec, exec, s[2:3]
                                        ; implicit-def: $vgpr15
	s_and_saveexec_b64 s[2:3], s[28:29]
	s_cbranch_execz .LBB95_60
.LBB95_46:
	v_add_co_u32_e32 v15, vcc, 0x3000, v1
	v_addc_co_u32_e32 v16, vcc, 0, v2, vcc
	global_load_dword v15, v[15:16], off
	s_or_b64 exec, exec, s[2:3]
                                        ; implicit-def: $vgpr16
	s_and_saveexec_b64 s[2:3], s[30:31]
	s_cbranch_execz .LBB95_62
	s_branch .LBB95_61
.LBB95_47:
	s_mov_b64 s[10:11], 0
                                        ; implicit-def: $sgpr12_sgpr13
                                        ; implicit-def: $vgpr57
                                        ; implicit-def: $vgpr9_vgpr10
                                        ; implicit-def: $vgpr1_vgpr2
                                        ; implicit-def: $vgpr3_vgpr4
                                        ; implicit-def: $vgpr5_vgpr6
                                        ; implicit-def: $vgpr7_vgpr8
                                        ; implicit-def: $vgpr37_vgpr38
                                        ; implicit-def: $vgpr39_vgpr40
                                        ; implicit-def: $vgpr41_vgpr42
                                        ; implicit-def: $vgpr43_vgpr44
                                        ; implicit-def: $vgpr45_vgpr46
                                        ; implicit-def: $vgpr47_vgpr48
                                        ; implicit-def: $vgpr49_vgpr50
                                        ; implicit-def: $vgpr51_vgpr52
                                        ; implicit-def: $vgpr55_vgpr56
                                        ; implicit-def: $vgpr35_vgpr36
                                        ; implicit-def: $vgpr33_vgpr34
                                        ; implicit-def: $vgpr31_vgpr32
                                        ; implicit-def: $vgpr29_vgpr30
                                        ; implicit-def: $vgpr27_vgpr28
                                        ; implicit-def: $vgpr25_vgpr26
                                        ; implicit-def: $vgpr23_vgpr24
                                        ; implicit-def: $vgpr21_vgpr22
                                        ; implicit-def: $vgpr19_vgpr20
                                        ; implicit-def: $vgpr17_vgpr18
                                        ; implicit-def: $vgpr15_vgpr16
                                        ; implicit-def: $vgpr13_vgpr14
                                        ; implicit-def: $vgpr11_vgpr12
	s_and_b64 vcc, exec, s[2:3]
	s_cbranch_vccz .LBB95_100
	s_branch .LBB95_95
.LBB95_48:
	s_or_b64 exec, exec, s[42:43]
                                        ; implicit-def: $vgpr4
	s_and_saveexec_b64 s[2:3], s[36:37]
	s_cbranch_execz .LBB95_35
.LBB95_49:
	global_load_dword v4, v[1:2], off offset:1024
	s_or_b64 exec, exec, s[2:3]
                                        ; implicit-def: $vgpr5
	s_and_saveexec_b64 s[2:3], s[8:9]
	s_cbranch_execnz .LBB95_36
.LBB95_50:
	s_or_b64 exec, exec, s[2:3]
                                        ; implicit-def: $vgpr6
	s_and_saveexec_b64 s[2:3], s[10:11]
	s_cbranch_execz .LBB95_37
.LBB95_51:
	global_load_dword v6, v[1:2], off offset:3072
	s_or_b64 exec, exec, s[2:3]
                                        ; implicit-def: $vgpr7
	s_and_saveexec_b64 s[2:3], s[12:13]
	s_cbranch_execnz .LBB95_38
.LBB95_52:
	s_or_b64 exec, exec, s[2:3]
                                        ; implicit-def: $vgpr8
	s_and_saveexec_b64 s[2:3], s[14:15]
	s_cbranch_execz .LBB95_39
.LBB95_53:
	v_add_co_u32_e32 v8, vcc, 0x1000, v1
	v_addc_co_u32_e32 v9, vcc, 0, v2, vcc
	global_load_dword v8, v[8:9], off offset:1024
	s_or_b64 exec, exec, s[2:3]
                                        ; implicit-def: $vgpr9
	s_and_saveexec_b64 s[2:3], s[16:17]
	s_cbranch_execnz .LBB95_40
.LBB95_54:
	s_or_b64 exec, exec, s[2:3]
                                        ; implicit-def: $vgpr10
	s_and_saveexec_b64 s[2:3], s[18:19]
	s_cbranch_execz .LBB95_41
.LBB95_55:
	v_add_co_u32_e32 v10, vcc, 0x1000, v1
	v_addc_co_u32_e32 v11, vcc, 0, v2, vcc
	global_load_dword v10, v[10:11], off offset:3072
	s_or_b64 exec, exec, s[2:3]
                                        ; implicit-def: $vgpr11
	s_and_saveexec_b64 s[2:3], s[20:21]
	s_cbranch_execnz .LBB95_42
.LBB95_56:
	s_or_b64 exec, exec, s[2:3]
                                        ; implicit-def: $vgpr12
	s_and_saveexec_b64 s[2:3], s[22:23]
	s_cbranch_execz .LBB95_43
.LBB95_57:
	v_add_co_u32_e32 v12, vcc, 0x2000, v1
	v_addc_co_u32_e32 v13, vcc, 0, v2, vcc
	global_load_dword v12, v[12:13], off offset:1024
	s_or_b64 exec, exec, s[2:3]
                                        ; implicit-def: $vgpr13
	s_and_saveexec_b64 s[2:3], s[24:25]
	s_cbranch_execnz .LBB95_44
.LBB95_58:
	s_or_b64 exec, exec, s[2:3]
                                        ; implicit-def: $vgpr14
	s_and_saveexec_b64 s[2:3], s[26:27]
	s_cbranch_execz .LBB95_45
.LBB95_59:
	v_add_co_u32_e32 v14, vcc, 0x2000, v1
	v_addc_co_u32_e32 v15, vcc, 0, v2, vcc
	global_load_dword v14, v[14:15], off offset:3072
	s_or_b64 exec, exec, s[2:3]
                                        ; implicit-def: $vgpr15
	s_and_saveexec_b64 s[2:3], s[28:29]
	s_cbranch_execnz .LBB95_46
.LBB95_60:
	s_or_b64 exec, exec, s[2:3]
                                        ; implicit-def: $vgpr16
	s_and_saveexec_b64 s[2:3], s[30:31]
	s_cbranch_execz .LBB95_62
.LBB95_61:
	v_add_co_u32_e32 v16, vcc, 0x3000, v1
	v_addc_co_u32_e32 v17, vcc, 0, v2, vcc
	global_load_dword v16, v[16:17], off offset:1024
.LBB95_62:
	s_or_b64 exec, exec, s[2:3]
	v_mul_u32_u24_e32 v73, 15, v0
                                        ; implicit-def: $vgpr17
	s_and_saveexec_b64 s[2:3], s[34:35]
	s_cbranch_execz .LBB95_64
; %bb.63:
	v_add_co_u32_e32 v1, vcc, 0x3000, v1
	v_addc_co_u32_e32 v2, vcc, 0, v2, vcc
	global_load_dword v17, v[1:2], off offset:2048
.LBB95_64:
	s_or_b64 exec, exec, s[2:3]
	s_waitcnt vmcnt(0)
	ds_write2st64_b32 v70, v3, v4 offset1:4
	ds_write2st64_b32 v70, v5, v6 offset0:8 offset1:12
	ds_write2st64_b32 v70, v7, v8 offset0:16 offset1:20
	;; [unrolled: 1-line block ×6, first 2 shown]
	ds_write_b32 v70, v17 offset:14336
	v_mov_b32_e32 v9, 0
	v_mov_b32_e32 v1, 0
	;; [unrolled: 1-line block ×27, first 2 shown]
	v_cmp_gt_u32_e32 vcc, s7, v73
	s_mov_b64 s[2:3], 0
	v_mov_b32_e32 v10, 0
	v_mov_b32_e32 v2, 0
	;; [unrolled: 1-line block ×27, first 2 shown]
	s_mov_b64 s[10:11], 0
	s_waitcnt lgkmcnt(0)
	s_barrier
                                        ; implicit-def: $sgpr12_sgpr13
                                        ; implicit-def: $vgpr57
	s_and_saveexec_b64 s[8:9], vcc
	s_cbranch_execz .LBB95_94
; %bb.65:
	ds_read_b32 v1, v72
	v_cmp_ne_u32_e32 vcc, v74, v68
	v_mov_b32_e32 v2, s56
	v_cndmask_b32_e64 v10, 0, 1, vcc
	v_cmp_eq_u32_e32 vcc, v74, v68
	s_waitcnt lgkmcnt(0)
	v_cndmask_b32_e32 v9, v2, v1, vcc
	v_add_u32_e32 v1, 1, v73
	v_cmp_gt_u32_e32 vcc, s7, v1
	v_mov_b32_e32 v1, 0
	v_mov_b32_e32 v3, 0
	;; [unrolled: 1-line block ×50, first 2 shown]
	s_mov_b64 s[14:15], 0
                                        ; implicit-def: $sgpr12_sgpr13
                                        ; implicit-def: $vgpr57
	s_and_saveexec_b64 s[10:11], vcc
	s_cbranch_execz .LBB95_93
; %bb.66:
	ds_read2_b32 v[32:33], v72 offset0:1 offset1:2
	v_cmp_ne_u32_e32 vcc, v68, v69
	v_mov_b32_e32 v1, s56
	v_cndmask_b32_e64 v2, 0, 1, vcc
	v_cmp_eq_u32_e32 vcc, v68, v69
	v_add_u32_e32 v3, 2, v73
	s_waitcnt lgkmcnt(0)
	v_cndmask_b32_e32 v1, v1, v32, vcc
	v_cmp_gt_u32_e32 vcc, s7, v3
	v_mov_b32_e32 v3, 0
	v_mov_b32_e32 v5, 0
	;; [unrolled: 1-line block ×46, first 2 shown]
	s_mov_b64 s[16:17], 0
                                        ; implicit-def: $sgpr12_sgpr13
                                        ; implicit-def: $vgpr57
	s_and_saveexec_b64 s[14:15], vcc
	s_cbranch_execz .LBB95_92
; %bb.67:
	v_mov_b32_e32 v3, s56
	v_cmp_eq_u32_e32 vcc, v69, v66
	v_cndmask_b32_e32 v3, v3, v33, vcc
	v_cmp_ne_u32_e32 vcc, v69, v66
	v_add_u32_e32 v5, 3, v73
	v_cndmask_b32_e64 v4, 0, 1, vcc
	v_cmp_gt_u32_e32 vcc, s7, v5
	v_mov_b32_e32 v5, 0
	v_mov_b32_e32 v7, 0
	;; [unrolled: 1-line block ×42, first 2 shown]
	s_mov_b64 s[18:19], 0
                                        ; implicit-def: $sgpr12_sgpr13
                                        ; implicit-def: $vgpr57
	s_and_saveexec_b64 s[16:17], vcc
	s_cbranch_execz .LBB95_91
; %bb.68:
	ds_read2_b32 v[28:29], v72 offset0:3 offset1:4
	v_cmp_ne_u32_e32 vcc, v66, v67
	v_mov_b32_e32 v5, s56
	v_cndmask_b32_e64 v6, 0, 1, vcc
	v_cmp_eq_u32_e32 vcc, v66, v67
	v_add_u32_e32 v7, 4, v73
	s_waitcnt lgkmcnt(0)
	v_cndmask_b32_e32 v5, v5, v28, vcc
	v_cmp_gt_u32_e32 vcc, s7, v7
	v_mov_b32_e32 v7, 0
	v_mov_b32_e32 v37, 0
	;; [unrolled: 1-line block ×38, first 2 shown]
	s_mov_b64 s[20:21], 0
                                        ; implicit-def: $sgpr12_sgpr13
                                        ; implicit-def: $vgpr57
	s_and_saveexec_b64 s[18:19], vcc
	s_cbranch_execz .LBB95_90
; %bb.69:
	v_mov_b32_e32 v7, s56
	v_cmp_eq_u32_e32 vcc, v67, v64
	v_cndmask_b32_e32 v7, v7, v29, vcc
	v_cmp_ne_u32_e32 vcc, v67, v64
	v_add_u32_e32 v11, 5, v73
	v_cndmask_b32_e64 v8, 0, 1, vcc
	v_cmp_gt_u32_e32 vcc, s7, v11
	v_mov_b32_e32 v37, 0
	v_mov_b32_e32 v39, 0
	;; [unrolled: 1-line block ×34, first 2 shown]
	s_mov_b64 s[22:23], 0
                                        ; implicit-def: $sgpr12_sgpr13
                                        ; implicit-def: $vgpr57
	s_and_saveexec_b64 s[20:21], vcc
	s_cbranch_execz .LBB95_89
; %bb.70:
	ds_read2_b32 v[24:25], v72 offset0:5 offset1:6
	v_cmp_ne_u32_e32 vcc, v64, v65
	v_mov_b32_e32 v11, s56
	v_cndmask_b32_e64 v38, 0, 1, vcc
	v_cmp_eq_u32_e32 vcc, v64, v65
	s_waitcnt lgkmcnt(0)
	v_cndmask_b32_e32 v37, v11, v24, vcc
	v_add_u32_e32 v11, 6, v73
	v_cmp_gt_u32_e32 vcc, s7, v11
	v_mov_b32_e32 v39, 0
	v_mov_b32_e32 v41, 0
	;; [unrolled: 1-line block ×30, first 2 shown]
	s_mov_b64 s[24:25], 0
                                        ; implicit-def: $sgpr12_sgpr13
                                        ; implicit-def: $vgpr57
	s_and_saveexec_b64 s[22:23], vcc
	s_cbranch_execz .LBB95_88
; %bb.71:
	v_mov_b32_e32 v11, s56
	v_cmp_eq_u32_e32 vcc, v65, v62
	v_cndmask_b32_e32 v39, v11, v25, vcc
	v_cmp_ne_u32_e32 vcc, v65, v62
	v_add_u32_e32 v11, 7, v73
	v_cndmask_b32_e64 v40, 0, 1, vcc
	v_cmp_gt_u32_e32 vcc, s7, v11
	v_mov_b32_e32 v41, 0
	v_mov_b32_e32 v43, 0
	v_mov_b32_e32 v45, 0
	v_mov_b32_e32 v47, 0
	v_mov_b32_e32 v49, 0
	v_mov_b32_e32 v51, 0
	v_mov_b32_e32 v55, 0
	v_mov_b32_e32 v21, 0
	v_mov_b32_e32 v19, 0
	v_mov_b32_e32 v17, 0
	v_mov_b32_e32 v15, 0
	v_mov_b32_e32 v13, 0
	v_mov_b32_e32 v11, 0
	v_mov_b32_e32 v42, 0
	v_mov_b32_e32 v44, 0
	v_mov_b32_e32 v46, 0
	v_mov_b32_e32 v48, 0
	v_mov_b32_e32 v50, 0
	v_mov_b32_e32 v52, 0
	v_mov_b32_e32 v56, 0
	v_mov_b32_e32 v22, 0
	v_mov_b32_e32 v20, 0
	v_mov_b32_e32 v18, 0
	v_mov_b32_e32 v16, 0
	v_mov_b32_e32 v14, 0
	v_mov_b32_e32 v12, 0
	s_mov_b64 s[26:27], 0
                                        ; implicit-def: $sgpr12_sgpr13
                                        ; implicit-def: $vgpr57
	s_and_saveexec_b64 s[24:25], vcc
	s_cbranch_execz .LBB95_87
; %bb.72:
	ds_read2_b32 v[20:21], v72 offset0:7 offset1:8
	v_cmp_ne_u32_e32 vcc, v62, v63
	v_mov_b32_e32 v11, s56
	v_cndmask_b32_e64 v42, 0, 1, vcc
	v_cmp_eq_u32_e32 vcc, v62, v63
	s_waitcnt lgkmcnt(0)
	v_cndmask_b32_e32 v41, v11, v20, vcc
	v_add_u32_e32 v11, 8, v73
	v_cmp_gt_u32_e32 vcc, s7, v11
	v_mov_b32_e32 v43, 0
	v_mov_b32_e32 v45, 0
	;; [unrolled: 1-line block ×22, first 2 shown]
	s_mov_b64 s[28:29], 0
                                        ; implicit-def: $sgpr12_sgpr13
                                        ; implicit-def: $vgpr57
	s_and_saveexec_b64 s[26:27], vcc
	s_cbranch_execz .LBB95_86
; %bb.73:
	v_mov_b32_e32 v11, s56
	v_cmp_eq_u32_e32 vcc, v63, v60
	v_cndmask_b32_e32 v43, v11, v21, vcc
	v_cmp_ne_u32_e32 vcc, v63, v60
	v_add_u32_e32 v11, 9, v73
	v_cndmask_b32_e64 v44, 0, 1, vcc
	v_cmp_gt_u32_e32 vcc, s7, v11
	v_mov_b32_e32 v45, 0
	v_mov_b32_e32 v47, 0
	;; [unrolled: 1-line block ×18, first 2 shown]
	s_mov_b64 s[30:31], 0
                                        ; implicit-def: $sgpr12_sgpr13
                                        ; implicit-def: $vgpr57
	s_and_saveexec_b64 s[28:29], vcc
	s_cbranch_execz .LBB95_85
; %bb.74:
	ds_read2_b32 v[16:17], v72 offset0:9 offset1:10
	v_cmp_ne_u32_e32 vcc, v60, v61
	v_mov_b32_e32 v11, s56
	v_cndmask_b32_e64 v46, 0, 1, vcc
	v_cmp_eq_u32_e32 vcc, v60, v61
	s_waitcnt lgkmcnt(0)
	v_cndmask_b32_e32 v45, v11, v16, vcc
	v_add_u32_e32 v11, 10, v73
	v_cmp_gt_u32_e32 vcc, s7, v11
	v_mov_b32_e32 v47, 0
	v_mov_b32_e32 v49, 0
	;; [unrolled: 1-line block ×14, first 2 shown]
	s_mov_b64 s[34:35], 0
                                        ; implicit-def: $sgpr12_sgpr13
                                        ; implicit-def: $vgpr57
	s_and_saveexec_b64 s[30:31], vcc
	s_cbranch_execz .LBB95_84
; %bb.75:
	v_mov_b32_e32 v11, s56
	v_cmp_eq_u32_e32 vcc, v61, v58
	v_cndmask_b32_e32 v47, v11, v17, vcc
	v_cmp_ne_u32_e32 vcc, v61, v58
	v_add_u32_e32 v11, 11, v73
	v_cndmask_b32_e64 v48, 0, 1, vcc
	v_cmp_gt_u32_e32 vcc, s7, v11
	v_mov_b32_e32 v49, 0
	v_mov_b32_e32 v51, 0
	;; [unrolled: 1-line block ×10, first 2 shown]
	s_mov_b64 s[36:37], 0
                                        ; implicit-def: $sgpr12_sgpr13
                                        ; implicit-def: $vgpr57
	s_and_saveexec_b64 s[34:35], vcc
	s_cbranch_execz .LBB95_83
; %bb.76:
	ds_read2_b32 v[12:13], v72 offset0:11 offset1:12
	v_cmp_ne_u32_e32 vcc, v58, v59
	v_mov_b32_e32 v11, s56
	v_cndmask_b32_e64 v50, 0, 1, vcc
	v_cmp_eq_u32_e32 vcc, v58, v59
	s_waitcnt lgkmcnt(0)
	v_cndmask_b32_e32 v49, v11, v12, vcc
	v_add_u32_e32 v11, 12, v73
	v_cmp_gt_u32_e32 vcc, s7, v11
	v_mov_b32_e32 v51, 0
	v_mov_b32_e32 v55, 0
	;; [unrolled: 1-line block ×6, first 2 shown]
	s_mov_b64 s[42:43], 0
                                        ; implicit-def: $sgpr12_sgpr13
                                        ; implicit-def: $vgpr57
	s_and_saveexec_b64 s[36:37], vcc
	s_cbranch_execz .LBB95_82
; %bb.77:
	v_mov_b32_e32 v11, s56
	v_cmp_eq_u32_e32 vcc, v59, v53
	v_cndmask_b32_e32 v51, v11, v13, vcc
	v_cmp_ne_u32_e32 vcc, v59, v53
	v_add_u32_e32 v11, 13, v73
	v_mov_b32_e32 v55, 0
	v_cndmask_b32_e64 v52, 0, 1, vcc
	v_cmp_gt_u32_e32 vcc, s7, v11
	v_mov_b32_e32 v56, 0
	s_mov_b64 s[48:49], 0
                                        ; implicit-def: $sgpr12_sgpr13
                                        ; implicit-def: $vgpr57
	s_and_saveexec_b64 s[42:43], vcc
	s_cbranch_execz .LBB95_81
; %bb.78:
	ds_read2_b32 v[11:12], v72 offset0:13 offset1:14
	v_cmp_ne_u32_e32 vcc, v53, v54
	v_mov_b32_e32 v13, s56
	v_cndmask_b32_e64 v56, 0, 1, vcc
	v_cmp_eq_u32_e32 vcc, v53, v54
	s_waitcnt lgkmcnt(0)
	v_cndmask_b32_e32 v55, v13, v11, vcc
	v_add_u32_e32 v11, 14, v73
	v_cmp_gt_u32_e32 vcc, s7, v11
                                        ; implicit-def: $sgpr12_sgpr13
                                        ; implicit-def: $vgpr57
	s_and_saveexec_b64 s[50:51], vcc
	s_xor_b64 s[50:51], exec, s[50:51]
; %bb.79:
	v_mov_b32_e32 v11, s56
	v_cmp_ne_u32_e64 s[12:13], v54, v71
	s_mov_b64 s[48:49], exec
	v_cndmask_b32_e64 v57, v12, v11, s[12:13]
; %bb.80:
	s_or_b64 exec, exec, s[50:51]
	s_and_b64 s[48:49], s[48:49], exec
.LBB95_81:
	s_or_b64 exec, exec, s[42:43]
	v_mov_b32_e32 v11, v55
	s_and_b64 s[42:43], s[48:49], exec
	v_mov_b32_e32 v12, v56
.LBB95_82:
	s_or_b64 exec, exec, s[36:37]
	v_mov_b32_e32 v13, v51
	s_and_b64 s[36:37], s[42:43], exec
	v_mov_b32_e32 v14, v52
.LBB95_83:
	s_or_b64 exec, exec, s[34:35]
	v_mov_b32_e32 v15, v49
	s_and_b64 s[34:35], s[36:37], exec
	v_mov_b32_e32 v16, v50
.LBB95_84:
	s_or_b64 exec, exec, s[30:31]
	v_mov_b32_e32 v17, v47
	s_and_b64 s[30:31], s[34:35], exec
	v_mov_b32_e32 v18, v48
.LBB95_85:
	s_or_b64 exec, exec, s[28:29]
	v_mov_b32_e32 v19, v45
	s_and_b64 s[28:29], s[30:31], exec
	v_mov_b32_e32 v20, v46
.LBB95_86:
	s_or_b64 exec, exec, s[26:27]
	v_mov_b32_e32 v21, v43
	s_and_b64 s[26:27], s[28:29], exec
	v_mov_b32_e32 v22, v44
.LBB95_87:
	s_or_b64 exec, exec, s[24:25]
	v_mov_b32_e32 v23, v41
	s_and_b64 s[24:25], s[26:27], exec
	v_mov_b32_e32 v24, v42
.LBB95_88:
	s_or_b64 exec, exec, s[22:23]
	v_mov_b32_e32 v25, v39
	s_and_b64 s[22:23], s[24:25], exec
	v_mov_b32_e32 v26, v40
.LBB95_89:
	s_or_b64 exec, exec, s[20:21]
	v_mov_b32_e32 v27, v37
	s_and_b64 s[20:21], s[22:23], exec
	v_mov_b32_e32 v28, v38
.LBB95_90:
	s_or_b64 exec, exec, s[18:19]
	v_mov_b32_e32 v30, v8
	s_and_b64 s[18:19], s[20:21], exec
	v_mov_b32_e32 v29, v7
.LBB95_91:
	s_or_b64 exec, exec, s[16:17]
	v_mov_b32_e32 v32, v6
	s_and_b64 s[16:17], s[18:19], exec
	v_mov_b32_e32 v31, v5
.LBB95_92:
	s_or_b64 exec, exec, s[14:15]
	v_mov_b32_e32 v34, v4
	s_and_b64 s[14:15], s[16:17], exec
	v_mov_b32_e32 v33, v3
.LBB95_93:
	s_or_b64 exec, exec, s[10:11]
	v_mov_b32_e32 v36, v2
	s_and_b64 s[10:11], s[14:15], exec
	v_mov_b32_e32 v35, v1
.LBB95_94:
	s_or_b64 exec, exec, s[8:9]
	s_and_b64 vcc, exec, s[2:3]
	s_cbranch_vccz .LBB95_100
.LBB95_95:
	v_mov_b32_e32 v1, s41
	v_add_co_u32_e32 v5, vcc, s40, v70
	v_addc_co_u32_e32 v6, vcc, 0, v1, vcc
	v_add_co_u32_e32 v1, vcc, 0x1000, v5
	v_addc_co_u32_e32 v2, vcc, 0, v6, vcc
	;; [unrolled: 2-line block ×3, first 2 shown]
	global_load_dword v7, v70, s[40:41]
	global_load_dword v8, v70, s[40:41] offset:1024
	global_load_dword v9, v70, s[40:41] offset:2048
	;; [unrolled: 1-line block ×3, first 2 shown]
	global_load_dword v11, v[1:2], off
	global_load_dword v12, v[1:2], off offset:1024
	global_load_dword v13, v[1:2], off offset:2048
	;; [unrolled: 1-line block ×3, first 2 shown]
	global_load_dword v15, v[3:4], off
	global_load_dword v16, v[3:4], off offset:1024
	global_load_dword v17, v[3:4], off offset:2048
	;; [unrolled: 1-line block ×3, first 2 shown]
	v_add_co_u32_e32 v1, vcc, 0x3000, v5
	v_addc_co_u32_e32 v2, vcc, 0, v6, vcc
	global_load_dword v3, v[1:2], off
	global_load_dword v4, v[1:2], off offset:1024
	global_load_dword v5, v[1:2], off offset:2048
	v_mad_u32_u24 v1, v0, 56, v70
	s_movk_i32 s2, 0xffc8
	v_mad_i32_i24 v6, v0, s2, v1
	s_movk_i32 s3, 0xff
	s_movk_i32 s9, 0x1000
	s_movk_i32 s8, 0x2000
	s_movk_i32 s7, 0x3000
	v_cmp_ne_u32_e32 vcc, s3, v0
	s_waitcnt vmcnt(13)
	ds_write2st64_b32 v70, v7, v8 offset1:4
	s_waitcnt vmcnt(11)
	ds_write2st64_b32 v70, v9, v10 offset0:8 offset1:12
	s_waitcnt vmcnt(9)
	ds_write2st64_b32 v70, v11, v12 offset0:16 offset1:20
	;; [unrolled: 2-line block ×6, first 2 shown]
	s_waitcnt vmcnt(0)
	ds_write_b32 v70, v5 offset:14336
	s_waitcnt lgkmcnt(0)
	s_barrier
	ds_read_b32 v2, v1
	ds_read2_b32 v[3:4], v1 offset0:1 offset1:2
	ds_read2_b32 v[7:8], v1 offset0:3 offset1:4
	;; [unrolled: 1-line block ×7, first 2 shown]
	s_load_dword s2, s[40:41], 0x3c00
	s_waitcnt lgkmcnt(0)
	ds_write_b32 v6, v2 offset:16384
	s_waitcnt lgkmcnt(0)
	s_barrier
	v_mov_b32_e32 v33, s2
	s_and_saveexec_b64 s[2:3], vcc
; %bb.96:
	v_mul_i32_i24_e32 v5, 0xffffffc8, v0
	v_add_u32_e32 v5, v1, v5
	ds_read_b32 v33, v5 offset:16388
; %bb.97:
	s_or_b64 exec, exec, s[2:3]
	v_mov_b32_e32 v5, s39
	v_add_co_u32_e32 v21, vcc, s38, v70
	v_addc_co_u32_e32 v22, vcc, 0, v5, vcc
	v_add_co_u32_e32 v5, vcc, s9, v21
	v_addc_co_u32_e32 v6, vcc, 0, v22, vcc
	;; [unrolled: 2-line block ×3, first 2 shown]
	v_add_co_u32_e32 v21, vcc, s7, v21
	s_waitcnt lgkmcnt(0)
	s_barrier
	global_load_dword v23, v70, s[38:39]
	global_load_dword v24, v70, s[38:39] offset:1024
	global_load_dword v25, v70, s[38:39] offset:2048
	;; [unrolled: 1-line block ×3, first 2 shown]
	global_load_dword v27, v[9:10], off offset:1024
	global_load_dword v28, v[9:10], off offset:2048
	global_load_dword v29, v[9:10], off offset:3072
	v_addc_co_u32_e32 v22, vcc, 0, v22, vcc
	global_load_dword v30, v[5:6], off offset:1024
	global_load_dword v31, v[5:6], off offset:2048
	;; [unrolled: 1-line block ×3, first 2 shown]
	global_load_dword v34, v[9:10], off offset:-4096
	global_load_dword v35, v[9:10], off
	global_load_dword v36, v[21:22], off
	global_load_dword v37, v[21:22], off offset:1024
	global_load_dword v38, v[21:22], off offset:2048
	v_cmp_eq_u32_e32 vcc, v2, v3
	v_mov_b32_e32 v9, 0
	v_mov_b32_e32 v10, 1
	;; [unrolled: 1-line block ×3, first 2 shown]
	s_waitcnt vmcnt(13)
	ds_write2st64_b32 v70, v23, v24 offset1:4
	s_waitcnt vmcnt(11)
	ds_write2st64_b32 v70, v25, v26 offset0:8 offset1:12
	s_waitcnt vmcnt(5)
	ds_write2st64_b32 v70, v31, v32 offset0:24 offset1:28
	;; [unrolled: 2-line block ×4, first 2 shown]
	ds_write2st64_b32 v70, v28, v29 offset0:40 offset1:44
	s_waitcnt vmcnt(1)
	ds_write2st64_b32 v70, v36, v37 offset0:48 offset1:52
	s_waitcnt vmcnt(0)
	ds_write_b32 v70, v38 offset:14336
	s_waitcnt lgkmcnt(0)
	s_barrier
	ds_read2_b32 v[5:6], v1 offset0:1 offset1:2
	ds_read2_b32 v[31:32], v1 offset0:3 offset1:4
	;; [unrolled: 1-line block ×7, first 2 shown]
	s_and_saveexec_b64 s[2:3], vcc
; %bb.98:
	ds_read_b32 v2, v1
	v_mov_b32_e32 v9, 0
	v_mov_b32_e32 v10, 0
; %bb.99:
	s_or_b64 exec, exec, s[2:3]
	v_mov_b32_e32 v34, s56
	v_cmp_eq_u32_e32 vcc, v3, v4
	s_waitcnt lgkmcnt(6)
	v_cndmask_b32_e32 v1, v34, v5, vcc
	v_cmp_ne_u32_e32 vcc, v3, v4
	s_waitcnt lgkmcnt(0)
	v_or_b32_e32 v9, v9, v2
	v_cndmask_b32_e64 v2, 0, 1, vcc
	v_cmp_eq_u32_e32 vcc, v4, v7
	v_cndmask_b32_e32 v3, v34, v6, vcc
	v_cmp_ne_u32_e32 vcc, v4, v7
	v_cndmask_b32_e64 v4, 0, 1, vcc
	v_cmp_eq_u32_e32 vcc, v7, v8
	v_cndmask_b32_e32 v5, v34, v31, vcc
	v_cmp_ne_u32_e32 vcc, v7, v8
	;; [unrolled: 4-line block ×12, first 2 shown]
	v_cmp_ne_u32_e64 s[12:13], v12, v33
	v_cndmask_b32_e64 v56, 0, 1, vcc
	v_cndmask_b32_e64 v57, v22, v34, s[12:13]
	v_mov_b32_e32 v36, v2
	v_mov_b32_e32 v34, v4
	;; [unrolled: 1-line block ×13, first 2 shown]
	s_mov_b64 s[10:11], -1
	v_mov_b32_e32 v35, v1
	v_mov_b32_e32 v33, v3
	;; [unrolled: 1-line block ×13, first 2 shown]
.LBB95_100:
	v_mov_b32_e32 v53, 0
	v_mov_b32_e32 v54, 0
	s_and_saveexec_b64 s[2:3], s[10:11]
	s_cbranch_execz .LBB95_102
; %bb.101:
	v_cndmask_b32_e64 v58, 0, 1, s[12:13]
	v_mov_b32_e32 v53, v57
	v_mov_b32_e32 v11, v55
	;; [unrolled: 1-line block ×28, first 2 shown]
.LBB95_102:
	s_or_b64 exec, exec, s[2:3]
	s_mov_b32 s30, 0
	s_cmp_lg_u32 s6, 0
	v_or_b32_e32 v43, v24, v22
	v_or3_b32 v42, v12, v54, v14
	v_lshrrev_b32_e32 v41, 2, v0
	v_cmp_gt_u32_e32 vcc, 64, v0
	s_barrier
	s_cbranch_scc0 .LBB95_132
; %bb.103:
	s_mov_b32 s31, 1
	v_cmp_gt_u64_e64 s[2:3], s[30:31], v[35:36]
	v_cmp_gt_u64_e64 s[40:41], s[30:31], v[33:34]
	v_cndmask_b32_e64 v1, 0, v9, s[2:3]
	v_add_u32_e32 v1, v1, v35
	v_cndmask_b32_e64 v1, 0, v1, s[40:41]
	v_cmp_gt_u64_e64 s[8:9], s[30:31], v[31:32]
	v_add_u32_e32 v1, v1, v33
	v_cndmask_b32_e64 v1, 0, v1, s[8:9]
	v_cmp_gt_u64_e64 s[10:11], s[30:31], v[29:30]
	v_add_u32_e32 v1, v1, v31
	v_cndmask_b32_e64 v1, 0, v1, s[10:11]
	v_cmp_gt_u64_e64 s[12:13], s[30:31], v[27:28]
	v_add_u32_e32 v1, v1, v29
	v_cndmask_b32_e64 v1, 0, v1, s[12:13]
	v_cmp_gt_u64_e64 s[14:15], s[30:31], v[25:26]
	v_add_u32_e32 v1, v1, v27
	v_cndmask_b32_e64 v1, 0, v1, s[14:15]
	v_cmp_gt_u64_e64 s[16:17], s[30:31], v[23:24]
	v_add_u32_e32 v1, v1, v25
	v_cndmask_b32_e64 v1, 0, v1, s[16:17]
	v_cmp_gt_u64_e64 s[18:19], s[30:31], v[21:22]
	v_add_u32_e32 v1, v1, v23
	v_cndmask_b32_e64 v1, 0, v1, s[18:19]
	v_cmp_gt_u64_e64 s[20:21], s[30:31], v[19:20]
	v_add_u32_e32 v1, v1, v21
	v_cndmask_b32_e64 v1, 0, v1, s[20:21]
	v_cmp_gt_u64_e64 s[22:23], s[30:31], v[17:18]
	v_add_u32_e32 v1, v1, v19
	v_cndmask_b32_e64 v1, 0, v1, s[22:23]
	v_cmp_gt_u64_e64 s[24:25], s[30:31], v[15:16]
	v_add_u32_e32 v1, v1, v17
	v_cndmask_b32_e64 v1, 0, v1, s[24:25]
	v_cmp_gt_u64_e64 s[26:27], s[30:31], v[13:14]
	v_add_u32_e32 v1, v1, v15
	v_cndmask_b32_e64 v1, 0, v1, s[26:27]
	v_cmp_gt_u64_e64 s[28:29], s[30:31], v[11:12]
	v_add_u32_e32 v1, v1, v13
	v_cndmask_b32_e64 v1, 0, v1, s[28:29]
	v_cmp_gt_u64_e64 s[30:31], s[30:31], v[53:54]
	v_or3_b32 v2, v43, v26, v28
	v_add_u32_e32 v1, v1, v11
	v_or3_b32 v2, v2, v30, v32
	v_cndmask_b32_e64 v1, 0, v1, s[30:31]
	v_or3_b32 v2, v2, v34, v36
	v_add_u32_e32 v44, v1, v53
	v_or3_b32 v1, v42, v16, v18
	v_or3_b32 v1, v1, v20, v2
	v_and_b32_e32 v2, 0xff, v1
	v_mov_b32_e32 v1, 0
	v_cmp_eq_u64_e64 s[30:31], 0, v[1:2]
	v_and_b32_e32 v1, 56, v41
	v_cndmask_b32_e64 v45, 1, v10, s[30:31]
	v_lshl_add_u32 v1, v0, 3, v1
	ds_write_b32 v1, v44
	ds_write_b8 v1, v45 offset:4
	s_waitcnt lgkmcnt(0)
	s_barrier
	s_and_saveexec_b64 s[48:49], vcc
	s_cbranch_execz .LBB95_115
; %bb.104:
	v_and_b32_e32 v1, 0xf8, v0
	v_lshlrev_b32_e32 v2, 5, v0
	v_add_u32_e32 v5, v1, v2
	ds_read2_b32 v[1:2], v5 offset0:2 offset1:4
	ds_read_b64 v[3:4], v5
	ds_read_u8 v40, v5 offset:12
	ds_read_u8 v8, v5 offset:20
	ds_read_b32 v6, v5 offset:24
	ds_read_u8 v37, v5 offset:28
	s_waitcnt lgkmcnt(4)
	v_and_b32_e32 v7, 1, v4
	s_waitcnt lgkmcnt(3)
	v_cmp_eq_u16_e64 s[36:37], 0, v40
	s_waitcnt lgkmcnt(2)
	v_or_b32_e32 v39, v8, v40
	v_cndmask_b32_e64 v38, 0, v3, s[36:37]
	v_cmp_eq_u16_e64 s[34:35], 0, v39
	v_add_u32_e32 v38, v38, v1
	v_cmp_eq_u16_e64 s[30:31], 0, v8
	v_cndmask_b32_e64 v39, 1, v7, s[34:35]
	s_waitcnt lgkmcnt(0)
	v_cmp_eq_u16_e64 s[34:35], 0, v37
	v_and_b32_e32 v37, 1, v37
	v_cndmask_b32_e64 v38, 0, v38, s[30:31]
	v_cmp_eq_u32_e64 s[38:39], 1, v37
	v_add_u32_e32 v38, v38, v2
	v_cndmask_b32_e64 v46, v39, 1, s[38:39]
	v_mbcnt_lo_u32_b32 v39, -1, 0
	v_cndmask_b32_e64 v38, 0, v38, s[34:35]
	v_and_b32_e32 v37, 0xffffff00, v4
	v_mbcnt_hi_u32_b32 v39, -1, v39
	v_add_u32_e32 v38, v38, v6
	v_and_b32_e32 v49, 15, v39
	v_or_b32_sdwa v47, v37, v46 dst_sel:DWORD dst_unused:UNUSED_PAD src0_sel:DWORD src1_sel:WORD_0
	v_mov_b32_dpp v48, v38 row_shr:1 row_mask:0xf bank_mask:0xf
	v_cmp_ne_u32_e64 s[42:43], 0, v49
	v_mov_b32_dpp v50, v47 row_shr:1 row_mask:0xf bank_mask:0xf
	s_and_saveexec_b64 s[50:51], s[42:43]
; %bb.105:
	v_and_b32_e32 v47, 1, v46
	v_and_b32_e32 v50, 1, v50
	v_cmp_eq_u32_e64 s[42:43], 1, v47
	v_cndmask_b32_e64 v50, v50, 1, s[42:43]
	v_cmp_eq_u16_e64 s[42:43], 0, v46
	v_cndmask_b32_e64 v46, 0, v48, s[42:43]
	v_add_u32_e32 v38, v46, v38
	v_or_b32_sdwa v47, v37, v50 dst_sel:DWORD dst_unused:UNUSED_PAD src0_sel:DWORD src1_sel:WORD_0
	v_mov_b32_e32 v46, v50
; %bb.106:
	s_or_b64 exec, exec, s[50:51]
	v_mov_b32_dpp v50, v38 row_shr:2 row_mask:0xf bank_mask:0xf
	v_mov_b32_dpp v51, v47 row_shr:2 row_mask:0xf bank_mask:0xf
	v_cmp_lt_u32_e64 s[42:43], 1, v49
	v_mov_b32_e32 v48, v47
	s_and_saveexec_b64 s[50:51], s[42:43]
	s_cbranch_execz .LBB95_108
; %bb.107:
	v_and_b32_e32 v46, 1, v47
	v_and_b32_e32 v48, 1, v51
	v_cmp_eq_u32_e64 s[42:43], 1, v46
	v_cndmask_b32_e64 v46, v48, 1, s[42:43]
	v_mov_b32_e32 v48, 0
	v_cmp_eq_u16_sdwa s[42:43], v47, v48 src0_sel:BYTE_0 src1_sel:DWORD
	v_cndmask_b32_e64 v47, 0, v50, s[42:43]
	v_add_u32_e32 v38, v47, v38
	v_or_b32_sdwa v47, v37, v46 dst_sel:DWORD dst_unused:UNUSED_PAD src0_sel:DWORD src1_sel:WORD_0
	v_mov_b32_e32 v48, v46
.LBB95_108:
	s_or_b64 exec, exec, s[50:51]
	v_mov_b32_dpp v50, v38 row_shr:4 row_mask:0xf bank_mask:0xf
	v_mov_b32_dpp v51, v47 row_shr:4 row_mask:0xf bank_mask:0xf
	v_cmp_lt_u32_e64 s[42:43], 3, v49
	s_and_saveexec_b64 s[50:51], s[42:43]
	s_cbranch_execz .LBB95_110
; %bb.109:
	v_and_b32_e32 v46, 1, v48
	v_and_b32_e32 v47, 1, v51
	v_cmp_eq_u32_e64 s[42:43], 1, v46
	v_cndmask_b32_e64 v46, v47, 1, s[42:43]
	v_mov_b32_e32 v47, 0
	v_cmp_eq_u16_sdwa s[42:43], v48, v47 src0_sel:BYTE_0 src1_sel:DWORD
	v_cndmask_b32_e64 v47, 0, v50, s[42:43]
	v_add_u32_e32 v38, v47, v38
	v_or_b32_sdwa v47, v37, v46 dst_sel:DWORD dst_unused:UNUSED_PAD src0_sel:DWORD src1_sel:WORD_0
	v_mov_b32_e32 v48, v46
.LBB95_110:
	s_or_b64 exec, exec, s[50:51]
	v_mov_b32_dpp v50, v38 row_shr:8 row_mask:0xf bank_mask:0xf
	v_mov_b32_dpp v51, v47 row_shr:8 row_mask:0xf bank_mask:0xf
	v_cmp_lt_u32_e64 s[42:43], 7, v49
	s_and_saveexec_b64 s[50:51], s[42:43]
	s_cbranch_execz .LBB95_112
; %bb.111:
	v_and_b32_e32 v46, 1, v48
	v_and_b32_e32 v47, 1, v51
	v_cmp_eq_u32_e64 s[42:43], 1, v46
	v_cndmask_b32_e64 v46, v47, 1, s[42:43]
	v_mov_b32_e32 v47, 0
	v_cmp_eq_u16_sdwa s[42:43], v48, v47 src0_sel:BYTE_0 src1_sel:DWORD
	v_cndmask_b32_e64 v47, 0, v50, s[42:43]
	v_add_u32_e32 v38, v47, v38
	v_or_b32_sdwa v47, v37, v46 dst_sel:DWORD dst_unused:UNUSED_PAD src0_sel:DWORD src1_sel:WORD_0
	v_mov_b32_e32 v48, v46
.LBB95_112:
	s_or_b64 exec, exec, s[50:51]
	v_and_b32_e32 v51, 16, v39
	v_mov_b32_dpp v49, v38 row_bcast:15 row_mask:0xf bank_mask:0xf
	v_mov_b32_dpp v50, v47 row_bcast:15 row_mask:0xf bank_mask:0xf
	v_cmp_ne_u32_e64 s[42:43], 0, v51
	s_and_saveexec_b64 s[50:51], s[42:43]
	s_cbranch_execz .LBB95_114
; %bb.113:
	v_and_b32_e32 v46, 1, v48
	v_and_b32_e32 v47, 1, v50
	v_cmp_eq_u32_e64 s[42:43], 1, v46
	v_cndmask_b32_e64 v46, v47, 1, s[42:43]
	v_mov_b32_e32 v47, 0
	v_cmp_eq_u16_sdwa s[42:43], v48, v47 src0_sel:BYTE_0 src1_sel:DWORD
	v_cndmask_b32_e64 v47, 0, v49, s[42:43]
	v_add_u32_e32 v38, v47, v38
	v_or_b32_sdwa v47, v37, v46 dst_sel:DWORD dst_unused:UNUSED_PAD src0_sel:DWORD src1_sel:WORD_0
	v_mov_b32_e32 v48, v46
.LBB95_114:
	s_or_b64 exec, exec, s[50:51]
	v_mov_b32_dpp v47, v47 row_bcast:31 row_mask:0xf bank_mask:0xf
	v_and_b32_e32 v50, 1, v48
	v_and_b32_e32 v47, 1, v47
	v_cmp_eq_u32_e64 s[42:43], 1, v50
	v_mov_b32_e32 v50, 0
	v_cndmask_b32_e64 v47, v47, 1, s[42:43]
	v_cmp_eq_u16_sdwa s[50:51], v48, v50 src0_sel:BYTE_0 src1_sel:DWORD
	v_cmp_lt_u32_e64 s[42:43], 31, v39
	v_mov_b32_dpp v49, v38 row_bcast:31 row_mask:0xf bank_mask:0xf
	v_cndmask_b32_e64 v46, v46, v47, s[42:43]
	s_and_b64 s[42:43], s[42:43], s[50:51]
	v_cndmask_b32_e64 v47, 0, v49, s[42:43]
	v_add_u32_e32 v38, v47, v38
	v_add_u32_e32 v47, -1, v39
	v_and_b32_e32 v48, 64, v39
	v_cmp_lt_i32_e64 s[42:43], v47, v48
	v_cndmask_b32_e64 v39, v47, v39, s[42:43]
	v_lshlrev_b32_e32 v39, 2, v39
	ds_bpermute_b32 v38, v39, v38
	v_or_b32_sdwa v37, v37, v46 dst_sel:DWORD dst_unused:UNUSED_PAD src0_sel:DWORD src1_sel:WORD_0
	ds_bpermute_b32 v37, v39, v37
	v_cmp_eq_u16_sdwa s[42:43], v4, v50 src0_sel:BYTE_0 src1_sel:DWORD
	v_and_b32_e32 v40, 1, v40
	s_waitcnt lgkmcnt(1)
	v_cndmask_b32_e64 v4, 0, v38, s[42:43]
	v_add_u32_e32 v3, v4, v3
	s_waitcnt lgkmcnt(0)
	v_and_b32_e32 v4, 1, v37
	v_cmp_eq_u32_e64 s[42:43], 1, v7
	v_cndmask_b32_e64 v4, v4, 1, s[42:43]
	v_cmp_eq_u32_e64 s[42:43], 0, v0
	v_cndmask_b32_e64 v3, v3, v44, s[42:43]
	v_cndmask_b32_e64 v7, 0, v3, s[36:37]
	;; [unrolled: 1-line block ×3, first 2 shown]
	v_add_u32_e32 v1, v7, v1
	v_cmp_eq_u32_e64 s[36:37], 1, v40
	ds_write_b8 v5, v4 offset:4
	v_cndmask_b32_e64 v4, v4, 1, s[36:37]
	ds_write2_b32 v5, v3, v1 offset1:2
	ds_write_b8 v5, v4 offset:12
	v_cndmask_b32_e64 v1, 0, v1, s[30:31]
	v_and_b32_e32 v8, 1, v8
	v_add_u32_e32 v1, v1, v2
	v_cmp_eq_u32_e64 s[30:31], 1, v8
	v_cndmask_b32_e64 v3, 0, v1, s[34:35]
	v_cndmask_b32_e64 v2, v4, 1, s[30:31]
	v_add_u32_e32 v3, v3, v6
	ds_write_b8 v5, v2 offset:20
	v_cndmask_b32_e64 v2, v2, 1, s[38:39]
	ds_write2_b32 v5, v1, v3 offset0:4 offset1:6
	ds_write_b8 v5, v2 offset:28
.LBB95_115:
	s_or_b64 exec, exec, s[48:49]
	v_cmp_eq_u32_e64 s[30:31], 0, v0
	v_cmp_ne_u32_e64 s[34:35], 0, v0
	s_waitcnt lgkmcnt(0)
	s_barrier
	s_and_saveexec_b64 s[36:37], s[34:35]
	s_cbranch_execz .LBB95_117
; %bb.116:
	v_add_u32_e32 v1, -1, v0
	v_lshrrev_b32_e32 v2, 2, v1
	v_and_b32_e32 v2, 0x3ffffff8, v2
	v_lshl_add_u32 v1, v1, 3, v2
	ds_read_b32 v44, v1
	ds_read_u8 v45, v1 offset:4
.LBB95_117:
	s_or_b64 exec, exec, s[36:37]
	s_and_saveexec_b64 s[36:37], vcc
	s_cbranch_execz .LBB95_137
; %bb.118:
	v_mov_b32_e32 v4, 0
	ds_read_b64 v[1:2], v4 offset:2096
	v_mbcnt_lo_u32_b32 v3, -1, 0
	v_mbcnt_hi_u32_b32 v40, -1, v3
	s_mov_b32 s43, 0
	v_cmp_eq_u32_e64 s[34:35], 0, v40
	s_and_saveexec_b64 s[38:39], s[34:35]
	s_cbranch_execz .LBB95_120
; %bb.119:
	s_add_i32 s42, s6, 64
	s_lshl_b64 s[42:43], s[42:43], 4
	s_add_u32 s42, s44, s42
	s_addc_u32 s43, s45, s43
	v_mov_b32_e32 v5, s42
	v_mov_b32_e32 v3, 1
	;; [unrolled: 1-line block ×3, first 2 shown]
	s_waitcnt lgkmcnt(0)
	;;#ASMSTART
	global_store_dwordx4 v[5:6], v[1:4] off	
s_waitcnt vmcnt(0)
	;;#ASMEND
.LBB95_120:
	s_or_b64 exec, exec, s[38:39]
	v_xad_u32 v37, v40, -1, s6
	v_add_u32_e32 v3, 64, v37
	v_lshlrev_b64 v[5:6], 4, v[3:4]
	v_mov_b32_e32 v3, s45
	v_add_co_u32_e32 v38, vcc, s44, v5
	v_addc_co_u32_e32 v39, vcc, v3, v6, vcc
	;;#ASMSTART
	global_load_dwordx4 v[5:8], v[38:39] off glc	
s_waitcnt vmcnt(0)
	;;#ASMEND
	v_cmp_eq_u16_sdwa s[42:43], v7, v4 src0_sel:BYTE_0 src1_sel:DWORD
	s_and_saveexec_b64 s[38:39], s[42:43]
	s_cbranch_execz .LBB95_124
; %bb.121:
	s_mov_b64 s[42:43], 0
	v_mov_b32_e32 v3, 0
.LBB95_122:                             ; =>This Inner Loop Header: Depth=1
	;;#ASMSTART
	global_load_dwordx4 v[5:8], v[38:39] off glc	
s_waitcnt vmcnt(0)
	;;#ASMEND
	v_cmp_ne_u16_sdwa s[48:49], v7, v3 src0_sel:BYTE_0 src1_sel:DWORD
	s_or_b64 s[42:43], s[48:49], s[42:43]
	s_andn2_b64 exec, exec, s[42:43]
	s_cbranch_execnz .LBB95_122
; %bb.123:
	s_or_b64 exec, exec, s[42:43]
.LBB95_124:
	s_or_b64 exec, exec, s[38:39]
	v_mov_b32_e32 v46, 2
	v_lshlrev_b64 v[3:4], v40, -1
	v_cmp_eq_u16_sdwa s[38:39], v7, v46 src0_sel:BYTE_0 src1_sel:DWORD
	v_and_b32_e32 v8, s39, v4
	v_or_b32_e32 v8, 0x80000000, v8
	v_and_b32_e32 v47, s38, v3
	v_ffbl_b32_e32 v8, v8
	v_and_b32_e32 v57, 63, v40
	v_add_u32_e32 v8, 32, v8
	v_ffbl_b32_e32 v47, v47
	v_cmp_ne_u32_e32 vcc, 63, v57
	v_min_u32_e32 v8, v47, v8
	v_addc_co_u32_e32 v47, vcc, 0, v40, vcc
	v_and_b32_e32 v39, 0xff, v6
	v_lshlrev_b32_e32 v47, 2, v47
	ds_bpermute_b32 v49, v47, v39
	ds_bpermute_b32 v50, v47, v5
	s_mov_b32 s38, 0
	v_and_b32_e32 v6, 1, v6
	v_mov_b32_e32 v38, v5
	s_mov_b32 s39, 1
	s_waitcnt lgkmcnt(1)
	v_and_b32_e32 v49, 1, v49
	v_cmp_eq_u32_e32 vcc, 1, v6
	v_cndmask_b32_e64 v6, v49, 1, vcc
	v_cmp_gt_u64_e32 vcc, s[38:39], v[38:39]
	v_add_u32_e32 v48, 1, v40
	v_and_b32_e32 v49, 0xffff, v6
	s_waitcnt lgkmcnt(0)
	v_cndmask_b32_e32 v38, 0, v50, vcc
	v_cmp_gt_u32_e32 vcc, v48, v8
	v_cndmask_b32_e32 v6, v6, v39, vcc
	v_cndmask_b32_e64 v38, v38, 0, vcc
	v_cndmask_b32_e32 v39, v49, v39, vcc
	v_cmp_gt_u32_e32 vcc, 62, v57
	v_cndmask_b32_e64 v49, 0, 2, vcc
	v_add_lshl_u32 v49, v49, v40, 2
	ds_bpermute_b32 v51, v49, v39
	v_add_u32_e32 v5, v38, v5
	ds_bpermute_b32 v38, v49, v5
	v_and_b32_e32 v52, 1, v6
	v_cmp_eq_u32_e32 vcc, 1, v52
	s_waitcnt lgkmcnt(1)
	v_and_b32_e32 v51, 1, v51
	v_add_u32_e32 v50, 2, v40
	v_cndmask_b32_e64 v51, v51, 1, vcc
	v_cmp_eq_u16_e32 vcc, 0, v6
	v_and_b32_e32 v52, 0xffff, v51
	s_waitcnt lgkmcnt(0)
	v_cndmask_b32_e32 v38, 0, v38, vcc
	v_cmp_gt_u32_e32 vcc, v50, v8
	v_cndmask_b32_e32 v6, v51, v6, vcc
	v_cndmask_b32_e64 v38, v38, 0, vcc
	v_cndmask_b32_e32 v39, v52, v39, vcc
	v_cmp_gt_u32_e32 vcc, 60, v57
	v_cndmask_b32_e64 v51, 0, 4, vcc
	v_add_lshl_u32 v51, v51, v40, 2
	ds_bpermute_b32 v55, v51, v39
	v_add_u32_e32 v5, v38, v5
	ds_bpermute_b32 v38, v51, v5
	v_and_b32_e32 v56, 1, v6
	v_cmp_eq_u32_e32 vcc, 1, v56
	s_waitcnt lgkmcnt(1)
	v_and_b32_e32 v55, 1, v55
	v_add_u32_e32 v52, 4, v40
	v_cndmask_b32_e64 v55, v55, 1, vcc
	v_cmp_eq_u16_e32 vcc, 0, v6
	;; [unrolled: 20-line block ×3, first 2 shown]
	v_and_b32_e32 v59, 0xffff, v58
	s_waitcnt lgkmcnt(0)
	v_cndmask_b32_e32 v38, 0, v38, vcc
	v_cmp_gt_u32_e32 vcc, v56, v8
	v_cndmask_b32_e32 v6, v58, v6, vcc
	v_cndmask_b32_e64 v38, v38, 0, vcc
	v_cndmask_b32_e32 v39, v59, v39, vcc
	v_cmp_gt_u32_e32 vcc, 48, v57
	v_cndmask_b32_e64 v57, 0, 16, vcc
	v_add_lshl_u32 v57, v57, v40, 2
	ds_bpermute_b32 v58, v57, v39
	v_add_u32_e32 v5, v38, v5
	ds_bpermute_b32 v59, v57, v5
	v_and_b32_e32 v38, 1, v6
	v_cmp_eq_u32_e32 vcc, 1, v38
	s_waitcnt lgkmcnt(1)
	v_and_b32_e32 v58, 1, v58
	v_mov_b32_e32 v38, 0
	v_add_u32_e32 v60, 16, v40
	v_cndmask_b32_e64 v58, v58, 1, vcc
	v_cmp_eq_u16_sdwa vcc, v6, v38 src0_sel:BYTE_0 src1_sel:DWORD
	s_waitcnt lgkmcnt(0)
	v_cndmask_b32_e32 v59, 0, v59, vcc
	v_cmp_gt_u32_e32 vcc, v60, v8
	v_and_b32_e32 v62, 0xffff, v58
	v_cndmask_b32_e32 v6, v58, v6, vcc
	v_cndmask_b32_e64 v58, v59, 0, vcc
	v_add_u32_e32 v5, v58, v5
	v_mov_b32_e32 v58, 0x80
	v_lshl_or_b32 v61, v40, 2, v58
	ds_bpermute_b32 v58, v61, v5
	v_cndmask_b32_e32 v39, v62, v39, vcc
	ds_bpermute_b32 v39, v61, v39
	v_cmp_eq_u16_sdwa vcc, v6, v38 src0_sel:BYTE_0 src1_sel:DWORD
	v_add_u32_e32 v62, 32, v40
	s_waitcnt lgkmcnt(1)
	v_cndmask_b32_e32 v40, 0, v58, vcc
	v_and_b32_e32 v58, 1, v6
	s_waitcnt lgkmcnt(0)
	v_and_b32_e32 v39, 1, v39
	v_cmp_eq_u32_e32 vcc, 1, v58
	v_cndmask_b32_e64 v39, v39, 1, vcc
	v_cmp_gt_u32_e32 vcc, v62, v8
	v_cndmask_b32_e64 v8, v40, 0, vcc
	v_cndmask_b32_e32 v6, v39, v6, vcc
	v_add_u32_e32 v5, v8, v5
	s_branch .LBB95_128
.LBB95_125:                             ;   in Loop: Header=BB95_128 Depth=1
	s_or_b64 exec, exec, s[48:49]
.LBB95_126:                             ;   in Loop: Header=BB95_128 Depth=1
	s_or_b64 exec, exec, s[42:43]
	v_cmp_eq_u16_sdwa s[42:43], v7, v46 src0_sel:BYTE_0 src1_sel:DWORD
	v_and_b32_e32 v40, 0xff, v6
	v_and_b32_e32 v8, s43, v4
	v_or_b32_e32 v8, 0x80000000, v8
	ds_bpermute_b32 v64, v47, v40
	v_and_b32_e32 v63, s42, v3
	v_ffbl_b32_e32 v8, v8
	v_add_u32_e32 v8, 32, v8
	v_ffbl_b32_e32 v63, v63
	v_min_u32_e32 v8, v63, v8
	ds_bpermute_b32 v63, v47, v5
	v_and_b32_e32 v6, 1, v6
	v_mov_b32_e32 v39, v5
	s_waitcnt lgkmcnt(1)
	v_and_b32_e32 v64, 1, v64
	v_cmp_eq_u32_e32 vcc, 1, v6
	v_cndmask_b32_e64 v6, v64, 1, vcc
	v_cmp_gt_u64_e32 vcc, s[38:39], v[39:40]
	v_and_b32_e32 v64, 0xffff, v6
	s_waitcnt lgkmcnt(0)
	v_cndmask_b32_e32 v39, 0, v63, vcc
	v_cmp_gt_u32_e32 vcc, v48, v8
	v_cndmask_b32_e32 v6, v6, v40, vcc
	v_cndmask_b32_e32 v40, v64, v40, vcc
	ds_bpermute_b32 v63, v49, v40
	v_cndmask_b32_e64 v39, v39, 0, vcc
	v_add_u32_e32 v5, v39, v5
	ds_bpermute_b32 v39, v49, v5
	v_and_b32_e32 v64, 1, v6
	s_waitcnt lgkmcnt(1)
	v_and_b32_e32 v63, 1, v63
	v_cmp_eq_u32_e32 vcc, 1, v64
	v_cndmask_b32_e64 v63, v63, 1, vcc
	v_cmp_eq_u16_e32 vcc, 0, v6
	v_and_b32_e32 v64, 0xffff, v63
	s_waitcnt lgkmcnt(0)
	v_cndmask_b32_e32 v39, 0, v39, vcc
	v_cmp_gt_u32_e32 vcc, v50, v8
	v_cndmask_b32_e32 v40, v64, v40, vcc
	v_cndmask_b32_e32 v6, v63, v6, vcc
	ds_bpermute_b32 v63, v51, v40
	v_cndmask_b32_e64 v39, v39, 0, vcc
	v_add_u32_e32 v5, v39, v5
	ds_bpermute_b32 v39, v51, v5
	v_and_b32_e32 v64, 1, v6
	s_waitcnt lgkmcnt(1)
	v_and_b32_e32 v63, 1, v63
	v_cmp_eq_u32_e32 vcc, 1, v64
	v_cndmask_b32_e64 v63, v63, 1, vcc
	v_cmp_eq_u16_e32 vcc, 0, v6
	v_and_b32_e32 v64, 0xffff, v63
	s_waitcnt lgkmcnt(0)
	v_cndmask_b32_e32 v39, 0, v39, vcc
	v_cmp_gt_u32_e32 vcc, v52, v8
	v_cndmask_b32_e32 v40, v64, v40, vcc
	v_cndmask_b32_e32 v6, v63, v6, vcc
	ds_bpermute_b32 v63, v55, v40
	v_cndmask_b32_e64 v39, v39, 0, vcc
	v_add_u32_e32 v5, v39, v5
	ds_bpermute_b32 v39, v55, v5
	v_and_b32_e32 v64, 1, v6
	s_waitcnt lgkmcnt(1)
	v_and_b32_e32 v63, 1, v63
	v_cmp_eq_u32_e32 vcc, 1, v64
	v_cndmask_b32_e64 v63, v63, 1, vcc
	v_cmp_eq_u16_e32 vcc, 0, v6
	v_and_b32_e32 v64, 0xffff, v63
	s_waitcnt lgkmcnt(0)
	v_cndmask_b32_e32 v39, 0, v39, vcc
	v_cmp_gt_u32_e32 vcc, v56, v8
	v_cndmask_b32_e32 v40, v64, v40, vcc
	v_cndmask_b32_e32 v6, v63, v6, vcc
	ds_bpermute_b32 v63, v57, v40
	v_cndmask_b32_e64 v39, v39, 0, vcc
	v_add_u32_e32 v5, v39, v5
	ds_bpermute_b32 v39, v57, v5
	v_and_b32_e32 v64, 1, v6
	s_waitcnt lgkmcnt(1)
	v_and_b32_e32 v63, 1, v63
	v_cmp_eq_u32_e32 vcc, 1, v64
	v_cndmask_b32_e64 v63, v63, 1, vcc
	v_cmp_eq_u16_sdwa vcc, v6, v38 src0_sel:BYTE_0 src1_sel:DWORD
	s_waitcnt lgkmcnt(0)
	v_cndmask_b32_e32 v39, 0, v39, vcc
	v_cmp_gt_u32_e32 vcc, v60, v8
	v_cndmask_b32_e64 v39, v39, 0, vcc
	v_cndmask_b32_e32 v6, v63, v6, vcc
	v_add_u32_e32 v5, v39, v5
	v_and_b32_e32 v63, 0xffff, v63
	ds_bpermute_b32 v39, v61, v5
	v_cndmask_b32_e32 v40, v63, v40, vcc
	ds_bpermute_b32 v40, v61, v40
	v_cmp_eq_u16_sdwa vcc, v6, v38 src0_sel:BYTE_0 src1_sel:DWORD
	v_and_b32_e32 v63, 1, v6
	s_waitcnt lgkmcnt(1)
	v_cndmask_b32_e32 v39, 0, v39, vcc
	v_cmp_eq_u32_e32 vcc, 1, v63
	s_waitcnt lgkmcnt(0)
	v_cndmask_b32_e64 v40, v40, 1, vcc
	v_cmp_gt_u32_e32 vcc, v62, v8
	v_cndmask_b32_e64 v8, v39, 0, vcc
	v_cndmask_b32_e32 v6, v40, v6, vcc
	v_add_u32_e32 v5, v8, v5
	v_cmp_eq_u16_sdwa vcc, v58, v38 src0_sel:BYTE_0 src1_sel:DWORD
	v_and_b32_e32 v8, 1, v58
	v_cndmask_b32_e32 v5, 0, v5, vcc
	v_and_b32_e32 v6, 1, v6
	v_cmp_eq_u32_e32 vcc, 1, v8
	v_subrev_u32_e32 v37, 64, v37
	v_add_u32_e32 v5, v5, v59
	v_cndmask_b32_e64 v6, v6, 1, vcc
	s_mov_b64 s[42:43], 0
.LBB95_127:                             ;   in Loop: Header=BB95_128 Depth=1
	s_and_b64 vcc, exec, s[42:43]
	s_cbranch_vccnz .LBB95_133
.LBB95_128:                             ; =>This Loop Header: Depth=1
                                        ;     Child Loop BB95_131 Depth 2
	v_cmp_ne_u16_sdwa s[42:43], v7, v46 src0_sel:BYTE_0 src1_sel:DWORD
	v_mov_b32_e32 v58, v6
	v_mov_b32_e32 v59, v5
	s_cmp_lg_u64 s[42:43], exec
	s_mov_b64 s[42:43], -1
                                        ; implicit-def: $vgpr6
                                        ; implicit-def: $vgpr5
                                        ; implicit-def: $vgpr7
	s_cbranch_scc1 .LBB95_127
; %bb.129:                              ;   in Loop: Header=BB95_128 Depth=1
	v_lshlrev_b64 v[5:6], 4, v[37:38]
	v_mov_b32_e32 v7, s45
	v_add_co_u32_e32 v39, vcc, s44, v5
	v_addc_co_u32_e32 v40, vcc, v7, v6, vcc
	;;#ASMSTART
	global_load_dwordx4 v[5:8], v[39:40] off glc	
s_waitcnt vmcnt(0)
	;;#ASMEND
	v_cmp_eq_u16_sdwa s[48:49], v7, v38 src0_sel:BYTE_0 src1_sel:DWORD
	s_and_saveexec_b64 s[42:43], s[48:49]
	s_cbranch_execz .LBB95_126
; %bb.130:                              ;   in Loop: Header=BB95_128 Depth=1
	s_mov_b64 s[48:49], 0
.LBB95_131:                             ;   Parent Loop BB95_128 Depth=1
                                        ; =>  This Inner Loop Header: Depth=2
	;;#ASMSTART
	global_load_dwordx4 v[5:8], v[39:40] off glc	
s_waitcnt vmcnt(0)
	;;#ASMEND
	v_cmp_ne_u16_sdwa s[50:51], v7, v38 src0_sel:BYTE_0 src1_sel:DWORD
	s_or_b64 s[48:49], s[50:51], s[48:49]
	s_andn2_b64 exec, exec, s[48:49]
	s_cbranch_execnz .LBB95_131
	s_branch .LBB95_125
.LBB95_132:
                                        ; implicit-def: $vgpr37
                                        ; implicit-def: $vgpr38
                                        ; implicit-def: $vgpr39
                                        ; implicit-def: $vgpr40
                                        ; implicit-def: $vgpr44
                                        ; implicit-def: $vgpr45
                                        ; implicit-def: $vgpr46
                                        ; implicit-def: $vgpr47
                                        ; implicit-def: $vgpr48
                                        ; implicit-def: $vgpr49
                                        ; implicit-def: $vgpr50
                                        ; implicit-def: $vgpr51
                                        ; implicit-def: $vgpr52
                                        ; implicit-def: $vgpr55
                                        ; implicit-def: $vgpr56
	s_cbranch_execnz .LBB95_138
	s_branch .LBB95_157
.LBB95_133:
	s_and_saveexec_b64 s[38:39], s[34:35]
	s_cbranch_execz .LBB95_135
; %bb.134:
	s_mov_b32 s7, 0
	v_mov_b32_e32 v4, 0
	s_add_i32 s6, s6, 64
	v_cmp_eq_u32_sdwa vcc, v2, v4 src0_sel:BYTE_0 src1_sel:DWORD
	s_lshl_b64 s[6:7], s[6:7], 4
	v_cndmask_b32_e32 v3, 0, v59, vcc
	v_and_b32_e32 v2, 1, v2
	s_add_u32 s6, s44, s6
	v_add_u32_e32 v1, v3, v1
	s_addc_u32 s7, s45, s7
	v_and_b32_e32 v3, 1, v58
	v_cmp_eq_u32_e32 vcc, 1, v2
	v_mov_b32_e32 v5, s6
	v_cndmask_b32_e64 v2, v3, 1, vcc
	v_mov_b32_e32 v3, 2
	v_mov_b32_e32 v6, s7
	;;#ASMSTART
	global_store_dwordx4 v[5:6], v[1:4] off	
s_waitcnt vmcnt(0)
	;;#ASMEND
.LBB95_135:
	s_or_b64 exec, exec, s[38:39]
	s_and_b64 exec, exec, s[30:31]
	s_cbranch_execz .LBB95_137
; %bb.136:
	v_mov_b32_e32 v1, 0
	ds_write_b32 v1, v59
	ds_write_b8 v1, v58 offset:4
.LBB95_137:
	s_or_b64 exec, exec, s[36:37]
	v_mov_b32_e32 v1, 0
	s_waitcnt lgkmcnt(0)
	s_barrier
	ds_read_b32 v2, v1
	v_cmp_eq_u16_sdwa vcc, v45, v1 src0_sel:BYTE_0 src1_sel:DWORD
	s_waitcnt lgkmcnt(0)
	v_cndmask_b32_e32 v3, 0, v2, vcc
	v_add_u32_e32 v3, v3, v44
	v_cndmask_b32_e64 v37, v3, v2, s[30:31]
	v_and_b32_e32 v2, 0xff, v10
	v_cmp_eq_u64_e32 vcc, 0, v[1:2]
	v_cndmask_b32_e32 v1, 0, v37, vcc
	v_add_u32_e32 v38, v1, v9
	v_cndmask_b32_e64 v1, 0, v38, s[2:3]
	v_add_u32_e32 v39, v1, v35
	v_cndmask_b32_e64 v1, 0, v39, s[40:41]
	;; [unrolled: 2-line block ×13, first 2 shown]
	v_add_u32_e32 v56, v1, v11
	s_branch .LBB95_157
.LBB95_138:
	s_cmp_eq_u64 s[54:55], 0
	v_mov_b32_e32 v5, s56
	s_cbranch_scc1 .LBB95_140
; %bb.139:
	v_mov_b32_e32 v1, 0
	global_load_dword v5, v1, s[54:55]
.LBB95_140:
	s_mov_b32 s28, 0
	s_mov_b32 s29, 1
	v_cmp_gt_u64_e32 vcc, s[28:29], v[35:36]
	v_cmp_gt_u64_e64 s[2:3], s[28:29], v[33:34]
	v_cndmask_b32_e32 v1, 0, v9, vcc
	v_add_u32_e32 v1, v1, v35
	v_cndmask_b32_e64 v1, 0, v1, s[2:3]
	v_cmp_gt_u64_e64 s[6:7], s[28:29], v[31:32]
	v_add_u32_e32 v1, v1, v33
	v_cndmask_b32_e64 v1, 0, v1, s[6:7]
	v_cmp_gt_u64_e64 s[8:9], s[28:29], v[29:30]
	;; [unrolled: 3-line block ×12, first 2 shown]
	v_or3_b32 v2, v43, v26, v28
	v_add_u32_e32 v1, v1, v11
	v_or3_b32 v2, v2, v30, v32
	v_cndmask_b32_e64 v1, 0, v1, s[28:29]
	v_or3_b32 v2, v2, v34, v36
	v_add_u32_e32 v6, v1, v53
	v_or3_b32 v1, v42, v16, v18
	v_or3_b32 v1, v1, v20, v2
	v_and_b32_e32 v2, 0xff, v1
	v_mov_b32_e32 v1, 0
	v_cmp_eq_u64_e64 s[28:29], 0, v[1:2]
	v_and_b32_e32 v1, 56, v41
	v_cndmask_b32_e64 v7, 1, v10, s[28:29]
	v_lshl_add_u32 v1, v0, 3, v1
	v_cmp_gt_u32_e64 s[28:29], 64, v0
	ds_write_b32 v1, v6
	ds_write_b8 v1, v7 offset:4
	s_waitcnt vmcnt(0) lgkmcnt(0)
	s_barrier
	s_and_saveexec_b64 s[40:41], s[28:29]
	s_cbranch_execz .LBB95_152
; %bb.141:
	v_and_b32_e32 v1, 0xf8, v0
	v_lshlrev_b32_e32 v2, 5, v0
	v_add_u32_e32 v8, v1, v2
	ds_read2_b32 v[1:2], v8 offset0:2 offset1:4
	ds_read_b64 v[3:4], v8
	ds_read_u8 v24, v8 offset:12
	ds_read_u8 v16, v8 offset:20
	ds_read_b32 v12, v8 offset:24
	ds_read_u8 v18, v8 offset:28
	s_waitcnt lgkmcnt(4)
	v_and_b32_e32 v14, 1, v4
	s_waitcnt lgkmcnt(3)
	v_cmp_eq_u16_e64 s[34:35], 0, v24
	s_waitcnt lgkmcnt(2)
	v_or_b32_e32 v22, v16, v24
	v_cndmask_b32_e64 v20, 0, v3, s[34:35]
	v_cmp_eq_u16_e64 s[30:31], 0, v22
	v_add_u32_e32 v20, v20, v1
	v_cmp_eq_u16_e64 s[28:29], 0, v16
	v_cndmask_b32_e64 v22, 1, v14, s[30:31]
	s_waitcnt lgkmcnt(0)
	v_cmp_eq_u16_e64 s[30:31], 0, v18
	v_and_b32_e32 v18, 1, v18
	v_cndmask_b32_e64 v20, 0, v20, s[28:29]
	v_cmp_eq_u32_e64 s[36:37], 1, v18
	v_add_u32_e32 v20, v20, v2
	v_cndmask_b32_e64 v26, v22, 1, s[36:37]
	v_mbcnt_lo_u32_b32 v22, -1, 0
	v_cndmask_b32_e64 v20, 0, v20, s[30:31]
	v_and_b32_e32 v18, 0xffffff00, v4
	v_mbcnt_hi_u32_b32 v22, -1, v22
	v_add_u32_e32 v20, v20, v12
	v_and_b32_e32 v32, 15, v22
	v_or_b32_sdwa v28, v18, v26 dst_sel:DWORD dst_unused:UNUSED_PAD src0_sel:DWORD src1_sel:WORD_0
	v_mov_b32_dpp v30, v20 row_shr:1 row_mask:0xf bank_mask:0xf
	v_cmp_ne_u32_e64 s[38:39], 0, v32
	v_mov_b32_dpp v34, v28 row_shr:1 row_mask:0xf bank_mask:0xf
	s_and_saveexec_b64 s[42:43], s[38:39]
; %bb.142:
	v_and_b32_e32 v28, 1, v26
	v_and_b32_e32 v34, 1, v34
	v_cmp_eq_u32_e64 s[38:39], 1, v28
	v_cndmask_b32_e64 v34, v34, 1, s[38:39]
	v_cmp_eq_u16_e64 s[38:39], 0, v26
	v_cndmask_b32_e64 v26, 0, v30, s[38:39]
	v_add_u32_e32 v20, v26, v20
	v_or_b32_sdwa v28, v18, v34 dst_sel:DWORD dst_unused:UNUSED_PAD src0_sel:DWORD src1_sel:WORD_0
	v_mov_b32_e32 v26, v34
; %bb.143:
	s_or_b64 exec, exec, s[42:43]
	v_mov_b32_dpp v34, v20 row_shr:2 row_mask:0xf bank_mask:0xf
	v_mov_b32_dpp v36, v28 row_shr:2 row_mask:0xf bank_mask:0xf
	v_cmp_lt_u32_e64 s[38:39], 1, v32
	v_mov_b32_e32 v30, v28
	s_and_saveexec_b64 s[42:43], s[38:39]
	s_cbranch_execz .LBB95_145
; %bb.144:
	v_and_b32_e32 v26, 1, v28
	v_and_b32_e32 v30, 1, v36
	v_cmp_eq_u32_e64 s[38:39], 1, v26
	v_cndmask_b32_e64 v26, v30, 1, s[38:39]
	v_mov_b32_e32 v30, 0
	v_cmp_eq_u16_sdwa s[38:39], v28, v30 src0_sel:BYTE_0 src1_sel:DWORD
	v_cndmask_b32_e64 v28, 0, v34, s[38:39]
	v_add_u32_e32 v20, v28, v20
	v_or_b32_sdwa v28, v18, v26 dst_sel:DWORD dst_unused:UNUSED_PAD src0_sel:DWORD src1_sel:WORD_0
	v_mov_b32_e32 v30, v26
.LBB95_145:
	s_or_b64 exec, exec, s[42:43]
	v_mov_b32_dpp v34, v20 row_shr:4 row_mask:0xf bank_mask:0xf
	v_mov_b32_dpp v36, v28 row_shr:4 row_mask:0xf bank_mask:0xf
	v_cmp_lt_u32_e64 s[38:39], 3, v32
	s_and_saveexec_b64 s[42:43], s[38:39]
	s_cbranch_execz .LBB95_147
; %bb.146:
	v_and_b32_e32 v26, 1, v30
	v_and_b32_e32 v28, 1, v36
	v_cmp_eq_u32_e64 s[38:39], 1, v26
	v_cndmask_b32_e64 v26, v28, 1, s[38:39]
	v_mov_b32_e32 v28, 0
	v_cmp_eq_u16_sdwa s[38:39], v30, v28 src0_sel:BYTE_0 src1_sel:DWORD
	v_cndmask_b32_e64 v28, 0, v34, s[38:39]
	v_add_u32_e32 v20, v28, v20
	v_or_b32_sdwa v28, v18, v26 dst_sel:DWORD dst_unused:UNUSED_PAD src0_sel:DWORD src1_sel:WORD_0
	v_mov_b32_e32 v30, v26
.LBB95_147:
	s_or_b64 exec, exec, s[42:43]
	v_mov_b32_dpp v34, v20 row_shr:8 row_mask:0xf bank_mask:0xf
	v_mov_b32_dpp v36, v28 row_shr:8 row_mask:0xf bank_mask:0xf
	v_cmp_lt_u32_e64 s[38:39], 7, v32
	s_and_saveexec_b64 s[42:43], s[38:39]
	s_cbranch_execz .LBB95_149
; %bb.148:
	v_and_b32_e32 v26, 1, v30
	v_and_b32_e32 v28, 1, v36
	v_cmp_eq_u32_e64 s[38:39], 1, v26
	v_cndmask_b32_e64 v26, v28, 1, s[38:39]
	v_mov_b32_e32 v28, 0
	v_cmp_eq_u16_sdwa s[38:39], v30, v28 src0_sel:BYTE_0 src1_sel:DWORD
	v_cndmask_b32_e64 v28, 0, v34, s[38:39]
	v_add_u32_e32 v20, v28, v20
	v_or_b32_sdwa v28, v18, v26 dst_sel:DWORD dst_unused:UNUSED_PAD src0_sel:DWORD src1_sel:WORD_0
	v_mov_b32_e32 v30, v26
.LBB95_149:
	s_or_b64 exec, exec, s[42:43]
	v_and_b32_e32 v36, 16, v22
	v_mov_b32_dpp v32, v20 row_bcast:15 row_mask:0xf bank_mask:0xf
	v_mov_b32_dpp v34, v28 row_bcast:15 row_mask:0xf bank_mask:0xf
	v_cmp_ne_u32_e64 s[38:39], 0, v36
	s_and_saveexec_b64 s[42:43], s[38:39]
	s_cbranch_execz .LBB95_151
; %bb.150:
	v_and_b32_e32 v26, 1, v30
	v_and_b32_e32 v28, 1, v34
	v_cmp_eq_u32_e64 s[38:39], 1, v26
	v_cndmask_b32_e64 v26, v28, 1, s[38:39]
	v_mov_b32_e32 v28, 0
	v_cmp_eq_u16_sdwa s[38:39], v30, v28 src0_sel:BYTE_0 src1_sel:DWORD
	v_cndmask_b32_e64 v28, 0, v32, s[38:39]
	v_add_u32_e32 v20, v28, v20
	v_or_b32_sdwa v28, v18, v26 dst_sel:DWORD dst_unused:UNUSED_PAD src0_sel:DWORD src1_sel:WORD_0
	v_mov_b32_e32 v30, v26
.LBB95_151:
	s_or_b64 exec, exec, s[42:43]
	v_mov_b32_dpp v28, v28 row_bcast:31 row_mask:0xf bank_mask:0xf
	v_and_b32_e32 v34, 1, v30
	v_and_b32_e32 v28, 1, v28
	v_cmp_eq_u32_e64 s[38:39], 1, v34
	v_mov_b32_e32 v34, 0
	v_cndmask_b32_e64 v28, v28, 1, s[38:39]
	v_cmp_eq_u16_sdwa s[42:43], v30, v34 src0_sel:BYTE_0 src1_sel:DWORD
	v_cmp_lt_u32_e64 s[38:39], 31, v22
	v_mov_b32_dpp v32, v20 row_bcast:31 row_mask:0xf bank_mask:0xf
	v_cndmask_b32_e64 v26, v26, v28, s[38:39]
	s_and_b64 s[38:39], s[38:39], s[42:43]
	v_cndmask_b32_e64 v28, 0, v32, s[38:39]
	v_add_u32_e32 v20, v28, v20
	v_add_u32_e32 v28, -1, v22
	v_and_b32_e32 v30, 64, v22
	v_cmp_lt_i32_e64 s[38:39], v28, v30
	v_cndmask_b32_e64 v22, v28, v22, s[38:39]
	v_lshlrev_b32_e32 v22, 2, v22
	ds_bpermute_b32 v20, v22, v20
	v_or_b32_sdwa v18, v18, v26 dst_sel:DWORD dst_unused:UNUSED_PAD src0_sel:DWORD src1_sel:WORD_0
	ds_bpermute_b32 v18, v22, v18
	v_cmp_eq_u16_sdwa s[38:39], v4, v34 src0_sel:BYTE_0 src1_sel:DWORD
	v_and_b32_e32 v24, 1, v24
	s_waitcnt lgkmcnt(1)
	v_cndmask_b32_e64 v4, 0, v20, s[38:39]
	v_add_u32_e32 v3, v4, v3
	s_waitcnt lgkmcnt(0)
	v_and_b32_e32 v4, 1, v18
	v_cmp_eq_u32_e64 s[38:39], 1, v14
	v_cndmask_b32_e64 v4, v4, 1, s[38:39]
	v_cmp_eq_u32_e64 s[38:39], 0, v0
	v_cndmask_b32_e64 v3, v3, v6, s[38:39]
	v_cndmask_b32_e64 v6, 0, v3, s[34:35]
	;; [unrolled: 1-line block ×3, first 2 shown]
	v_add_u32_e32 v1, v6, v1
	v_cmp_eq_u32_e64 s[34:35], 1, v24
	ds_write_b8 v8, v4 offset:4
	v_cndmask_b32_e64 v4, v4, 1, s[34:35]
	ds_write2_b32 v8, v3, v1 offset1:2
	ds_write_b8 v8, v4 offset:12
	v_cndmask_b32_e64 v1, 0, v1, s[28:29]
	v_and_b32_e32 v16, 1, v16
	v_add_u32_e32 v1, v1, v2
	v_cmp_eq_u32_e64 s[28:29], 1, v16
	v_cndmask_b32_e64 v3, 0, v1, s[30:31]
	v_cndmask_b32_e64 v2, v4, 1, s[28:29]
	v_add_u32_e32 v3, v3, v12
	ds_write_b8 v8, v2 offset:20
	v_cndmask_b32_e64 v2, v2, 1, s[36:37]
	ds_write2_b32 v8, v1, v3 offset0:4 offset1:6
	ds_write_b8 v8, v2 offset:28
.LBB95_152:
	s_or_b64 exec, exec, s[40:41]
	v_cmp_eq_u32_e64 s[28:29], 0, v0
	v_cmp_ne_u32_e64 s[30:31], 0, v0
	v_mov_b32_e32 v37, v5
	s_waitcnt lgkmcnt(0)
	s_barrier
	s_and_saveexec_b64 s[34:35], s[30:31]
	s_cbranch_execz .LBB95_154
; %bb.153:
	v_add_u32_e32 v1, -1, v0
	v_lshrrev_b32_e32 v2, 2, v1
	v_and_b32_e32 v2, 0x3ffffff8, v2
	v_lshl_add_u32 v1, v1, 3, v2
	ds_read_u8 v2, v1 offset:4
	ds_read_b32 v1, v1
	s_waitcnt lgkmcnt(1)
	v_cmp_eq_u16_e64 s[30:31], 0, v2
	v_cndmask_b32_e64 v2, 0, v5, s[30:31]
	s_waitcnt lgkmcnt(0)
	v_add_u32_e32 v37, v2, v1
.LBB95_154:
	s_or_b64 exec, exec, s[34:35]
	v_and_b32_e32 v2, 0xff, v10
	v_mov_b32_e32 v1, 0
	v_cmp_eq_u64_e64 s[30:31], 0, v[1:2]
	v_cndmask_b32_e64 v2, 0, v37, s[30:31]
	v_add_u32_e32 v38, v2, v9
	v_cndmask_b32_e32 v2, 0, v38, vcc
	v_add_u32_e32 v39, v2, v35
	v_cndmask_b32_e64 v2, 0, v39, s[2:3]
	v_add_u32_e32 v40, v2, v33
	v_cndmask_b32_e64 v2, 0, v40, s[6:7]
	;; [unrolled: 2-line block ×12, first 2 shown]
	s_and_saveexec_b64 s[2:3], s[28:29]
	s_cbranch_execz .LBB95_156
; %bb.155:
	ds_read_u8 v3, v1 offset:2100
	ds_read_b32 v4, v1 offset:2096
	v_mov_b32_e32 v7, v1
	s_add_u32 s6, s44, 0x400
	s_addc_u32 s7, s45, 0
	s_waitcnt lgkmcnt(1)
	v_and_b32_e32 v6, 0xffff, v3
	v_cmp_eq_u64_e32 vcc, 0, v[6:7]
	v_mov_b32_e32 v7, 2
	v_cndmask_b32_e32 v3, 0, v5, vcc
	s_waitcnt lgkmcnt(0)
	v_add_u32_e32 v5, v3, v4
	v_mov_b32_e32 v3, s6
	v_mov_b32_e32 v8, v1
	;; [unrolled: 1-line block ×3, first 2 shown]
	;;#ASMSTART
	global_store_dwordx4 v[3:4], v[5:8] off	
s_waitcnt vmcnt(0)
	;;#ASMEND
.LBB95_156:
	s_or_b64 exec, exec, s[2:3]
	v_add_u32_e32 v56, v2, v11
.LBB95_157:
	s_load_dwordx2 s[2:3], s[4:5], 0x18
	s_lshl_b64 s[4:5], s[52:53], 3
	s_waitcnt lgkmcnt(0)
	s_add_u32 s2, s2, s4
	s_addc_u32 s3, s3, s5
	s_and_b64 vcc, exec, s[0:1]
	s_cbranch_vccz .LBB95_211
; %bb.158:
	s_add_i32 s33, s33, s46
	v_mul_u32_u24_e32 v1, 15, v0
	v_cmp_gt_u32_e32 vcc, s33, v1
	s_and_saveexec_b64 s[0:1], vcc
	s_cbranch_execz .LBB95_182
; %bb.159:
	v_add_u32_e32 v2, 1, v1
	v_cmp_gt_u32_e32 vcc, s33, v2
	s_and_saveexec_b64 s[4:5], vcc
	s_cbranch_execz .LBB95_181
; %bb.160:
	v_add_u32_e32 v2, 2, v1
	;; [unrolled: 5-line block ×11, first 2 shown]
	v_cmp_gt_u32_e32 vcc, s33, v2
	s_and_saveexec_b64 s[24:25], vcc
; %bb.170:
	v_add_u32_e32 v2, 12, v1
	v_cmp_gt_u32_e32 vcc, s33, v2
	s_and_saveexec_b64 s[26:27], vcc
	s_or_b64 exec, exec, s[26:27]
; %bb.171:
	s_or_b64 exec, exec, s[24:25]
.LBB95_172:
	s_or_b64 exec, exec, s[22:23]
.LBB95_173:
	s_or_b64 exec, exec, s[20:21]
.LBB95_174:
	s_or_b64 exec, exec, s[18:19]
.LBB95_175:
	s_or_b64 exec, exec, s[16:17]
.LBB95_176:
	s_or_b64 exec, exec, s[14:15]
.LBB95_177:
	s_or_b64 exec, exec, s[12:13]
.LBB95_178:
	s_or_b64 exec, exec, s[10:11]
.LBB95_179:
	s_or_b64 exec, exec, s[8:9]
.LBB95_180:
	s_or_b64 exec, exec, s[6:7]
.LBB95_181:
	s_or_b64 exec, exec, s[4:5]
.LBB95_182:
	s_or_b64 exec, exec, s[0:1]
	v_lshlrev_b32_e32 v17, 2, v1
	s_movk_i32 s0, 0xffc8
	v_mad_i32_i24 v1, v0, s0, v17
	s_barrier
	ds_write2_b32 v17, v37, v38 offset1:1
	ds_write2_b32 v17, v39, v40 offset0:2 offset1:3
	ds_write2_b32 v17, v44, v45 offset0:4 offset1:5
	;; [unrolled: 1-line block ×6, first 2 shown]
	ds_write_b32 v17, v56 offset:56
	s_waitcnt lgkmcnt(0)
	s_barrier
	ds_read2st64_b32 v[15:16], v1 offset0:4 offset1:8
	ds_read2st64_b32 v[13:14], v1 offset0:12 offset1:16
	;; [unrolled: 1-line block ×7, first 2 shown]
	v_lshlrev_b32_e32 v3, 3, v0
	v_mov_b32_e32 v4, s3
	v_add_co_u32_e32 v3, vcc, s2, v3
	v_addc_co_u32_e32 v4, vcc, 0, v4, vcc
	v_cmp_gt_u32_e32 vcc, s33, v0
	s_and_saveexec_b64 s[0:1], vcc
	s_cbranch_execz .LBB95_184
; %bb.183:
	v_mul_i32_i24_e32 v18, 0xffffffc8, v0
	v_add_u32_e32 v17, v17, v18
	ds_read_b32 v17, v17
	s_waitcnt lgkmcnt(0)
	v_ashrrev_i32_e32 v18, 31, v17
	global_store_dwordx2 v[3:4], v[17:18], off
.LBB95_184:
	s_or_b64 exec, exec, s[0:1]
	v_or_b32_e32 v17, 0x100, v0
	v_cmp_gt_u32_e32 vcc, s33, v17
	s_and_saveexec_b64 s[0:1], vcc
	s_cbranch_execz .LBB95_186
; %bb.185:
	s_waitcnt lgkmcnt(6)
	v_ashrrev_i32_e32 v18, 31, v15
	v_mov_b32_e32 v17, v15
	global_store_dwordx2 v[3:4], v[17:18], off offset:2048
.LBB95_186:
	s_or_b64 exec, exec, s[0:1]
	s_waitcnt lgkmcnt(6)
	v_or_b32_e32 v15, 0x200, v0
	v_cmp_gt_u32_e32 vcc, s33, v15
	s_and_saveexec_b64 s[0:1], vcc
	s_cbranch_execz .LBB95_188
; %bb.187:
	v_add_co_u32_e32 v18, vcc, 0x1000, v3
	v_ashrrev_i32_e32 v17, 31, v16
	v_addc_co_u32_e32 v19, vcc, 0, v4, vcc
	global_store_dwordx2 v[18:19], v[16:17], off
.LBB95_188:
	s_or_b64 exec, exec, s[0:1]
	v_or_b32_e32 v15, 0x300, v0
	v_cmp_gt_u32_e32 vcc, s33, v15
	s_and_saveexec_b64 s[0:1], vcc
	s_cbranch_execz .LBB95_190
; %bb.189:
	v_add_co_u32_e32 v17, vcc, 0x1000, v3
	s_waitcnt lgkmcnt(5)
	v_ashrrev_i32_e32 v16, 31, v13
	v_mov_b32_e32 v15, v13
	v_addc_co_u32_e32 v18, vcc, 0, v4, vcc
	global_store_dwordx2 v[17:18], v[15:16], off offset:2048
.LBB95_190:
	s_or_b64 exec, exec, s[0:1]
	s_waitcnt lgkmcnt(5)
	v_or_b32_e32 v13, 0x400, v0
	v_cmp_gt_u32_e32 vcc, s33, v13
	s_and_saveexec_b64 s[0:1], vcc
	s_cbranch_execz .LBB95_192
; %bb.191:
	v_add_co_u32_e32 v16, vcc, 0x2000, v3
	v_ashrrev_i32_e32 v15, 31, v14
	v_addc_co_u32_e32 v17, vcc, 0, v4, vcc
	global_store_dwordx2 v[16:17], v[14:15], off
.LBB95_192:
	s_or_b64 exec, exec, s[0:1]
	v_or_b32_e32 v13, 0x500, v0
	v_cmp_gt_u32_e32 vcc, s33, v13
	s_and_saveexec_b64 s[0:1], vcc
	s_cbranch_execz .LBB95_194
; %bb.193:
	v_add_co_u32_e32 v15, vcc, 0x2000, v3
	s_waitcnt lgkmcnt(4)
	v_ashrrev_i32_e32 v14, 31, v11
	v_mov_b32_e32 v13, v11
	v_addc_co_u32_e32 v16, vcc, 0, v4, vcc
	global_store_dwordx2 v[15:16], v[13:14], off offset:2048
.LBB95_194:
	;; [unrolled: 25-line block ×6, first 2 shown]
	s_or_b64 exec, exec, s[0:1]
	s_waitcnt lgkmcnt(0)
	v_or_b32_e32 v1, 0xe00, v0
	v_cmp_gt_u32_e64 s[0:1], s33, v1
	s_branch .LBB95_213
.LBB95_211:
	s_mov_b64 s[0:1], 0
                                        ; implicit-def: $vgpr2
	s_cbranch_execz .LBB95_213
; %bb.212:
	v_mul_u32_u24_e32 v1, 60, v0
	s_waitcnt vmcnt(0)
	s_barrier
	ds_write2_b32 v1, v37, v38 offset1:1
	ds_write2_b32 v1, v39, v40 offset0:2 offset1:3
	ds_write2_b32 v1, v44, v45 offset0:4 offset1:5
	ds_write2_b32 v1, v46, v47 offset0:6 offset1:7
	ds_write2_b32 v1, v48, v49 offset0:8 offset1:9
	ds_write2_b32 v1, v50, v51 offset0:10 offset1:11
	ds_write2_b32 v1, v52, v55 offset0:12 offset1:13
	ds_write_b32 v1, v56 offset:56
	v_mul_i32_i24_e32 v1, 0xffffffc8, v0
	v_mad_u32_u24 v31, v0, 60, v1
	s_waitcnt lgkmcnt(0)
	s_barrier
	ds_read2st64_b32 v[1:2], v31 offset1:4
	ds_read2st64_b32 v[5:6], v31 offset0:8 offset1:12
	ds_read2st64_b32 v[13:14], v31 offset0:24 offset1:28
	;; [unrolled: 1-line block ×3, first 2 shown]
	s_movk_i32 s4, 0x1000
	s_waitcnt lgkmcnt(3)
	v_ashrrev_i32_e32 v4, 31, v1
	v_mov_b32_e32 v3, v1
	v_ashrrev_i32_e32 v8, 31, v2
	v_mov_b32_e32 v7, v2
	ds_read2st64_b32 v[1:2], v31 offset0:16 offset1:20
	s_waitcnt lgkmcnt(3)
	v_ashrrev_i32_e32 v10, 31, v5
	v_mov_b32_e32 v9, v5
	v_ashrrev_i32_e32 v12, 31, v6
	v_mov_b32_e32 v11, v6
	s_waitcnt lgkmcnt(0)
	v_ashrrev_i32_e32 v6, 31, v1
	v_mov_b32_e32 v5, v1
	v_ashrrev_i32_e32 v16, 31, v2
	v_mov_b32_e32 v15, v2
	ds_read2st64_b32 v[1:2], v31 offset0:32 offset1:36
	v_ashrrev_i32_e32 v18, 31, v13
	v_mov_b32_e32 v17, v13
	v_ashrrev_i32_e32 v20, 31, v14
	v_mov_b32_e32 v19, v14
	s_waitcnt lgkmcnt(0)
	v_ashrrev_i32_e32 v14, 31, v1
	v_mov_b32_e32 v13, v1
	v_ashrrev_i32_e32 v24, 31, v2
	v_mov_b32_e32 v23, v2
	ds_read2st64_b32 v[1:2], v31 offset0:48 offset1:52
	v_ashrrev_i32_e32 v26, 31, v21
	v_mov_b32_e32 v25, v21
	v_ashrrev_i32_e32 v28, 31, v22
	v_mov_b32_e32 v27, v22
	s_waitcnt lgkmcnt(0)
	v_ashrrev_i32_e32 v22, 31, v1
	v_mov_b32_e32 v21, v1
	v_lshlrev_b32_e32 v1, 3, v0
	v_ashrrev_i32_e32 v30, 31, v2
	v_mov_b32_e32 v29, v2
	ds_read_b32 v2, v31 offset:14336
	v_mov_b32_e32 v31, s3
	v_add_co_u32_e32 v32, vcc, s2, v1
	v_addc_co_u32_e32 v31, vcc, 0, v31, vcc
	global_store_dwordx2 v1, v[3:4], s[2:3]
	global_store_dwordx2 v1, v[7:8], s[2:3] offset:2048
	v_add_co_u32_e32 v3, vcc, s4, v32
	v_addc_co_u32_e32 v4, vcc, 0, v31, vcc
	s_movk_i32 s4, 0x2000
	v_add_co_u32_e32 v7, vcc, s4, v32
	v_addc_co_u32_e32 v8, vcc, 0, v31, vcc
	s_movk_i32 s4, 0x3000
	global_store_dwordx2 v[7:8], v[9:10], off offset:-4096
	global_store_dwordx2 v[3:4], v[11:12], off offset:2048
	global_store_dwordx2 v[7:8], v[5:6], off
	global_store_dwordx2 v[7:8], v[15:16], off offset:2048
	v_add_co_u32_e32 v3, vcc, s4, v32
	v_addc_co_u32_e32 v4, vcc, 0, v31, vcc
	s_movk_i32 s4, 0x4000
	v_add_co_u32_e32 v5, vcc, s4, v32
	v_addc_co_u32_e32 v6, vcc, 0, v31, vcc
	global_store_dwordx2 v[5:6], v[17:18], off offset:-4096
	global_store_dwordx2 v[3:4], v[19:20], off offset:2048
	global_store_dwordx2 v[5:6], v[13:14], off
	global_store_dwordx2 v[5:6], v[23:24], off offset:2048
	v_add_co_u32_e32 v3, vcc, 0x5000, v32
	v_addc_co_u32_e32 v4, vcc, 0, v31, vcc
	global_store_dwordx2 v[3:4], v[25:26], off
	global_store_dwordx2 v[3:4], v[27:28], off offset:2048
	v_add_co_u32_e32 v3, vcc, 0x6000, v32
	v_addc_co_u32_e32 v4, vcc, 0, v31, vcc
	s_or_b64 s[0:1], s[0:1], exec
	global_store_dwordx2 v[3:4], v[21:22], off
	global_store_dwordx2 v[3:4], v[29:30], off offset:2048
.LBB95_213:
	s_and_saveexec_b64 s[4:5], s[0:1]
	s_cbranch_execz .LBB95_215
; %bb.214:
	v_lshlrev_b32_e32 v0, 3, v0
	v_mov_b32_e32 v1, s3
	v_add_co_u32_e32 v3, vcc, s2, v0
	v_addc_co_u32_e32 v4, vcc, 0, v1, vcc
	s_waitcnt lgkmcnt(0)
	v_ashrrev_i32_e32 v1, 31, v2
	v_mov_b32_e32 v0, v2
	v_add_co_u32_e32 v2, vcc, 0x7000, v3
	v_addc_co_u32_e32 v3, vcc, 0, v4, vcc
	global_store_dwordx2 v[2:3], v[0:1], off
	s_endpgm
.LBB95_215:
	s_endpgm
	.section	.rodata,"a",@progbits
	.p2align	6, 0x0
	.amdhsa_kernel _ZN7rocprim6detail25device_scan_by_key_kernelILNS0_25lookback_scan_determinismE0ELb1ENS0_26wrapped_scan_by_key_configINS_14default_configEiiEEPiN6hipcub22TransformInputIteratorIiNS7_6CastOpIiEES6_lEEPliNS7_8EqualityENS7_3SumENS0_19lookback_scan_stateINS_5tupleIJibEEELb0ELb1EEEiEEvT2_T3_T4_T5_T6_T7_T8_mmmPKNSG_IJT9_bEEE
		.amdhsa_group_segment_fixed_size 17408
		.amdhsa_private_segment_fixed_size 0
		.amdhsa_kernarg_size 80
		.amdhsa_user_sgpr_count 6
		.amdhsa_user_sgpr_private_segment_buffer 1
		.amdhsa_user_sgpr_dispatch_ptr 0
		.amdhsa_user_sgpr_queue_ptr 0
		.amdhsa_user_sgpr_kernarg_segment_ptr 1
		.amdhsa_user_sgpr_dispatch_id 0
		.amdhsa_user_sgpr_flat_scratch_init 0
		.amdhsa_user_sgpr_private_segment_size 0
		.amdhsa_uses_dynamic_stack 0
		.amdhsa_system_sgpr_private_segment_wavefront_offset 0
		.amdhsa_system_sgpr_workgroup_id_x 1
		.amdhsa_system_sgpr_workgroup_id_y 0
		.amdhsa_system_sgpr_workgroup_id_z 0
		.amdhsa_system_sgpr_workgroup_info 0
		.amdhsa_system_vgpr_workitem_id 0
		.amdhsa_next_free_vgpr 75
		.amdhsa_next_free_sgpr 98
		.amdhsa_reserve_vcc 1
		.amdhsa_reserve_flat_scratch 0
		.amdhsa_float_round_mode_32 0
		.amdhsa_float_round_mode_16_64 0
		.amdhsa_float_denorm_mode_32 3
		.amdhsa_float_denorm_mode_16_64 3
		.amdhsa_dx10_clamp 1
		.amdhsa_ieee_mode 1
		.amdhsa_fp16_overflow 0
		.amdhsa_exception_fp_ieee_invalid_op 0
		.amdhsa_exception_fp_denorm_src 0
		.amdhsa_exception_fp_ieee_div_zero 0
		.amdhsa_exception_fp_ieee_overflow 0
		.amdhsa_exception_fp_ieee_underflow 0
		.amdhsa_exception_fp_ieee_inexact 0
		.amdhsa_exception_int_div_zero 0
	.end_amdhsa_kernel
	.section	.text._ZN7rocprim6detail25device_scan_by_key_kernelILNS0_25lookback_scan_determinismE0ELb1ENS0_26wrapped_scan_by_key_configINS_14default_configEiiEEPiN6hipcub22TransformInputIteratorIiNS7_6CastOpIiEES6_lEEPliNS7_8EqualityENS7_3SumENS0_19lookback_scan_stateINS_5tupleIJibEEELb0ELb1EEEiEEvT2_T3_T4_T5_T6_T7_T8_mmmPKNSG_IJT9_bEEE,"axG",@progbits,_ZN7rocprim6detail25device_scan_by_key_kernelILNS0_25lookback_scan_determinismE0ELb1ENS0_26wrapped_scan_by_key_configINS_14default_configEiiEEPiN6hipcub22TransformInputIteratorIiNS7_6CastOpIiEES6_lEEPliNS7_8EqualityENS7_3SumENS0_19lookback_scan_stateINS_5tupleIJibEEELb0ELb1EEEiEEvT2_T3_T4_T5_T6_T7_T8_mmmPKNSG_IJT9_bEEE,comdat
.Lfunc_end95:
	.size	_ZN7rocprim6detail25device_scan_by_key_kernelILNS0_25lookback_scan_determinismE0ELb1ENS0_26wrapped_scan_by_key_configINS_14default_configEiiEEPiN6hipcub22TransformInputIteratorIiNS7_6CastOpIiEES6_lEEPliNS7_8EqualityENS7_3SumENS0_19lookback_scan_stateINS_5tupleIJibEEELb0ELb1EEEiEEvT2_T3_T4_T5_T6_T7_T8_mmmPKNSG_IJT9_bEEE, .Lfunc_end95-_ZN7rocprim6detail25device_scan_by_key_kernelILNS0_25lookback_scan_determinismE0ELb1ENS0_26wrapped_scan_by_key_configINS_14default_configEiiEEPiN6hipcub22TransformInputIteratorIiNS7_6CastOpIiEES6_lEEPliNS7_8EqualityENS7_3SumENS0_19lookback_scan_stateINS_5tupleIJibEEELb0ELb1EEEiEEvT2_T3_T4_T5_T6_T7_T8_mmmPKNSG_IJT9_bEEE
                                        ; -- End function
	.set _ZN7rocprim6detail25device_scan_by_key_kernelILNS0_25lookback_scan_determinismE0ELb1ENS0_26wrapped_scan_by_key_configINS_14default_configEiiEEPiN6hipcub22TransformInputIteratorIiNS7_6CastOpIiEES6_lEEPliNS7_8EqualityENS7_3SumENS0_19lookback_scan_stateINS_5tupleIJibEEELb0ELb1EEEiEEvT2_T3_T4_T5_T6_T7_T8_mmmPKNSG_IJT9_bEEE.num_vgpr, 75
	.set _ZN7rocprim6detail25device_scan_by_key_kernelILNS0_25lookback_scan_determinismE0ELb1ENS0_26wrapped_scan_by_key_configINS_14default_configEiiEEPiN6hipcub22TransformInputIteratorIiNS7_6CastOpIiEES6_lEEPliNS7_8EqualityENS7_3SumENS0_19lookback_scan_stateINS_5tupleIJibEEELb0ELb1EEEiEEvT2_T3_T4_T5_T6_T7_T8_mmmPKNSG_IJT9_bEEE.num_agpr, 0
	.set _ZN7rocprim6detail25device_scan_by_key_kernelILNS0_25lookback_scan_determinismE0ELb1ENS0_26wrapped_scan_by_key_configINS_14default_configEiiEEPiN6hipcub22TransformInputIteratorIiNS7_6CastOpIiEES6_lEEPliNS7_8EqualityENS7_3SumENS0_19lookback_scan_stateINS_5tupleIJibEEELb0ELb1EEEiEEvT2_T3_T4_T5_T6_T7_T8_mmmPKNSG_IJT9_bEEE.numbered_sgpr, 57
	.set _ZN7rocprim6detail25device_scan_by_key_kernelILNS0_25lookback_scan_determinismE0ELb1ENS0_26wrapped_scan_by_key_configINS_14default_configEiiEEPiN6hipcub22TransformInputIteratorIiNS7_6CastOpIiEES6_lEEPliNS7_8EqualityENS7_3SumENS0_19lookback_scan_stateINS_5tupleIJibEEELb0ELb1EEEiEEvT2_T3_T4_T5_T6_T7_T8_mmmPKNSG_IJT9_bEEE.num_named_barrier, 0
	.set _ZN7rocprim6detail25device_scan_by_key_kernelILNS0_25lookback_scan_determinismE0ELb1ENS0_26wrapped_scan_by_key_configINS_14default_configEiiEEPiN6hipcub22TransformInputIteratorIiNS7_6CastOpIiEES6_lEEPliNS7_8EqualityENS7_3SumENS0_19lookback_scan_stateINS_5tupleIJibEEELb0ELb1EEEiEEvT2_T3_T4_T5_T6_T7_T8_mmmPKNSG_IJT9_bEEE.private_seg_size, 0
	.set _ZN7rocprim6detail25device_scan_by_key_kernelILNS0_25lookback_scan_determinismE0ELb1ENS0_26wrapped_scan_by_key_configINS_14default_configEiiEEPiN6hipcub22TransformInputIteratorIiNS7_6CastOpIiEES6_lEEPliNS7_8EqualityENS7_3SumENS0_19lookback_scan_stateINS_5tupleIJibEEELb0ELb1EEEiEEvT2_T3_T4_T5_T6_T7_T8_mmmPKNSG_IJT9_bEEE.uses_vcc, 1
	.set _ZN7rocprim6detail25device_scan_by_key_kernelILNS0_25lookback_scan_determinismE0ELb1ENS0_26wrapped_scan_by_key_configINS_14default_configEiiEEPiN6hipcub22TransformInputIteratorIiNS7_6CastOpIiEES6_lEEPliNS7_8EqualityENS7_3SumENS0_19lookback_scan_stateINS_5tupleIJibEEELb0ELb1EEEiEEvT2_T3_T4_T5_T6_T7_T8_mmmPKNSG_IJT9_bEEE.uses_flat_scratch, 0
	.set _ZN7rocprim6detail25device_scan_by_key_kernelILNS0_25lookback_scan_determinismE0ELb1ENS0_26wrapped_scan_by_key_configINS_14default_configEiiEEPiN6hipcub22TransformInputIteratorIiNS7_6CastOpIiEES6_lEEPliNS7_8EqualityENS7_3SumENS0_19lookback_scan_stateINS_5tupleIJibEEELb0ELb1EEEiEEvT2_T3_T4_T5_T6_T7_T8_mmmPKNSG_IJT9_bEEE.has_dyn_sized_stack, 0
	.set _ZN7rocprim6detail25device_scan_by_key_kernelILNS0_25lookback_scan_determinismE0ELb1ENS0_26wrapped_scan_by_key_configINS_14default_configEiiEEPiN6hipcub22TransformInputIteratorIiNS7_6CastOpIiEES6_lEEPliNS7_8EqualityENS7_3SumENS0_19lookback_scan_stateINS_5tupleIJibEEELb0ELb1EEEiEEvT2_T3_T4_T5_T6_T7_T8_mmmPKNSG_IJT9_bEEE.has_recursion, 0
	.set _ZN7rocprim6detail25device_scan_by_key_kernelILNS0_25lookback_scan_determinismE0ELb1ENS0_26wrapped_scan_by_key_configINS_14default_configEiiEEPiN6hipcub22TransformInputIteratorIiNS7_6CastOpIiEES6_lEEPliNS7_8EqualityENS7_3SumENS0_19lookback_scan_stateINS_5tupleIJibEEELb0ELb1EEEiEEvT2_T3_T4_T5_T6_T7_T8_mmmPKNSG_IJT9_bEEE.has_indirect_call, 0
	.section	.AMDGPU.csdata,"",@progbits
; Kernel info:
; codeLenInByte = 12944
; TotalNumSgprs: 61
; NumVgprs: 75
; ScratchSize: 0
; MemoryBound: 0
; FloatMode: 240
; IeeeMode: 1
; LDSByteSize: 17408 bytes/workgroup (compile time only)
; SGPRBlocks: 12
; VGPRBlocks: 18
; NumSGPRsForWavesPerEU: 102
; NumVGPRsForWavesPerEU: 75
; Occupancy: 3
; WaveLimiterHint : 1
; COMPUTE_PGM_RSRC2:SCRATCH_EN: 0
; COMPUTE_PGM_RSRC2:USER_SGPR: 6
; COMPUTE_PGM_RSRC2:TRAP_HANDLER: 0
; COMPUTE_PGM_RSRC2:TGID_X_EN: 1
; COMPUTE_PGM_RSRC2:TGID_Y_EN: 0
; COMPUTE_PGM_RSRC2:TGID_Z_EN: 0
; COMPUTE_PGM_RSRC2:TIDIG_COMP_CNT: 0
	.section	.text._ZN7rocprim6detail25device_scan_by_key_kernelILNS0_25lookback_scan_determinismE0ELb1ENS0_26wrapped_scan_by_key_configINS_14default_configEi6__halfEEPiN6hipcub22TransformInputIteratorIS5_NS8_6CastOpIS5_EEPS5_lEESC_S5_NS8_8EqualityENS8_3SumENS0_19lookback_scan_stateINS_5tupleIJS5_bEEELb1ELb1EEES5_EEvT2_T3_T4_T5_T6_T7_T8_mmmPKNSH_IJT9_bEEE,"axG",@progbits,_ZN7rocprim6detail25device_scan_by_key_kernelILNS0_25lookback_scan_determinismE0ELb1ENS0_26wrapped_scan_by_key_configINS_14default_configEi6__halfEEPiN6hipcub22TransformInputIteratorIS5_NS8_6CastOpIS5_EEPS5_lEESC_S5_NS8_8EqualityENS8_3SumENS0_19lookback_scan_stateINS_5tupleIJS5_bEEELb1ELb1EEES5_EEvT2_T3_T4_T5_T6_T7_T8_mmmPKNSH_IJT9_bEEE,comdat
	.protected	_ZN7rocprim6detail25device_scan_by_key_kernelILNS0_25lookback_scan_determinismE0ELb1ENS0_26wrapped_scan_by_key_configINS_14default_configEi6__halfEEPiN6hipcub22TransformInputIteratorIS5_NS8_6CastOpIS5_EEPS5_lEESC_S5_NS8_8EqualityENS8_3SumENS0_19lookback_scan_stateINS_5tupleIJS5_bEEELb1ELb1EEES5_EEvT2_T3_T4_T5_T6_T7_T8_mmmPKNSH_IJT9_bEEE ; -- Begin function _ZN7rocprim6detail25device_scan_by_key_kernelILNS0_25lookback_scan_determinismE0ELb1ENS0_26wrapped_scan_by_key_configINS_14default_configEi6__halfEEPiN6hipcub22TransformInputIteratorIS5_NS8_6CastOpIS5_EEPS5_lEESC_S5_NS8_8EqualityENS8_3SumENS0_19lookback_scan_stateINS_5tupleIJS5_bEEELb1ELb1EEES5_EEvT2_T3_T4_T5_T6_T7_T8_mmmPKNSH_IJT9_bEEE
	.globl	_ZN7rocprim6detail25device_scan_by_key_kernelILNS0_25lookback_scan_determinismE0ELb1ENS0_26wrapped_scan_by_key_configINS_14default_configEi6__halfEEPiN6hipcub22TransformInputIteratorIS5_NS8_6CastOpIS5_EEPS5_lEESC_S5_NS8_8EqualityENS8_3SumENS0_19lookback_scan_stateINS_5tupleIJS5_bEEELb1ELb1EEES5_EEvT2_T3_T4_T5_T6_T7_T8_mmmPKNSH_IJT9_bEEE
	.p2align	8
	.type	_ZN7rocprim6detail25device_scan_by_key_kernelILNS0_25lookback_scan_determinismE0ELb1ENS0_26wrapped_scan_by_key_configINS_14default_configEi6__halfEEPiN6hipcub22TransformInputIteratorIS5_NS8_6CastOpIS5_EEPS5_lEESC_S5_NS8_8EqualityENS8_3SumENS0_19lookback_scan_stateINS_5tupleIJS5_bEEELb1ELb1EEES5_EEvT2_T3_T4_T5_T6_T7_T8_mmmPKNSH_IJT9_bEEE,@function
_ZN7rocprim6detail25device_scan_by_key_kernelILNS0_25lookback_scan_determinismE0ELb1ENS0_26wrapped_scan_by_key_configINS_14default_configEi6__halfEEPiN6hipcub22TransformInputIteratorIS5_NS8_6CastOpIS5_EEPS5_lEESC_S5_NS8_8EqualityENS8_3SumENS0_19lookback_scan_stateINS_5tupleIJS5_bEEELb1ELb1EEES5_EEvT2_T3_T4_T5_T6_T7_T8_mmmPKNSH_IJT9_bEEE: ; @_ZN7rocprim6detail25device_scan_by_key_kernelILNS0_25lookback_scan_determinismE0ELb1ENS0_26wrapped_scan_by_key_configINS_14default_configEi6__halfEEPiN6hipcub22TransformInputIteratorIS5_NS8_6CastOpIS5_EEPS5_lEESC_S5_NS8_8EqualityENS8_3SumENS0_19lookback_scan_stateINS_5tupleIJS5_bEEELb1ELb1EEES5_EEvT2_T3_T4_T5_T6_T7_T8_mmmPKNSH_IJT9_bEEE
; %bb.0:
	s_endpgm
	.section	.rodata,"a",@progbits
	.p2align	6, 0x0
	.amdhsa_kernel _ZN7rocprim6detail25device_scan_by_key_kernelILNS0_25lookback_scan_determinismE0ELb1ENS0_26wrapped_scan_by_key_configINS_14default_configEi6__halfEEPiN6hipcub22TransformInputIteratorIS5_NS8_6CastOpIS5_EEPS5_lEESC_S5_NS8_8EqualityENS8_3SumENS0_19lookback_scan_stateINS_5tupleIJS5_bEEELb1ELb1EEES5_EEvT2_T3_T4_T5_T6_T7_T8_mmmPKNSH_IJT9_bEEE
		.amdhsa_group_segment_fixed_size 0
		.amdhsa_private_segment_fixed_size 0
		.amdhsa_kernarg_size 80
		.amdhsa_user_sgpr_count 6
		.amdhsa_user_sgpr_private_segment_buffer 1
		.amdhsa_user_sgpr_dispatch_ptr 0
		.amdhsa_user_sgpr_queue_ptr 0
		.amdhsa_user_sgpr_kernarg_segment_ptr 1
		.amdhsa_user_sgpr_dispatch_id 0
		.amdhsa_user_sgpr_flat_scratch_init 0
		.amdhsa_user_sgpr_private_segment_size 0
		.amdhsa_uses_dynamic_stack 0
		.amdhsa_system_sgpr_private_segment_wavefront_offset 0
		.amdhsa_system_sgpr_workgroup_id_x 1
		.amdhsa_system_sgpr_workgroup_id_y 0
		.amdhsa_system_sgpr_workgroup_id_z 0
		.amdhsa_system_sgpr_workgroup_info 0
		.amdhsa_system_vgpr_workitem_id 0
		.amdhsa_next_free_vgpr 1
		.amdhsa_next_free_sgpr 0
		.amdhsa_reserve_vcc 0
		.amdhsa_reserve_flat_scratch 0
		.amdhsa_float_round_mode_32 0
		.amdhsa_float_round_mode_16_64 0
		.amdhsa_float_denorm_mode_32 3
		.amdhsa_float_denorm_mode_16_64 3
		.amdhsa_dx10_clamp 1
		.amdhsa_ieee_mode 1
		.amdhsa_fp16_overflow 0
		.amdhsa_exception_fp_ieee_invalid_op 0
		.amdhsa_exception_fp_denorm_src 0
		.amdhsa_exception_fp_ieee_div_zero 0
		.amdhsa_exception_fp_ieee_overflow 0
		.amdhsa_exception_fp_ieee_underflow 0
		.amdhsa_exception_fp_ieee_inexact 0
		.amdhsa_exception_int_div_zero 0
	.end_amdhsa_kernel
	.section	.text._ZN7rocprim6detail25device_scan_by_key_kernelILNS0_25lookback_scan_determinismE0ELb1ENS0_26wrapped_scan_by_key_configINS_14default_configEi6__halfEEPiN6hipcub22TransformInputIteratorIS5_NS8_6CastOpIS5_EEPS5_lEESC_S5_NS8_8EqualityENS8_3SumENS0_19lookback_scan_stateINS_5tupleIJS5_bEEELb1ELb1EEES5_EEvT2_T3_T4_T5_T6_T7_T8_mmmPKNSH_IJT9_bEEE,"axG",@progbits,_ZN7rocprim6detail25device_scan_by_key_kernelILNS0_25lookback_scan_determinismE0ELb1ENS0_26wrapped_scan_by_key_configINS_14default_configEi6__halfEEPiN6hipcub22TransformInputIteratorIS5_NS8_6CastOpIS5_EEPS5_lEESC_S5_NS8_8EqualityENS8_3SumENS0_19lookback_scan_stateINS_5tupleIJS5_bEEELb1ELb1EEES5_EEvT2_T3_T4_T5_T6_T7_T8_mmmPKNSH_IJT9_bEEE,comdat
.Lfunc_end96:
	.size	_ZN7rocprim6detail25device_scan_by_key_kernelILNS0_25lookback_scan_determinismE0ELb1ENS0_26wrapped_scan_by_key_configINS_14default_configEi6__halfEEPiN6hipcub22TransformInputIteratorIS5_NS8_6CastOpIS5_EEPS5_lEESC_S5_NS8_8EqualityENS8_3SumENS0_19lookback_scan_stateINS_5tupleIJS5_bEEELb1ELb1EEES5_EEvT2_T3_T4_T5_T6_T7_T8_mmmPKNSH_IJT9_bEEE, .Lfunc_end96-_ZN7rocprim6detail25device_scan_by_key_kernelILNS0_25lookback_scan_determinismE0ELb1ENS0_26wrapped_scan_by_key_configINS_14default_configEi6__halfEEPiN6hipcub22TransformInputIteratorIS5_NS8_6CastOpIS5_EEPS5_lEESC_S5_NS8_8EqualityENS8_3SumENS0_19lookback_scan_stateINS_5tupleIJS5_bEEELb1ELb1EEES5_EEvT2_T3_T4_T5_T6_T7_T8_mmmPKNSH_IJT9_bEEE
                                        ; -- End function
	.set _ZN7rocprim6detail25device_scan_by_key_kernelILNS0_25lookback_scan_determinismE0ELb1ENS0_26wrapped_scan_by_key_configINS_14default_configEi6__halfEEPiN6hipcub22TransformInputIteratorIS5_NS8_6CastOpIS5_EEPS5_lEESC_S5_NS8_8EqualityENS8_3SumENS0_19lookback_scan_stateINS_5tupleIJS5_bEEELb1ELb1EEES5_EEvT2_T3_T4_T5_T6_T7_T8_mmmPKNSH_IJT9_bEEE.num_vgpr, 0
	.set _ZN7rocprim6detail25device_scan_by_key_kernelILNS0_25lookback_scan_determinismE0ELb1ENS0_26wrapped_scan_by_key_configINS_14default_configEi6__halfEEPiN6hipcub22TransformInputIteratorIS5_NS8_6CastOpIS5_EEPS5_lEESC_S5_NS8_8EqualityENS8_3SumENS0_19lookback_scan_stateINS_5tupleIJS5_bEEELb1ELb1EEES5_EEvT2_T3_T4_T5_T6_T7_T8_mmmPKNSH_IJT9_bEEE.num_agpr, 0
	.set _ZN7rocprim6detail25device_scan_by_key_kernelILNS0_25lookback_scan_determinismE0ELb1ENS0_26wrapped_scan_by_key_configINS_14default_configEi6__halfEEPiN6hipcub22TransformInputIteratorIS5_NS8_6CastOpIS5_EEPS5_lEESC_S5_NS8_8EqualityENS8_3SumENS0_19lookback_scan_stateINS_5tupleIJS5_bEEELb1ELb1EEES5_EEvT2_T3_T4_T5_T6_T7_T8_mmmPKNSH_IJT9_bEEE.numbered_sgpr, 0
	.set _ZN7rocprim6detail25device_scan_by_key_kernelILNS0_25lookback_scan_determinismE0ELb1ENS0_26wrapped_scan_by_key_configINS_14default_configEi6__halfEEPiN6hipcub22TransformInputIteratorIS5_NS8_6CastOpIS5_EEPS5_lEESC_S5_NS8_8EqualityENS8_3SumENS0_19lookback_scan_stateINS_5tupleIJS5_bEEELb1ELb1EEES5_EEvT2_T3_T4_T5_T6_T7_T8_mmmPKNSH_IJT9_bEEE.num_named_barrier, 0
	.set _ZN7rocprim6detail25device_scan_by_key_kernelILNS0_25lookback_scan_determinismE0ELb1ENS0_26wrapped_scan_by_key_configINS_14default_configEi6__halfEEPiN6hipcub22TransformInputIteratorIS5_NS8_6CastOpIS5_EEPS5_lEESC_S5_NS8_8EqualityENS8_3SumENS0_19lookback_scan_stateINS_5tupleIJS5_bEEELb1ELb1EEES5_EEvT2_T3_T4_T5_T6_T7_T8_mmmPKNSH_IJT9_bEEE.private_seg_size, 0
	.set _ZN7rocprim6detail25device_scan_by_key_kernelILNS0_25lookback_scan_determinismE0ELb1ENS0_26wrapped_scan_by_key_configINS_14default_configEi6__halfEEPiN6hipcub22TransformInputIteratorIS5_NS8_6CastOpIS5_EEPS5_lEESC_S5_NS8_8EqualityENS8_3SumENS0_19lookback_scan_stateINS_5tupleIJS5_bEEELb1ELb1EEES5_EEvT2_T3_T4_T5_T6_T7_T8_mmmPKNSH_IJT9_bEEE.uses_vcc, 0
	.set _ZN7rocprim6detail25device_scan_by_key_kernelILNS0_25lookback_scan_determinismE0ELb1ENS0_26wrapped_scan_by_key_configINS_14default_configEi6__halfEEPiN6hipcub22TransformInputIteratorIS5_NS8_6CastOpIS5_EEPS5_lEESC_S5_NS8_8EqualityENS8_3SumENS0_19lookback_scan_stateINS_5tupleIJS5_bEEELb1ELb1EEES5_EEvT2_T3_T4_T5_T6_T7_T8_mmmPKNSH_IJT9_bEEE.uses_flat_scratch, 0
	.set _ZN7rocprim6detail25device_scan_by_key_kernelILNS0_25lookback_scan_determinismE0ELb1ENS0_26wrapped_scan_by_key_configINS_14default_configEi6__halfEEPiN6hipcub22TransformInputIteratorIS5_NS8_6CastOpIS5_EEPS5_lEESC_S5_NS8_8EqualityENS8_3SumENS0_19lookback_scan_stateINS_5tupleIJS5_bEEELb1ELb1EEES5_EEvT2_T3_T4_T5_T6_T7_T8_mmmPKNSH_IJT9_bEEE.has_dyn_sized_stack, 0
	.set _ZN7rocprim6detail25device_scan_by_key_kernelILNS0_25lookback_scan_determinismE0ELb1ENS0_26wrapped_scan_by_key_configINS_14default_configEi6__halfEEPiN6hipcub22TransformInputIteratorIS5_NS8_6CastOpIS5_EEPS5_lEESC_S5_NS8_8EqualityENS8_3SumENS0_19lookback_scan_stateINS_5tupleIJS5_bEEELb1ELb1EEES5_EEvT2_T3_T4_T5_T6_T7_T8_mmmPKNSH_IJT9_bEEE.has_recursion, 0
	.set _ZN7rocprim6detail25device_scan_by_key_kernelILNS0_25lookback_scan_determinismE0ELb1ENS0_26wrapped_scan_by_key_configINS_14default_configEi6__halfEEPiN6hipcub22TransformInputIteratorIS5_NS8_6CastOpIS5_EEPS5_lEESC_S5_NS8_8EqualityENS8_3SumENS0_19lookback_scan_stateINS_5tupleIJS5_bEEELb1ELb1EEES5_EEvT2_T3_T4_T5_T6_T7_T8_mmmPKNSH_IJT9_bEEE.has_indirect_call, 0
	.section	.AMDGPU.csdata,"",@progbits
; Kernel info:
; codeLenInByte = 4
; TotalNumSgprs: 4
; NumVgprs: 0
; ScratchSize: 0
; MemoryBound: 0
; FloatMode: 240
; IeeeMode: 1
; LDSByteSize: 0 bytes/workgroup (compile time only)
; SGPRBlocks: 0
; VGPRBlocks: 0
; NumSGPRsForWavesPerEU: 4
; NumVGPRsForWavesPerEU: 1
; Occupancy: 10
; WaveLimiterHint : 0
; COMPUTE_PGM_RSRC2:SCRATCH_EN: 0
; COMPUTE_PGM_RSRC2:USER_SGPR: 6
; COMPUTE_PGM_RSRC2:TRAP_HANDLER: 0
; COMPUTE_PGM_RSRC2:TGID_X_EN: 1
; COMPUTE_PGM_RSRC2:TGID_Y_EN: 0
; COMPUTE_PGM_RSRC2:TGID_Z_EN: 0
; COMPUTE_PGM_RSRC2:TIDIG_COMP_CNT: 0
	.section	.text._ZN7rocprim6detail25device_scan_by_key_kernelILNS0_25lookback_scan_determinismE0ELb1ENS0_26wrapped_scan_by_key_configINS_14default_configEi6__halfEEPiN6hipcub22TransformInputIteratorIS5_NS8_6CastOpIS5_EEPS5_lEESC_S5_NS8_8EqualityENS8_3SumENS0_19lookback_scan_stateINS_5tupleIJS5_bEEELb0ELb1EEES5_EEvT2_T3_T4_T5_T6_T7_T8_mmmPKNSH_IJT9_bEEE,"axG",@progbits,_ZN7rocprim6detail25device_scan_by_key_kernelILNS0_25lookback_scan_determinismE0ELb1ENS0_26wrapped_scan_by_key_configINS_14default_configEi6__halfEEPiN6hipcub22TransformInputIteratorIS5_NS8_6CastOpIS5_EEPS5_lEESC_S5_NS8_8EqualityENS8_3SumENS0_19lookback_scan_stateINS_5tupleIJS5_bEEELb0ELb1EEES5_EEvT2_T3_T4_T5_T6_T7_T8_mmmPKNSH_IJT9_bEEE,comdat
	.protected	_ZN7rocprim6detail25device_scan_by_key_kernelILNS0_25lookback_scan_determinismE0ELb1ENS0_26wrapped_scan_by_key_configINS_14default_configEi6__halfEEPiN6hipcub22TransformInputIteratorIS5_NS8_6CastOpIS5_EEPS5_lEESC_S5_NS8_8EqualityENS8_3SumENS0_19lookback_scan_stateINS_5tupleIJS5_bEEELb0ELb1EEES5_EEvT2_T3_T4_T5_T6_T7_T8_mmmPKNSH_IJT9_bEEE ; -- Begin function _ZN7rocprim6detail25device_scan_by_key_kernelILNS0_25lookback_scan_determinismE0ELb1ENS0_26wrapped_scan_by_key_configINS_14default_configEi6__halfEEPiN6hipcub22TransformInputIteratorIS5_NS8_6CastOpIS5_EEPS5_lEESC_S5_NS8_8EqualityENS8_3SumENS0_19lookback_scan_stateINS_5tupleIJS5_bEEELb0ELb1EEES5_EEvT2_T3_T4_T5_T6_T7_T8_mmmPKNSH_IJT9_bEEE
	.globl	_ZN7rocprim6detail25device_scan_by_key_kernelILNS0_25lookback_scan_determinismE0ELb1ENS0_26wrapped_scan_by_key_configINS_14default_configEi6__halfEEPiN6hipcub22TransformInputIteratorIS5_NS8_6CastOpIS5_EEPS5_lEESC_S5_NS8_8EqualityENS8_3SumENS0_19lookback_scan_stateINS_5tupleIJS5_bEEELb0ELb1EEES5_EEvT2_T3_T4_T5_T6_T7_T8_mmmPKNSH_IJT9_bEEE
	.p2align	8
	.type	_ZN7rocprim6detail25device_scan_by_key_kernelILNS0_25lookback_scan_determinismE0ELb1ENS0_26wrapped_scan_by_key_configINS_14default_configEi6__halfEEPiN6hipcub22TransformInputIteratorIS5_NS8_6CastOpIS5_EEPS5_lEESC_S5_NS8_8EqualityENS8_3SumENS0_19lookback_scan_stateINS_5tupleIJS5_bEEELb0ELb1EEES5_EEvT2_T3_T4_T5_T6_T7_T8_mmmPKNSH_IJT9_bEEE,@function
_ZN7rocprim6detail25device_scan_by_key_kernelILNS0_25lookback_scan_determinismE0ELb1ENS0_26wrapped_scan_by_key_configINS_14default_configEi6__halfEEPiN6hipcub22TransformInputIteratorIS5_NS8_6CastOpIS5_EEPS5_lEESC_S5_NS8_8EqualityENS8_3SumENS0_19lookback_scan_stateINS_5tupleIJS5_bEEELb0ELb1EEES5_EEvT2_T3_T4_T5_T6_T7_T8_mmmPKNSH_IJT9_bEEE: ; @_ZN7rocprim6detail25device_scan_by_key_kernelILNS0_25lookback_scan_determinismE0ELb1ENS0_26wrapped_scan_by_key_configINS_14default_configEi6__halfEEPiN6hipcub22TransformInputIteratorIS5_NS8_6CastOpIS5_EEPS5_lEESC_S5_NS8_8EqualityENS8_3SumENS0_19lookback_scan_stateINS_5tupleIJS5_bEEELb0ELb1EEES5_EEvT2_T3_T4_T5_T6_T7_T8_mmmPKNSH_IJT9_bEEE
; %bb.0:
	s_load_dwordx4 s[0:3], s[4:5], 0x0
	s_load_dword s7, s[4:5], 0x20
	s_load_dwordx8 s[36:43], s[4:5], 0x28
	s_load_dwordx2 s[46:47], s[4:5], 0x48
	s_mul_i32 s8, s6, 0xe00
	s_mov_b32 s9, 0
	s_lshl_b64 s[10:11], s[8:9], 2
	s_waitcnt lgkmcnt(0)
	s_add_u32 s50, s0, s10
	s_addc_u32 s51, s1, s11
	s_lshl_b64 s[44:45], s[8:9], 1
	s_add_u32 s48, s2, s44
	s_addc_u32 s49, s3, s45
	s_add_u32 s0, s40, s6
	s_addc_u32 s1, s41, 0
	s_add_u32 s2, s42, -1
	s_addc_u32 s3, s43, -1
	v_mov_b32_e32 v1, s2
	v_mov_b32_e32 v2, s3
	v_cmp_ge_u64_e64 s[0:1], s[0:1], v[1:2]
	s_mov_b64 s[40:41], -1
	s_and_b64 vcc, exec, s[0:1]
	s_mul_i32 s33, s2, 0xfffff200
	s_cbranch_vccz .LBB97_76
; %bb.1:
	s_load_dword s40, s[50:51], 0x0
	v_lshlrev_b32_e32 v3, 2, v0
	s_add_i32 s39, s33, s38
	v_mov_b32_e32 v2, s51
	v_add_co_u32_e32 v1, vcc, s50, v3
	v_addc_co_u32_e32 v2, vcc, 0, v2, vcc
	v_cmp_gt_u32_e64 s[2:3], s39, v0
	s_waitcnt lgkmcnt(0)
	v_mov_b32_e32 v4, s40
	s_and_saveexec_b64 s[8:9], s[2:3]
	s_cbranch_execz .LBB97_3
; %bb.2:
	global_load_dword v4, v[1:2], off
.LBB97_3:
	s_or_b64 exec, exec, s[8:9]
	v_or_b32_e32 v5, 0x100, v0
	v_cmp_gt_u32_e64 s[34:35], s39, v5
	v_mov_b32_e32 v5, s40
	s_and_saveexec_b64 s[8:9], s[34:35]
	s_cbranch_execz .LBB97_5
; %bb.4:
	global_load_dword v5, v[1:2], off offset:1024
.LBB97_5:
	s_or_b64 exec, exec, s[8:9]
	v_or_b32_e32 v6, 0x200, v0
	v_cmp_gt_u32_e64 s[8:9], s39, v6
	v_mov_b32_e32 v6, s40
	s_and_saveexec_b64 s[10:11], s[8:9]
	s_cbranch_execz .LBB97_7
; %bb.6:
	global_load_dword v6, v[1:2], off offset:2048
.LBB97_7:
	;; [unrolled: 9-line block ×3, first 2 shown]
	s_or_b64 exec, exec, s[12:13]
	v_or_b32_e32 v8, 0x400, v0
	v_cmp_gt_u32_e64 s[12:13], s39, v8
	v_mov_b32_e32 v8, s40
	s_and_saveexec_b64 s[14:15], s[12:13]
	s_cbranch_execz .LBB97_11
; %bb.10:
	v_add_co_u32_e32 v8, vcc, 0x1000, v1
	v_addc_co_u32_e32 v9, vcc, 0, v2, vcc
	global_load_dword v8, v[8:9], off
.LBB97_11:
	s_or_b64 exec, exec, s[14:15]
	v_or_b32_e32 v9, 0x500, v0
	v_cmp_gt_u32_e64 s[14:15], s39, v9
	v_mov_b32_e32 v9, s40
	s_and_saveexec_b64 s[16:17], s[14:15]
	s_cbranch_execz .LBB97_13
; %bb.12:
	v_add_co_u32_e32 v9, vcc, 0x1000, v1
	v_addc_co_u32_e32 v10, vcc, 0, v2, vcc
	global_load_dword v9, v[9:10], off offset:1024
.LBB97_13:
	s_or_b64 exec, exec, s[16:17]
	v_or_b32_e32 v10, 0x600, v0
	v_cmp_gt_u32_e64 s[16:17], s39, v10
	v_mov_b32_e32 v10, s40
	s_and_saveexec_b64 s[18:19], s[16:17]
	s_cbranch_execz .LBB97_15
; %bb.14:
	v_add_co_u32_e32 v10, vcc, 0x1000, v1
	v_addc_co_u32_e32 v11, vcc, 0, v2, vcc
	global_load_dword v10, v[10:11], off offset:2048
.LBB97_15:
	;; [unrolled: 11-line block ×3, first 2 shown]
	s_or_b64 exec, exec, s[20:21]
	v_or_b32_e32 v12, 0x800, v0
	v_cmp_gt_u32_e64 s[20:21], s39, v12
	v_mov_b32_e32 v12, s40
	s_and_saveexec_b64 s[22:23], s[20:21]
	s_cbranch_execz .LBB97_19
; %bb.18:
	v_add_co_u32_e32 v12, vcc, 0x2000, v1
	v_addc_co_u32_e32 v13, vcc, 0, v2, vcc
	global_load_dword v12, v[12:13], off
.LBB97_19:
	s_or_b64 exec, exec, s[22:23]
	v_or_b32_e32 v13, 0x900, v0
	v_cmp_gt_u32_e64 s[22:23], s39, v13
	v_mov_b32_e32 v13, s40
	s_and_saveexec_b64 s[24:25], s[22:23]
	s_cbranch_execz .LBB97_21
; %bb.20:
	v_add_co_u32_e32 v13, vcc, 0x2000, v1
	v_addc_co_u32_e32 v14, vcc, 0, v2, vcc
	global_load_dword v13, v[13:14], off offset:1024
.LBB97_21:
	s_or_b64 exec, exec, s[24:25]
	v_or_b32_e32 v14, 0xa00, v0
	v_cmp_gt_u32_e64 s[24:25], s39, v14
	v_mov_b32_e32 v14, s40
	s_and_saveexec_b64 s[26:27], s[24:25]
	s_cbranch_execz .LBB97_23
; %bb.22:
	v_add_co_u32_e32 v14, vcc, 0x2000, v1
	v_addc_co_u32_e32 v15, vcc, 0, v2, vcc
	global_load_dword v14, v[14:15], off offset:2048
.LBB97_23:
	;; [unrolled: 11-line block ×3, first 2 shown]
	s_or_b64 exec, exec, s[28:29]
	v_or_b32_e32 v16, 0xc00, v0
	v_cmp_gt_u32_e64 s[28:29], s39, v16
	v_mov_b32_e32 v16, s40
	s_and_saveexec_b64 s[30:31], s[28:29]
	s_cbranch_execz .LBB97_27
; %bb.26:
	v_add_co_u32_e32 v16, vcc, 0x3000, v1
	v_addc_co_u32_e32 v17, vcc, 0, v2, vcc
	global_load_dword v16, v[16:17], off
.LBB97_27:
	s_or_b64 exec, exec, s[30:31]
	v_or_b32_e32 v17, 0xd00, v0
	v_cmp_gt_u32_e64 s[30:31], s39, v17
	v_mov_b32_e32 v17, s40
	s_and_saveexec_b64 s[40:41], s[30:31]
	s_cbranch_execz .LBB97_29
; %bb.28:
	v_add_co_u32_e32 v1, vcc, 0x3000, v1
	v_addc_co_u32_e32 v2, vcc, 0, v2, vcc
	global_load_dword v17, v[1:2], off offset:1024
.LBB97_29:
	s_or_b64 exec, exec, s[40:41]
	v_mad_u32_u24 v1, v0, 52, v3
	s_waitcnt vmcnt(0)
	ds_write2st64_b32 v3, v4, v5 offset1:4
	ds_write2st64_b32 v3, v6, v7 offset0:8 offset1:12
	ds_write2st64_b32 v3, v8, v9 offset0:16 offset1:20
	;; [unrolled: 1-line block ×6, first 2 shown]
	s_waitcnt lgkmcnt(0)
	s_barrier
	ds_read2_b64 v[13:16], v1 offset1:1
	ds_read2_b64 v[9:12], v1 offset0:2 offset1:3
	ds_read2_b64 v[5:8], v1 offset0:4 offset1:5
	ds_read_b64 v[17:18], v1 offset:48
	s_load_dword s40, s[50:51], 0x0
	s_movk_i32 s41, 0xffcc
	v_mad_i32_i24 v3, v0, s41, v1
	s_movk_i32 s41, 0xff
	v_cmp_ne_u32_e32 vcc, s41, v0
	s_waitcnt lgkmcnt(0)
	v_mov_b32_e32 v68, s40
	ds_write_b32 v3, v13 offset:15360
	s_waitcnt lgkmcnt(0)
	s_barrier
	s_and_saveexec_b64 s[40:41], vcc
; %bb.30:
	ds_read_b32 v68, v3 offset:15364
; %bb.31:
	s_or_b64 exec, exec, s[40:41]
	v_lshlrev_b32_e32 v4, 1, v0
	v_mov_b32_e32 v2, s49
	v_add_co_u32_e32 v1, vcc, s48, v4
	v_addc_co_u32_e32 v2, vcc, 0, v2, vcc
	s_waitcnt lgkmcnt(0)
	s_barrier
                                        ; implicit-def: $vgpr19
	s_and_saveexec_b64 s[40:41], s[2:3]
	s_cbranch_execz .LBB97_146
; %bb.32:
	global_load_ushort v19, v[1:2], off
	s_or_b64 exec, exec, s[40:41]
                                        ; implicit-def: $vgpr20
	s_and_saveexec_b64 s[2:3], s[34:35]
	s_cbranch_execnz .LBB97_147
.LBB97_33:
	s_or_b64 exec, exec, s[2:3]
                                        ; implicit-def: $vgpr21
	s_and_saveexec_b64 s[2:3], s[8:9]
	s_cbranch_execz .LBB97_148
.LBB97_34:
	global_load_ushort v21, v[1:2], off offset:1024
	s_or_b64 exec, exec, s[2:3]
                                        ; implicit-def: $vgpr22
	s_and_saveexec_b64 s[2:3], s[10:11]
	s_cbranch_execnz .LBB97_149
.LBB97_35:
	s_or_b64 exec, exec, s[2:3]
                                        ; implicit-def: $vgpr23
	s_and_saveexec_b64 s[2:3], s[12:13]
	s_cbranch_execz .LBB97_150
.LBB97_36:
	global_load_ushort v23, v[1:2], off offset:2048
	s_or_b64 exec, exec, s[2:3]
                                        ; implicit-def: $vgpr24
	s_and_saveexec_b64 s[2:3], s[14:15]
	s_cbranch_execnz .LBB97_151
.LBB97_37:
	s_or_b64 exec, exec, s[2:3]
                                        ; implicit-def: $vgpr25
	s_and_saveexec_b64 s[2:3], s[16:17]
	s_cbranch_execz .LBB97_152
.LBB97_38:
	global_load_ushort v25, v[1:2], off offset:3072
	s_or_b64 exec, exec, s[2:3]
                                        ; implicit-def: $vgpr26
	s_and_saveexec_b64 s[2:3], s[18:19]
	s_cbranch_execnz .LBB97_153
.LBB97_39:
	s_or_b64 exec, exec, s[2:3]
                                        ; implicit-def: $vgpr27
	s_and_saveexec_b64 s[2:3], s[20:21]
	s_cbranch_execz .LBB97_154
.LBB97_40:
	v_add_co_u32_e32 v27, vcc, 0x1000, v1
	v_addc_co_u32_e32 v28, vcc, 0, v2, vcc
	global_load_ushort v27, v[27:28], off
	s_or_b64 exec, exec, s[2:3]
                                        ; implicit-def: $vgpr28
	s_and_saveexec_b64 s[2:3], s[22:23]
	s_cbranch_execnz .LBB97_155
.LBB97_41:
	s_or_b64 exec, exec, s[2:3]
                                        ; implicit-def: $vgpr29
	s_and_saveexec_b64 s[2:3], s[24:25]
	s_cbranch_execz .LBB97_156
.LBB97_42:
	v_add_co_u32_e32 v29, vcc, 0x1000, v1
	v_addc_co_u32_e32 v30, vcc, 0, v2, vcc
	global_load_ushort v29, v[29:30], off offset:1024
	s_or_b64 exec, exec, s[2:3]
                                        ; implicit-def: $vgpr30
	s_and_saveexec_b64 s[2:3], s[26:27]
	s_cbranch_execnz .LBB97_157
.LBB97_43:
	s_or_b64 exec, exec, s[2:3]
                                        ; implicit-def: $vgpr31
	s_and_saveexec_b64 s[2:3], s[28:29]
	s_cbranch_execz .LBB97_45
.LBB97_44:
	v_add_co_u32_e32 v31, vcc, 0x1000, v1
	v_addc_co_u32_e32 v32, vcc, 0, v2, vcc
	global_load_ushort v31, v[31:32], off offset:2048
.LBB97_45:
	s_or_b64 exec, exec, s[2:3]
	v_mul_u32_u24_e32 v71, 14, v0
                                        ; implicit-def: $vgpr32
	s_and_saveexec_b64 s[2:3], s[30:31]
	s_cbranch_execz .LBB97_47
; %bb.46:
	v_add_co_u32_e32 v1, vcc, 0x1000, v1
	v_addc_co_u32_e32 v2, vcc, 0, v2, vcc
	global_load_ushort v32, v[1:2], off offset:2560
.LBB97_47:
	s_or_b64 exec, exec, s[2:3]
	v_sub_u32_e32 v2, v3, v4
	s_waitcnt vmcnt(0)
	ds_write_b16 v2, v19
	ds_write_b16 v2, v20 offset:512
	ds_write_b16 v2, v21 offset:1024
	;; [unrolled: 1-line block ×13, first 2 shown]
	v_cmp_gt_u32_e32 vcc, s39, v71
	s_mov_b64 s[40:41], 0
	v_mov_b32_e32 v36, 0
	s_mov_b64 s[2:3], 0
	v_mov_b32_e32 v45, 0
	v_mov_b32_e32 v47, 0
	;; [unrolled: 1-line block ×50, first 2 shown]
	s_waitcnt lgkmcnt(0)
	s_barrier
                                        ; implicit-def: $sgpr34_sgpr35
                                        ; implicit-def: $vgpr46
	s_and_saveexec_b64 s[42:43], vcc
	s_cbranch_execz .LBB97_75
; %bb.48:
	v_mad_u32_u24 v1, v0, 26, v2
	v_cmp_ne_u32_e64 s[2:3], v13, v14
	ds_read_u16 v13, v1
	v_or_b32_e32 v1, 1, v71
	v_mov_b32_e32 v40, s7
	v_cmp_gt_u32_e32 vcc, s39, v1
	s_mov_b64 s[8:9], 0
	v_mov_b32_e32 v45, 0
	v_mov_b32_e32 v47, 0
	;; [unrolled: 1-line block ×48, first 2 shown]
                                        ; implicit-def: $sgpr34_sgpr35
                                        ; implicit-def: $vgpr46
	s_and_saveexec_b64 s[52:53], vcc
	s_cbranch_execz .LBB97_74
; %bb.49:
	v_mul_u32_u24_e32 v1, 26, v0
	v_add_u32_e32 v36, v2, v1
	ds_read_b128 v[1:4], v36 offset:2
	v_add_u32_e32 v19, 2, v71
	v_cmp_ne_u32_e64 s[28:29], v14, v15
	v_mov_b32_e32 v14, s7
	v_cmp_gt_u32_e32 vcc, s39, v19
	v_mov_b32_e32 v45, 0
	v_mov_b32_e32 v47, 0
	v_mov_b32_e32 v49, 0
	v_mov_b32_e32 v48, 0
	v_mov_b32_e32 v51, 0
	v_mov_b32_e32 v50, 0
	v_mov_b32_e32 v53, 0
	v_mov_b32_e32 v52, 0
	v_mov_b32_e32 v66, 0
	v_mov_b32_e32 v55, 0
	v_mov_b32_e32 v54, 0
	v_mov_b32_e32 v67, 0
	v_mov_b32_e32 v57, 0
	v_mov_b32_e32 v56, 0
	v_mov_b32_e32 v64, 0
	v_mov_b32_e32 v59, 0
	v_mov_b32_e32 v58, 0
	v_mov_b32_e32 v65, 0
	v_mov_b32_e32 v61, 0
	v_mov_b32_e32 v60, 0
	v_mov_b32_e32 v62, 0
	v_mov_b32_e32 v63, 0
	v_mov_b32_e32 v19, 0
	v_mov_b32_e32 v26, 0
	v_mov_b32_e32 v20, 0
	v_mov_b32_e32 v27, 0
	v_mov_b32_e32 v21, 0
	v_mov_b32_e32 v29, 0
	v_mov_b32_e32 v22, 0
	v_mov_b32_e32 v30, 0
	v_mov_b32_e32 v43, 0
	v_mov_b32_e32 v23, 0
	v_mov_b32_e32 v32, 0
	v_mov_b32_e32 v34, 0
	v_mov_b32_e32 v24, 0
	v_mov_b32_e32 v35, 0
	v_mov_b32_e32 v42, 0
	v_mov_b32_e32 v25, 0
	v_mov_b32_e32 v38, 0
	v_mov_b32_e32 v33, 0
	v_mov_b32_e32 v28, 0
	v_mov_b32_e32 v39, 0
	v_mov_b32_e32 v41, 0
	v_mov_b32_e32 v31, 0
                                        ; implicit-def: $sgpr34_sgpr35
                                        ; implicit-def: $vgpr46
	s_and_saveexec_b64 s[54:55], vcc
	s_cbranch_execz .LBB97_73
; %bb.50:
	v_add_u32_e32 v19, 3, v71
	v_cmp_ne_u32_e64 s[8:9], v15, v16
	v_mov_b32_e32 v15, s7
	v_cmp_gt_u32_e32 vcc, s39, v19
	s_mov_b64 s[10:11], 0
	v_mov_b32_e32 v45, 0
	v_mov_b32_e32 v47, 0
	;; [unrolled: 1-line block ×40, first 2 shown]
                                        ; implicit-def: $sgpr34_sgpr35
                                        ; implicit-def: $vgpr46
	s_and_saveexec_b64 s[56:57], vcc
	s_cbranch_execz .LBB97_72
; %bb.51:
	v_add_u32_e32 v19, 4, v71
	v_cmp_ne_u32_e64 s[10:11], v16, v9
	v_mov_b32_e32 v16, s7
	v_cmp_gt_u32_e32 vcc, s39, v19
	s_mov_b64 s[12:13], 0
	v_mov_b32_e32 v45, 0
	v_mov_b32_e32 v47, 0
	;; [unrolled: 1-line block ×36, first 2 shown]
                                        ; implicit-def: $sgpr34_sgpr35
                                        ; implicit-def: $vgpr46
	s_and_saveexec_b64 s[58:59], vcc
	s_cbranch_execz .LBB97_71
; %bb.52:
	v_cmp_ne_u32_e64 s[12:13], v9, v10
	v_add_u32_e32 v9, 5, v71
	v_mov_b32_e32 v31, s7
	v_cmp_gt_u32_e32 vcc, s39, v9
	s_mov_b64 s[14:15], 0
	v_mov_b32_e32 v45, 0
	v_mov_b32_e32 v47, 0
	;; [unrolled: 1-line block ×32, first 2 shown]
                                        ; implicit-def: $sgpr34_sgpr35
                                        ; implicit-def: $vgpr46
	s_and_saveexec_b64 s[60:61], vcc
	s_cbranch_execz .LBB97_70
; %bb.53:
	v_add_u32_e32 v9, 6, v71
	v_cmp_ne_u32_e64 s[14:15], v10, v11
	v_mov_b32_e32 v28, s7
	v_cmp_gt_u32_e32 vcc, s39, v9
	s_mov_b64 s[16:17], 0
	v_mov_b32_e32 v45, 0
	v_mov_b32_e32 v47, 0
	;; [unrolled: 1-line block ×28, first 2 shown]
                                        ; implicit-def: $sgpr34_sgpr35
                                        ; implicit-def: $vgpr46
	s_and_saveexec_b64 s[62:63], vcc
	s_cbranch_execz .LBB97_69
; %bb.54:
	v_add_u32_e32 v9, 7, v71
	v_cmp_ne_u32_e64 s[16:17], v11, v12
	v_mov_b32_e32 v11, s7
	v_cmp_gt_u32_e32 vcc, s39, v9
	s_mov_b64 s[18:19], 0
	v_mov_b32_e32 v45, 0
	v_mov_b32_e32 v47, 0
	;; [unrolled: 1-line block ×24, first 2 shown]
                                        ; implicit-def: $sgpr34_sgpr35
                                        ; implicit-def: $vgpr46
	s_and_saveexec_b64 s[64:65], vcc
	s_cbranch_execz .LBB97_68
; %bb.55:
	v_add_u32_e32 v9, 8, v71
	v_cmp_ne_u32_e64 s[18:19], v12, v5
	v_mov_b32_e32 v12, s7
	v_cmp_gt_u32_e32 vcc, s39, v9
	s_mov_b64 s[20:21], 0
	v_mov_b32_e32 v45, 0
	v_mov_b32_e32 v47, 0
	;; [unrolled: 1-line block ×20, first 2 shown]
                                        ; implicit-def: $sgpr34_sgpr35
                                        ; implicit-def: $vgpr46
	s_and_saveexec_b64 s[66:67], vcc
	s_cbranch_execz .LBB97_67
; %bb.56:
	v_add_u32_e32 v9, 9, v71
	v_cmp_ne_u32_e64 s[20:21], v5, v6
	v_mov_b32_e32 v5, s7
	v_cmp_gt_u32_e32 vcc, s39, v9
	s_mov_b64 s[22:23], 0
	v_mov_b32_e32 v45, 0
	v_mov_b32_e32 v47, 0
	;; [unrolled: 1-line block ×16, first 2 shown]
                                        ; implicit-def: $sgpr34_sgpr35
                                        ; implicit-def: $vgpr46
	s_and_saveexec_b64 s[68:69], vcc
	s_cbranch_execz .LBB97_66
; %bb.57:
	ds_read_b64 v[9:10], v36 offset:18
	v_add_u32_e32 v19, 10, v71
	v_cmp_ne_u32_e64 s[22:23], v6, v7
	v_mov_b32_e32 v6, s7
	v_cmp_gt_u32_e32 vcc, s39, v19
	s_mov_b64 s[24:25], 0
	v_mov_b32_e32 v45, 0
	v_mov_b32_e32 v47, 0
	;; [unrolled: 1-line block ×12, first 2 shown]
                                        ; implicit-def: $sgpr34_sgpr35
                                        ; implicit-def: $vgpr46
	s_and_saveexec_b64 s[70:71], vcc
	s_cbranch_execz .LBB97_65
; %bb.58:
	v_add_u32_e32 v19, 11, v71
	v_cmp_ne_u32_e64 s[24:25], v7, v8
	v_mov_b32_e32 v7, s7
	v_cmp_gt_u32_e32 vcc, s39, v19
	s_mov_b64 s[26:27], 0
	v_mov_b32_e32 v45, 0
	v_mov_b32_e32 v47, 0
	;; [unrolled: 1-line block ×7, first 2 shown]
                                        ; implicit-def: $sgpr34_sgpr35
                                        ; implicit-def: $vgpr46
	s_and_saveexec_b64 s[72:73], vcc
	s_cbranch_execz .LBB97_64
; %bb.59:
	v_add_u32_e32 v19, 12, v71
	v_cmp_ne_u32_e64 s[26:27], v8, v17
	v_mov_b32_e32 v8, s7
	v_cmp_gt_u32_e32 vcc, s39, v19
	s_mov_b64 s[30:31], 0
	v_mov_b32_e32 v45, 0
	v_mov_b32_e32 v47, 0
                                        ; implicit-def: $sgpr34_sgpr35
                                        ; implicit-def: $vgpr46
	s_and_saveexec_b64 s[74:75], vcc
	s_cbranch_execz .LBB97_63
; %bb.60:
	v_add_u32_e32 v19, 13, v71
	v_cmp_ne_u32_e32 vcc, v17, v18
	v_mov_b32_e32 v17, s7
	v_cmp_gt_u32_e64 s[30:31], s39, v19
	s_mov_b64 s[76:77], 0
                                        ; implicit-def: $sgpr34_sgpr35
                                        ; implicit-def: $vgpr46
	s_and_saveexec_b64 s[78:79], s[30:31]
	s_xor_b64 s[30:31], exec, s[78:79]
	s_cbranch_execz .LBB97_62
; %bb.61:
	ds_read_u16 v19, v36 offset:26
	v_mov_b32_e32 v20, s7
	v_cmp_ne_u32_e64 s[34:35], v18, v68
	s_mov_b64 s[76:77], exec
	s_waitcnt lgkmcnt(0)
	v_cndmask_b32_e64 v46, v19, v20, s[34:35]
.LBB97_62:
	s_or_b64 exec, exec, s[30:31]
	v_cndmask_b32_e64 v47, 0, 1, vcc
	s_waitcnt lgkmcnt(0)
	v_cndmask_b32_sdwa v45, v10, v17, vcc dst_sel:DWORD dst_unused:UNUSED_PAD src0_sel:WORD_1 src1_sel:DWORD
	s_and_b64 s[30:31], s[76:77], exec
.LBB97_63:
	s_or_b64 exec, exec, s[74:75]
	v_cndmask_b32_e64 v48, 0, 1, s[26:27]
	s_waitcnt lgkmcnt(0)
	v_cndmask_b32_e64 v49, v10, v8, s[26:27]
	s_and_b64 s[26:27], s[30:31], exec
	v_mov_b32_e32 v26, v47
	v_mov_b32_e32 v20, v49
	;; [unrolled: 1-line block ×3, first 2 shown]
.LBB97_64:
	s_or_b64 exec, exec, s[72:73]
	s_mov_b64 vcc, s[24:25]
	v_cndmask_b32_e64 v50, 0, 1, s[24:25]
	s_waitcnt lgkmcnt(0)
	v_cndmask_b32_sdwa v51, v9, v7, vcc dst_sel:DWORD dst_unused:UNUSED_PAD src0_sel:WORD_1 src1_sel:DWORD
	s_and_b64 s[24:25], s[26:27], exec
	v_mov_b32_e32 v19, v45
	v_mov_b32_e32 v21, v51
	;; [unrolled: 1-line block ×3, first 2 shown]
.LBB97_65:
	s_or_b64 exec, exec, s[70:71]
	v_cndmask_b32_e64 v52, 0, 1, s[22:23]
	s_waitcnt lgkmcnt(0)
	v_cndmask_b32_e64 v53, v9, v6, s[22:23]
	s_and_b64 s[22:23], s[24:25], exec
	v_mov_b32_e32 v22, v53
	v_mov_b32_e32 v30, v52
.LBB97_66:
	s_or_b64 exec, exec, s[68:69]
	s_mov_b64 vcc, s[20:21]
	v_cndmask_b32_e64 v54, 0, 1, s[20:21]
	s_waitcnt lgkmcnt(0)
	v_cndmask_b32_sdwa v55, v4, v5, vcc dst_sel:DWORD dst_unused:UNUSED_PAD src0_sel:WORD_1 src1_sel:DWORD
	s_and_b64 s[20:21], s[22:23], exec
	v_mov_b32_e32 v23, v55
	v_mov_b32_e32 v32, v54
.LBB97_67:
	s_or_b64 exec, exec, s[66:67]
	v_cndmask_b32_e64 v56, 0, 1, s[18:19]
	s_waitcnt lgkmcnt(0)
	v_cndmask_b32_e64 v57, v4, v12, s[18:19]
	s_and_b64 s[18:19], s[20:21], exec
	v_mov_b32_e32 v24, v57
	v_mov_b32_e32 v35, v56
.LBB97_68:
	s_or_b64 exec, exec, s[64:65]
	s_mov_b64 vcc, s[16:17]
	v_cndmask_b32_e64 v58, 0, 1, s[16:17]
	s_waitcnt lgkmcnt(0)
	v_cndmask_b32_sdwa v59, v3, v11, vcc dst_sel:DWORD dst_unused:UNUSED_PAD src0_sel:WORD_1 src1_sel:DWORD
	s_and_b64 s[16:17], s[18:19], exec
	v_mov_b32_e32 v25, v59
	v_mov_b32_e32 v38, v58
.LBB97_69:
	s_or_b64 exec, exec, s[62:63]
	v_cndmask_b32_e64 v60, 0, 1, s[14:15]
	s_waitcnt lgkmcnt(0)
	v_cndmask_b32_e64 v61, v3, v28, s[14:15]
	s_and_b64 s[14:15], s[16:17], exec
	v_mov_b32_e32 v28, v61
	v_mov_b32_e32 v39, v60
.LBB97_70:
	s_or_b64 exec, exec, s[60:61]
	s_mov_b64 vcc, s[12:13]
	v_cndmask_b32_e64 v62, 0, 1, s[12:13]
	s_waitcnt lgkmcnt(0)
	v_cndmask_b32_sdwa v63, v2, v31, vcc dst_sel:DWORD dst_unused:UNUSED_PAD src0_sel:WORD_1 src1_sel:DWORD
	s_and_b64 s[12:13], s[14:15], exec
	v_mov_b32_e32 v41, v62
	v_mov_b32_e32 v31, v63
.LBB97_71:
	s_or_b64 exec, exec, s[58:59]
	v_cndmask_b32_e64 v64, 0, 1, s[10:11]
	s_waitcnt lgkmcnt(0)
	v_cndmask_b32_e64 v65, v2, v16, s[10:11]
	s_and_b64 s[10:11], s[12:13], exec
	v_mov_b32_e32 v42, v64
	v_mov_b32_e32 v33, v65
.LBB97_72:
	s_or_b64 exec, exec, s[56:57]
	s_mov_b64 vcc, s[8:9]
	v_cndmask_b32_e64 v66, 0, 1, s[8:9]
	s_waitcnt lgkmcnt(0)
	v_cndmask_b32_sdwa v67, v1, v15, vcc dst_sel:DWORD dst_unused:UNUSED_PAD src0_sel:WORD_1 src1_sel:DWORD
	s_and_b64 s[8:9], s[10:11], exec
	v_mov_b32_e32 v43, v66
	v_mov_b32_e32 v34, v67
.LBB97_73:
	s_or_b64 exec, exec, s[54:55]
	v_cndmask_b32_e64 v69, 0, 1, s[28:29]
	s_waitcnt lgkmcnt(0)
	v_cndmask_b32_e64 v1, v1, v14, s[28:29]
	s_and_b64 s[8:9], s[8:9], exec
	v_mov_b32_e32 v44, v69
	v_mov_b32_e32 v37, v1
.LBB97_74:
	s_or_b64 exec, exec, s[52:53]
	s_waitcnt lgkmcnt(0)
	v_cndmask_b32_e64 v70, v13, v40, s[2:3]
	v_cndmask_b32_e64 v36, 0, 1, s[2:3]
	s_and_b64 s[2:3], s[8:9], exec
	v_mov_b32_e32 v40, v70
.LBB97_75:
	s_or_b64 exec, exec, s[42:43]
	s_and_b64 vcc, exec, s[40:41]
	s_cbranch_vccnz .LBB97_77
	s_branch .LBB97_82
.LBB97_76:
	s_mov_b64 s[2:3], 0
                                        ; implicit-def: $sgpr34_sgpr35
                                        ; implicit-def: $vgpr46
                                        ; implicit-def: $vgpr36
                                        ; implicit-def: $vgpr45
                                        ; implicit-def: $vgpr47
                                        ; implicit-def: $vgpr70
                                        ; implicit-def: $vgpr49
                                        ; implicit-def: $vgpr48
                                        ; implicit-def: $vgpr69
                                        ; implicit-def: $vgpr51
                                        ; implicit-def: $vgpr50
                                        ; implicit-def: $vgpr1
                                        ; implicit-def: $vgpr53
                                        ; implicit-def: $vgpr52
                                        ; implicit-def: $vgpr66
                                        ; implicit-def: $vgpr55
                                        ; implicit-def: $vgpr54
                                        ; implicit-def: $vgpr67
                                        ; implicit-def: $vgpr57
                                        ; implicit-def: $vgpr56
                                        ; implicit-def: $vgpr64
                                        ; implicit-def: $vgpr59
                                        ; implicit-def: $vgpr58
                                        ; implicit-def: $vgpr65
                                        ; implicit-def: $vgpr61
                                        ; implicit-def: $vgpr60
                                        ; implicit-def: $vgpr62
                                        ; implicit-def: $vgpr63
                                        ; implicit-def: $vgpr19
                                        ; implicit-def: $vgpr26
                                        ; implicit-def: $vgpr40
                                        ; implicit-def: $vgpr20
                                        ; implicit-def: $vgpr27
                                        ; implicit-def: $vgpr44
                                        ; implicit-def: $vgpr21
                                        ; implicit-def: $vgpr29
                                        ; implicit-def: $vgpr37
                                        ; implicit-def: $vgpr22
                                        ; implicit-def: $vgpr30
                                        ; implicit-def: $vgpr43
                                        ; implicit-def: $vgpr23
                                        ; implicit-def: $vgpr32
                                        ; implicit-def: $vgpr34
                                        ; implicit-def: $vgpr24
                                        ; implicit-def: $vgpr35
                                        ; implicit-def: $vgpr42
                                        ; implicit-def: $vgpr25
                                        ; implicit-def: $vgpr38
                                        ; implicit-def: $vgpr33
                                        ; implicit-def: $vgpr28
                                        ; implicit-def: $vgpr39
                                        ; implicit-def: $vgpr41
                                        ; implicit-def: $vgpr31
	s_and_b64 vcc, exec, s[40:41]
	s_cbranch_vccz .LBB97_82
.LBB97_77:
	v_lshlrev_b32_e32 v5, 2, v0
	v_mov_b32_e32 v1, s51
	v_add_co_u32_e32 v3, vcc, s50, v5
	v_addc_co_u32_e32 v4, vcc, 0, v1, vcc
	v_add_co_u32_e32 v1, vcc, 0x1000, v3
	v_addc_co_u32_e32 v2, vcc, 0, v4, vcc
	global_load_dword v6, v5, s[50:51]
	global_load_dword v7, v5, s[50:51] offset:1024
	global_load_dword v8, v5, s[50:51] offset:2048
	global_load_dword v9, v5, s[50:51] offset:3072
	global_load_dword v10, v[1:2], off
	global_load_dword v11, v[1:2], off offset:1024
	global_load_dword v12, v[1:2], off offset:2048
	;; [unrolled: 1-line block ×3, first 2 shown]
	v_add_co_u32_e32 v1, vcc, 0x2000, v3
	v_addc_co_u32_e32 v2, vcc, 0, v4, vcc
	v_add_co_u32_e32 v3, vcc, 0x3000, v3
	v_addc_co_u32_e32 v4, vcc, 0, v4, vcc
	global_load_dword v15, v[1:2], off
	global_load_dword v16, v[1:2], off offset:1024
	global_load_dword v17, v[1:2], off offset:2048
	;; [unrolled: 1-line block ×3, first 2 shown]
	global_load_dword v19, v[3:4], off
	global_load_dword v20, v[3:4], off offset:1024
	s_movk_i32 s2, 0xffcc
	v_mad_u32_u24 v21, v0, 52, v5
	v_mad_i32_i24 v13, v0, s2, v21
	s_movk_i32 s3, 0xff
	s_movk_i32 s8, 0x1000
	v_cmp_ne_u32_e32 vcc, s3, v0
	s_waitcnt vmcnt(12)
	ds_write2st64_b32 v5, v6, v7 offset1:4
	s_waitcnt vmcnt(10)
	ds_write2st64_b32 v5, v8, v9 offset0:8 offset1:12
	s_waitcnt vmcnt(8)
	ds_write2st64_b32 v5, v10, v11 offset0:16 offset1:20
	;; [unrolled: 2-line block ×6, first 2 shown]
	s_waitcnt lgkmcnt(0)
	s_barrier
	ds_read2_b64 v[9:12], v21 offset1:1
	ds_read2_b64 v[5:8], v21 offset0:2 offset1:3
	ds_read2_b64 v[1:4], v21 offset0:4 offset1:5
	ds_read_b64 v[17:18], v21 offset:48
	s_load_dword s2, s[50:51], 0x3800
	s_waitcnt lgkmcnt(0)
	ds_write_b32 v13, v9 offset:15360
	s_waitcnt lgkmcnt(0)
	s_barrier
	v_mov_b32_e32 v21, s2
	s_and_saveexec_b64 s[2:3], vcc
; %bb.78:
	ds_read_b32 v21, v13 offset:15364
; %bb.79:
	s_or_b64 exec, exec, s[2:3]
	v_lshlrev_b32_e32 v16, 1, v0
	v_mov_b32_e32 v14, s49
	v_add_co_u32_e32 v15, vcc, s48, v16
	v_addc_co_u32_e32 v19, vcc, 0, v14, vcc
	v_add_co_u32_e32 v14, vcc, s8, v15
	v_addc_co_u32_e32 v15, vcc, 0, v19, vcc
	s_waitcnt lgkmcnt(0)
	s_barrier
	global_load_ushort v20, v16, s[48:49]
	global_load_ushort v22, v16, s[48:49] offset:512
	global_load_ushort v24, v16, s[48:49] offset:1024
	;; [unrolled: 1-line block ×7, first 2 shown]
	global_load_ushort v19, v[14:15], off
	global_load_ushort v30, v[14:15], off offset:512
	global_load_ushort v31, v[14:15], off offset:1024
	;; [unrolled: 1-line block ×5, first 2 shown]
	v_sub_u32_e32 v23, v13, v16
	v_mad_u32_u24 v35, v0, 26, v23
	v_cmp_ne_u32_e32 vcc, v9, v10
	v_cmp_eq_u32_e64 s[2:3], v9, v10
	v_mov_b32_e32 v70, s7
	s_waitcnt vmcnt(13)
	ds_write_b16 v23, v20
	s_waitcnt vmcnt(12)
	ds_write_b16 v23, v22 offset:512
	s_waitcnt vmcnt(11)
	ds_write_b16 v23, v24 offset:1024
	;; [unrolled: 2-line block ×13, first 2 shown]
	s_waitcnt lgkmcnt(0)
	s_barrier
	ds_read_b128 v[13:16], v35 offset:2
	ds_read_b64 v[19:20], v35 offset:18
	ds_read_u16 v22, v35 offset:26
	s_and_saveexec_b64 s[8:9], s[2:3]
; %bb.80:
	v_mul_u32_u24_e32 v9, 26, v0
	v_add_u32_e32 v9, v23, v9
	ds_read_u16 v70, v9
; %bb.81:
	s_or_b64 exec, exec, s[8:9]
	v_cndmask_b32_e64 v36, 0, 1, vcc
	v_cmp_ne_u32_e32 vcc, v10, v11
	v_cmp_ne_u32_e64 s[2:3], v11, v12
	v_cmp_ne_u32_e64 s[18:19], v1, v2
	;; [unrolled: 1-line block ×3, first 2 shown]
	v_mov_b32_e32 v2, s7
	v_cndmask_b32_e64 v69, 0, 1, vcc
	v_cmp_ne_u32_e64 s[10:11], v5, v6
	v_cmp_ne_u32_e64 s[16:17], v8, v1
	s_waitcnt lgkmcnt(2)
	v_cndmask_b32_e32 v1, v13, v2, vcc
	s_mov_b64 vcc, s[2:3]
	v_cmp_ne_u32_e64 s[14:15], v7, v8
	v_cndmask_b32_sdwa v67, v13, v2, vcc dst_sel:DWORD dst_unused:UNUSED_PAD src0_sel:WORD_1 src1_sel:DWORD
	s_mov_b64 vcc, s[10:11]
	v_cndmask_b32_sdwa v63, v14, v2, vcc dst_sel:DWORD dst_unused:UNUSED_PAD src0_sel:WORD_1 src1_sel:DWORD
	s_mov_b64 vcc, s[14:15]
	v_cmp_ne_u32_e64 s[22:23], v3, v4
	v_cndmask_b32_sdwa v59, v15, v2, vcc dst_sel:DWORD dst_unused:UNUSED_PAD src0_sel:WORD_1 src1_sel:DWORD
	s_mov_b64 vcc, s[18:19]
	v_cmp_ne_u32_e64 s[26:27], v17, v18
	;; [unrolled: 3-line block ×3, first 2 shown]
	v_cmp_ne_u32_e64 s[12:13], v6, v7
	v_cmp_ne_u32_e64 s[24:25], v4, v17
	s_waitcnt lgkmcnt(1)
	v_cndmask_b32_sdwa v51, v19, v2, vcc dst_sel:DWORD dst_unused:UNUSED_PAD src0_sel:WORD_1 src1_sel:DWORD
	s_mov_b64 vcc, s[26:27]
	v_cndmask_b32_e64 v66, 0, 1, s[2:3]
	v_cndmask_b32_e64 v64, 0, 1, s[8:9]
	v_cndmask_b32_e64 v62, 0, 1, s[10:11]
	v_cndmask_b32_e64 v60, 0, 1, s[12:13]
	v_cndmask_b32_e64 v58, 0, 1, s[14:15]
	v_cndmask_b32_e64 v56, 0, 1, s[16:17]
	v_cndmask_b32_e64 v54, 0, 1, s[18:19]
	v_cndmask_b32_e64 v52, 0, 1, s[20:21]
	v_cndmask_b32_e64 v50, 0, 1, s[22:23]
	v_cndmask_b32_e64 v48, 0, 1, s[24:25]
	v_cndmask_b32_e64 v47, 0, 1, s[26:27]
	v_cndmask_b32_e64 v65, v14, v2, s[8:9]
	v_cndmask_b32_e64 v61, v15, v2, s[12:13]
	v_cndmask_b32_e64 v57, v16, v2, s[16:17]
	v_cndmask_b32_e64 v53, v19, v2, s[20:21]
	v_cndmask_b32_e64 v49, v20, v2, s[24:25]
	v_cndmask_b32_sdwa v45, v20, v2, vcc dst_sel:DWORD dst_unused:UNUSED_PAD src0_sel:WORD_1 src1_sel:DWORD
	v_cmp_ne_u32_e64 s[34:35], v18, v21
	s_waitcnt lgkmcnt(0)
	v_cndmask_b32_e64 v46, v22, v2, s[34:35]
	s_mov_b64 s[2:3], -1
	v_mov_b32_e32 v19, v45
	v_mov_b32_e32 v26, v47
	v_mov_b32_e32 v40, v70
	v_mov_b32_e32 v20, v49
	v_mov_b32_e32 v27, v48
	v_mov_b32_e32 v44, v69
	v_mov_b32_e32 v21, v51
	v_mov_b32_e32 v29, v50
	v_mov_b32_e32 v37, v1
	v_mov_b32_e32 v22, v53
	v_mov_b32_e32 v30, v52
	v_mov_b32_e32 v43, v66
	v_mov_b32_e32 v23, v55
	v_mov_b32_e32 v32, v54
	v_mov_b32_e32 v34, v67
	v_mov_b32_e32 v24, v57
	v_mov_b32_e32 v35, v56
	v_mov_b32_e32 v42, v64
	v_mov_b32_e32 v25, v59
	v_mov_b32_e32 v38, v58
	v_mov_b32_e32 v33, v65
	v_mov_b32_e32 v28, v61
	v_mov_b32_e32 v39, v60
	v_mov_b32_e32 v41, v62
	v_mov_b32_e32 v31, v63
.LBB97_82:
	v_mov_b32_e32 v11, 0
	v_mov_b32_e32 v10, 0
	s_and_saveexec_b64 s[8:9], s[2:3]
	s_cbranch_execz .LBB97_84
; %bb.83:
	v_cndmask_b32_e64 v10, 0, 1, s[34:35]
	v_mov_b32_e32 v31, v63
	v_mov_b32_e32 v41, v62
	;; [unrolled: 1-line block ×26, first 2 shown]
.LBB97_84:
	s_or_b64 exec, exec, s[8:9]
	v_or_b32_e32 v1, v39, v41
	v_or_b32_e32 v2, v29, v30
	v_and_b32_e32 v12, 1, v10
	s_cmp_lg_u32 s6, 0
	v_add_f16_e32 v16, v37, v40
	v_or_b32_e32 v15, v1, v38
	v_or_b32_e32 v14, v2, v27
	v_cmp_eq_u16_e64 s[28:29], 0, v10
	v_cmp_eq_u32_e32 vcc, 1, v12
	v_mbcnt_lo_u32_b32 v13, -1, 0
	s_barrier
	s_cbranch_scc0 .LBB97_158
; %bb.85:
	v_mov_b32_e32 v1, 0
	v_cmp_eq_u16_sdwa s[2:3], v44, v1 src0_sel:BYTE_0 src1_sel:DWORD
	v_cndmask_b32_e64 v2, v37, v16, s[2:3]
	v_add_f16_e32 v2, v2, v34
	v_cmp_eq_u16_sdwa s[30:31], v43, v1 src0_sel:BYTE_0 src1_sel:DWORD
	v_cndmask_b32_e64 v2, v34, v2, s[30:31]
	v_add_f16_e32 v2, v2, v33
	;; [unrolled: 3-line block ×8, first 2 shown]
	v_cmp_eq_u16_sdwa s[20:21], v30, v1 src0_sel:BYTE_0 src1_sel:DWORD
	v_or_b32_e32 v3, v15, v42
	v_cndmask_b32_e64 v2, v22, v2, s[20:21]
	v_or_b32_e32 v3, v3, v35
	v_add_f16_e32 v2, v2, v21
	v_cmp_eq_u16_sdwa s[22:23], v29, v1 src0_sel:BYTE_0 src1_sel:DWORD
	v_or_b32_e32 v3, v3, v32
	v_cndmask_b32_e64 v2, v21, v2, s[22:23]
	v_or_b32_e32 v3, v3, v43
	v_add_f16_e32 v2, v2, v20
	;; [unrolled: 5-line block ×3, first 2 shown]
	v_cmp_eq_u16_sdwa s[26:27], v26, v1 src0_sel:BYTE_0 src1_sel:DWORD
	v_or_b32_e32 v3, v4, v3
	v_cndmask_b32_e64 v2, v19, v2, s[26:27]
	v_cmp_eq_u16_sdwa s[34:35], v3, v1 src0_sel:BYTE_0 src1_sel:DWORD
	v_cndmask_b32_e64 v3, 1, v36, s[34:35]
	v_add_f16_e32 v1, v11, v2
	v_cndmask_b32_e64 v1, v11, v1, s[28:29]
	v_cndmask_b32_e64 v2, v3, 1, vcc
	v_mbcnt_hi_u32_b32 v3, -1, v13
	v_and_b32_e32 v7, 0xff, v2
	v_and_b32_e32 v4, 0xffff, v1
	v_and_b32_e32 v6, 15, v3
	v_lshl_or_b32 v4, v7, 16, v4
	v_cmp_ne_u32_e32 vcc, 0, v6
	s_nop 0
	v_mov_b32_dpp v5, v4 row_shr:1 row_mask:0xf bank_mask:0xf
	s_and_saveexec_b64 s[28:29], vcc
	s_cbranch_execz .LBB97_87
; %bb.86:
	v_add_f16_e32 v4, v1, v5
	v_cmp_eq_u16_e32 vcc, 0, v7
	v_cndmask_b32_e32 v1, v1, v4, vcc
	v_and_b32_e32 v2, 1, v2
	v_mov_b32_e32 v4, 1
	v_and_b32_sdwa v4, v5, v4 dst_sel:DWORD dst_unused:UNUSED_PAD src0_sel:WORD_1 src1_sel:DWORD
	v_cmp_eq_u32_e32 vcc, 1, v2
	v_cndmask_b32_e64 v2, v4, 1, vcc
	v_lshlrev_b32_e32 v4, 16, v2
	v_or_b32_sdwa v4, v4, v1 dst_sel:DWORD dst_unused:UNUSED_PAD src0_sel:DWORD src1_sel:WORD_0
.LBB97_87:
	s_or_b64 exec, exec, s[28:29]
	v_lshrrev_b32_e32 v5, 16, v4
	v_mov_b32_dpp v7, v4 row_shr:2 row_mask:0xf bank_mask:0xf
	v_cmp_lt_u32_e32 vcc, 1, v6
	s_and_saveexec_b64 s[28:29], vcc
	s_cbranch_execz .LBB97_89
; %bb.88:
	s_mov_b32 s34, 0x10000
	v_add_f16_e32 v2, v1, v7
	v_cmp_gt_u32_e32 vcc, s34, v4
	v_cndmask_b32_e32 v1, v1, v2, vcc
	v_and_b32_e32 v2, 0x10000, v4
	v_mov_b32_e32 v4, 1
	v_and_b32_sdwa v4, v7, v4 dst_sel:DWORD dst_unused:UNUSED_PAD src0_sel:WORD_1 src1_sel:DWORD
	v_cmp_ne_u32_e32 vcc, 0, v2
	v_cndmask_b32_e64 v2, v4, 1, vcc
	v_lshlrev_b32_e32 v4, 16, v2
	v_or_b32_sdwa v4, v4, v1 dst_sel:DWORD dst_unused:UNUSED_PAD src0_sel:DWORD src1_sel:WORD_0
	v_mov_b32_e32 v5, v2
.LBB97_89:
	s_or_b64 exec, exec, s[28:29]
	v_mov_b32_dpp v7, v4 row_shr:4 row_mask:0xf bank_mask:0xf
	v_cmp_lt_u32_e32 vcc, 3, v6
	s_and_saveexec_b64 s[28:29], vcc
	s_cbranch_execz .LBB97_91
; %bb.90:
	v_add_f16_e32 v2, v1, v7
	v_cmp_eq_u16_e32 vcc, 0, v5
	v_cndmask_b32_e32 v1, v1, v2, vcc
	v_and_b32_e32 v2, 1, v5
	v_mov_b32_e32 v4, 1
	v_and_b32_sdwa v4, v7, v4 dst_sel:DWORD dst_unused:UNUSED_PAD src0_sel:WORD_1 src1_sel:DWORD
	v_cmp_eq_u32_e32 vcc, 1, v2
	v_cndmask_b32_e64 v2, v4, 1, vcc
	v_lshlrev_b32_e32 v4, 16, v2
	v_or_b32_sdwa v4, v4, v1 dst_sel:DWORD dst_unused:UNUSED_PAD src0_sel:DWORD src1_sel:WORD_0
	v_mov_b32_e32 v5, v2
.LBB97_91:
	s_or_b64 exec, exec, s[28:29]
	v_mov_b32_dpp v7, v4 row_shr:8 row_mask:0xf bank_mask:0xf
	v_cmp_lt_u32_e32 vcc, 7, v6
	s_and_saveexec_b64 s[28:29], vcc
	s_cbranch_execz .LBB97_93
; %bb.92:
	v_add_f16_e32 v2, v1, v7
	v_cmp_eq_u16_e32 vcc, 0, v5
	v_cndmask_b32_e32 v1, v1, v2, vcc
	v_and_b32_e32 v2, 1, v5
	v_mov_b32_e32 v4, 1
	v_and_b32_sdwa v4, v7, v4 dst_sel:DWORD dst_unused:UNUSED_PAD src0_sel:WORD_1 src1_sel:DWORD
	v_cmp_eq_u32_e32 vcc, 1, v2
	v_cndmask_b32_e64 v2, v4, 1, vcc
	v_lshlrev_b32_e32 v4, 16, v2
	v_or_b32_sdwa v4, v4, v1 dst_sel:DWORD dst_unused:UNUSED_PAD src0_sel:DWORD src1_sel:WORD_0
	v_mov_b32_e32 v5, v2
.LBB97_93:
	s_or_b64 exec, exec, s[28:29]
	v_and_b32_e32 v7, 16, v3
	v_mov_b32_dpp v6, v4 row_bcast:15 row_mask:0xf bank_mask:0xf
	v_cmp_ne_u32_e32 vcc, 0, v7
	s_and_saveexec_b64 s[28:29], vcc
	s_cbranch_execz .LBB97_95
; %bb.94:
	v_add_f16_e32 v2, v1, v6
	v_cmp_eq_u16_e32 vcc, 0, v5
	v_cndmask_b32_e32 v1, v1, v2, vcc
	v_and_b32_e32 v2, 1, v5
	v_mov_b32_e32 v4, 1
	v_and_b32_sdwa v4, v6, v4 dst_sel:DWORD dst_unused:UNUSED_PAD src0_sel:WORD_1 src1_sel:DWORD
	v_cmp_eq_u32_e32 vcc, 1, v2
	v_cndmask_b32_e64 v2, v4, 1, vcc
	v_lshlrev_b32_e32 v4, 16, v2
	v_or_b32_sdwa v4, v4, v1 dst_sel:DWORD dst_unused:UNUSED_PAD src0_sel:DWORD src1_sel:WORD_0
	v_mov_b32_e32 v5, v2
.LBB97_95:
	s_or_b64 exec, exec, s[28:29]
	v_mov_b32_dpp v4, v4 row_bcast:31 row_mask:0xf bank_mask:0xf
	v_cmp_lt_u32_e32 vcc, 31, v3
	s_and_saveexec_b64 s[28:29], vcc
; %bb.96:
	v_and_b32_e32 v2, 1, v5
	v_mov_b32_e32 v7, 1
	v_add_f16_e32 v6, v1, v4
	v_and_b32_sdwa v4, v4, v7 dst_sel:DWORD dst_unused:UNUSED_PAD src0_sel:WORD_1 src1_sel:DWORD
	v_cmp_eq_u32_e32 vcc, 1, v2
	v_cndmask_b32_e64 v2, v4, 1, vcc
	v_cmp_eq_u16_e32 vcc, 0, v5
	v_cndmask_b32_e32 v1, v1, v6, vcc
; %bb.97:
	s_or_b64 exec, exec, s[28:29]
	v_lshrrev_b32_e32 v4, 6, v0
	v_or_b32_e32 v5, 63, v0
	v_cmp_eq_u32_e32 vcc, v0, v5
	v_lshlrev_b32_e32 v4, 2, v4
	s_and_saveexec_b64 s[28:29], vcc
	s_cbranch_execz .LBB97_99
; %bb.98:
	ds_write_b16 v4, v1
	ds_write_b8 v4, v2 offset:2
.LBB97_99:
	s_or_b64 exec, exec, s[28:29]
	v_cmp_gt_u32_e32 vcc, 4, v0
	s_waitcnt lgkmcnt(0)
	s_barrier
	s_and_saveexec_b64 s[28:29], vcc
	s_cbranch_execz .LBB97_105
; %bb.100:
	v_lshlrev_b32_e32 v5, 2, v0
	ds_read_b32 v7, v5
	v_and_b32_e32 v9, 3, v3
	v_cmp_ne_u32_e32 vcc, 0, v9
	s_waitcnt lgkmcnt(0)
	v_lshrrev_b32_e32 v8, 16, v7
	v_mov_b32_dpp v17, v7 row_shr:1 row_mask:0xf bank_mask:0xf
	v_mov_b32_e32 v6, v7
	s_and_saveexec_b64 s[34:35], vcc
	s_cbranch_execz .LBB97_102
; %bb.101:
	v_mov_b32_e32 v6, 0
	v_add_f16_e32 v45, v7, v17
	v_cmp_eq_u16_sdwa vcc, v8, v6 src0_sel:BYTE_0 src1_sel:DWORD
	v_and_b32_e32 v18, 0xff000000, v7
	v_cndmask_b32_e32 v6, v7, v45, vcc
	v_and_b32_e32 v7, 0x10000, v7
	v_mov_b32_e32 v8, 1
	v_and_b32_sdwa v8, v17, v8 dst_sel:DWORD dst_unused:UNUSED_PAD src0_sel:WORD_1 src1_sel:DWORD
	v_cmp_ne_u32_e32 vcc, 0, v7
	v_cndmask_b32_e64 v8, v8, 1, vcc
	v_lshlrev_b32_e32 v7, 16, v8
	v_and_b32_e32 v17, 0xffff, v6
	v_or3_b32 v7, v7, v18, v17
.LBB97_102:
	s_or_b64 exec, exec, s[34:35]
	s_nop 0
	v_mov_b32_dpp v17, v7 row_shr:2 row_mask:0xf bank_mask:0xf
	v_cmp_lt_u32_e32 vcc, 1, v9
	s_and_saveexec_b64 s[34:35], vcc
; %bb.103:
	v_and_b32_e32 v8, 0xff0000, v7
	v_add_f16_e32 v9, v6, v17
	v_cmp_eq_u32_e32 vcc, 0, v8
	v_and_b32_e32 v7, 0x10000, v7
	v_mov_b32_e32 v8, 1
	v_cndmask_b32_e32 v6, v6, v9, vcc
	v_and_b32_sdwa v8, v17, v8 dst_sel:DWORD dst_unused:UNUSED_PAD src0_sel:WORD_1 src1_sel:DWORD
	v_cmp_eq_u32_e32 vcc, 0, v7
	v_cndmask_b32_e32 v8, 1, v8, vcc
; %bb.104:
	s_or_b64 exec, exec, s[34:35]
	ds_write_b16 v5, v6
	ds_write_b8 v5, v8 offset:2
.LBB97_105:
	s_or_b64 exec, exec, s[28:29]
	v_cmp_gt_u32_e32 vcc, 64, v0
	v_cmp_lt_u32_e64 s[28:29], 63, v0
	v_mov_b32_e32 v18, 0
	v_mov_b32_e32 v17, 0
	s_waitcnt lgkmcnt(0)
	s_barrier
	s_and_saveexec_b64 s[34:35], s[28:29]
	s_cbranch_execz .LBB97_107
; %bb.106:
	v_add_u32_e32 v5, -4, v4
	ds_read_u16 v17, v5
	v_add_u32_e32 v4, -2, v4
	ds_read_u8 v18, v4
	v_mov_b32_e32 v5, 0
	v_cmp_eq_u16_sdwa s[28:29], v2, v5 src0_sel:BYTE_0 src1_sel:DWORD
	s_waitcnt lgkmcnt(1)
	v_add_f16_e32 v4, v1, v17
	v_and_b32_e32 v2, 1, v2
	v_cndmask_b32_e64 v1, v1, v4, s[28:29]
	v_cmp_eq_u32_e64 s[28:29], 1, v2
	s_waitcnt lgkmcnt(0)
	v_cndmask_b32_e64 v2, v18, 1, s[28:29]
.LBB97_107:
	s_or_b64 exec, exec, s[34:35]
	v_and_b32_e32 v2, 0xff, v2
	v_and_b32_e32 v1, 0xffff, v1
	v_lshl_or_b32 v1, v2, 16, v1
	v_subrev_co_u32_e64 v2, s[28:29], 1, v3
	v_and_b32_e32 v4, 64, v3
	v_cmp_lt_i32_e64 s[34:35], v2, v4
	v_cndmask_b32_e64 v2, v2, v3, s[34:35]
	v_lshlrev_b32_e32 v2, 2, v2
	ds_bpermute_b32 v45, v2, v1
	s_and_saveexec_b64 s[34:35], vcc
	s_cbranch_execz .LBB97_163
; %bb.108:
	v_mov_b32_e32 v6, 0
	ds_read_b32 v1, v6 offset:12
	s_and_saveexec_b64 s[40:41], s[28:29]
	s_cbranch_execz .LBB97_110
; %bb.109:
	s_add_i32 s42, s6, 64
	s_mov_b32 s43, 0
	s_lshl_b64 s[42:43], s[42:43], 3
	s_add_u32 s42, s36, s42
	v_mov_b32_e32 v2, 1
	s_addc_u32 s43, s37, s43
	s_waitcnt lgkmcnt(0)
	global_store_dwordx2 v6, v[1:2], s[42:43]
.LBB97_110:
	s_or_b64 exec, exec, s[40:41]
	v_xad_u32 v2, v3, -1, s6
	v_add_u32_e32 v5, 64, v2
	v_lshlrev_b64 v[4:5], 3, v[5:6]
	v_mov_b32_e32 v8, s37
	v_add_co_u32_e32 v7, vcc, s36, v4
	v_addc_co_u32_e32 v8, vcc, v8, v5, vcc
	global_load_dwordx2 v[4:5], v[7:8], off glc
	s_waitcnt vmcnt(0)
	v_cmp_eq_u16_sdwa s[42:43], v5, v6 src0_sel:BYTE_0 src1_sel:DWORD
	s_and_saveexec_b64 s[40:41], s[42:43]
	s_cbranch_execz .LBB97_114
; %bb.111:
	s_mov_b64 s[42:43], 0
	v_mov_b32_e32 v6, 0
.LBB97_112:                             ; =>This Inner Loop Header: Depth=1
	global_load_dwordx2 v[4:5], v[7:8], off glc
	s_waitcnt vmcnt(0)
	v_cmp_ne_u16_sdwa s[48:49], v5, v6 src0_sel:BYTE_0 src1_sel:DWORD
	s_or_b64 s[42:43], s[48:49], s[42:43]
	s_andn2_b64 exec, exec, s[42:43]
	s_cbranch_execnz .LBB97_112
; %bb.113:
	s_or_b64 exec, exec, s[42:43]
.LBB97_114:
	s_or_b64 exec, exec, s[40:41]
	v_mov_b32_e32 v8, 2
	v_lshlrev_b64 v[6:7], v3, -1
	v_cmp_eq_u16_sdwa s[40:41], v5, v8 src0_sel:BYTE_0 src1_sel:DWORD
	v_and_b32_e32 v8, s41, v7
	v_or_b32_e32 v8, 0x80000000, v8
	v_and_b32_e32 v9, s40, v6
	v_ffbl_b32_e32 v8, v8
	v_and_b32_e32 v54, 63, v3
	v_add_u32_e32 v8, 32, v8
	v_ffbl_b32_e32 v9, v9
	v_cmp_ne_u32_e32 vcc, 63, v54
	v_min_u32_e32 v8, v9, v8
	v_addc_co_u32_e32 v9, vcc, 0, v3, vcc
	v_and_b32_e32 v57, 0xffffff, v4
	v_lshlrev_b32_e32 v46, 2, v9
	ds_bpermute_b32 v48, v46, v57
	v_add_u32_e32 v47, 1, v3
	v_lshrrev_b32_e32 v9, 16, v4
	v_cmp_le_u32_e32 vcc, v47, v8
	v_bfe_u32 v56, v4, 16, 8
	s_and_saveexec_b64 s[40:41], vcc
	s_cbranch_execz .LBB97_116
; %bb.115:
	v_and_b32_e32 v9, 0xff0000, v4
	s_waitcnt lgkmcnt(0)
	v_add_f16_e32 v49, v4, v48
	v_cmp_eq_u32_e32 vcc, 0, v9
	v_cndmask_b32_e32 v4, v4, v49, vcc
	v_and_b32_e32 v9, 0x10000, v9
	v_mov_b32_e32 v49, 1
	v_and_b32_sdwa v48, v48, v49 dst_sel:DWORD dst_unused:UNUSED_PAD src0_sel:WORD_1 src1_sel:DWORD
	v_cmp_ne_u32_e32 vcc, 0, v9
	v_cndmask_b32_e64 v9, v48, 1, vcc
	v_lshlrev_b32_e32 v48, 16, v9
	v_or_b32_sdwa v57, v48, v4 dst_sel:DWORD dst_unused:UNUSED_PAD src0_sel:DWORD src1_sel:WORD_0
	v_mov_b32_e32 v56, v9
.LBB97_116:
	s_or_b64 exec, exec, s[40:41]
	v_cmp_gt_u32_e32 vcc, 62, v54
	s_waitcnt lgkmcnt(0)
	v_cndmask_b32_e64 v48, 0, 2, vcc
	v_add_lshl_u32 v48, v48, v3, 2
	ds_bpermute_b32 v50, v48, v57
	v_add_u32_e32 v49, 2, v3
	v_cmp_le_u32_e32 vcc, v49, v8
	s_and_saveexec_b64 s[40:41], vcc
	s_cbranch_execz .LBB97_118
; %bb.117:
	s_waitcnt lgkmcnt(0)
	v_add_f16_e32 v9, v4, v50
	v_cmp_eq_u16_e32 vcc, 0, v56
	v_cndmask_b32_e32 v4, v4, v9, vcc
	v_and_b32_e32 v9, 1, v56
	v_mov_b32_e32 v51, 1
	v_and_b32_sdwa v50, v50, v51 dst_sel:DWORD dst_unused:UNUSED_PAD src0_sel:WORD_1 src1_sel:DWORD
	v_cmp_eq_u32_e32 vcc, 1, v9
	v_cndmask_b32_e64 v9, v50, 1, vcc
	v_lshlrev_b32_e32 v50, 16, v9
	v_or_b32_sdwa v57, v50, v4 dst_sel:DWORD dst_unused:UNUSED_PAD src0_sel:DWORD src1_sel:WORD_0
	v_mov_b32_e32 v56, v9
.LBB97_118:
	s_or_b64 exec, exec, s[40:41]
	v_cmp_gt_u32_e32 vcc, 60, v54
	s_waitcnt lgkmcnt(0)
	v_cndmask_b32_e64 v50, 0, 4, vcc
	v_add_lshl_u32 v50, v50, v3, 2
	ds_bpermute_b32 v52, v50, v57
	v_add_u32_e32 v51, 4, v3
	v_cmp_le_u32_e32 vcc, v51, v8
	s_and_saveexec_b64 s[40:41], vcc
	s_cbranch_execz .LBB97_120
; %bb.119:
	s_waitcnt lgkmcnt(0)
	v_add_f16_e32 v9, v4, v52
	v_cmp_eq_u16_e32 vcc, 0, v56
	v_cndmask_b32_e32 v4, v4, v9, vcc
	v_and_b32_e32 v9, 1, v56
	v_mov_b32_e32 v53, 1
	v_and_b32_sdwa v52, v52, v53 dst_sel:DWORD dst_unused:UNUSED_PAD src0_sel:WORD_1 src1_sel:DWORD
	v_cmp_eq_u32_e32 vcc, 1, v9
	v_cndmask_b32_e64 v9, v52, 1, vcc
	v_lshlrev_b32_e32 v52, 16, v9
	v_or_b32_sdwa v57, v52, v4 dst_sel:DWORD dst_unused:UNUSED_PAD src0_sel:DWORD src1_sel:WORD_0
	v_mov_b32_e32 v56, v9
.LBB97_120:
	;; [unrolled: 24-line block ×3, first 2 shown]
	s_or_b64 exec, exec, s[40:41]
	v_cmp_gt_u32_e32 vcc, 48, v54
	v_cndmask_b32_e64 v54, 0, 16, vcc
	v_add_lshl_u32 v54, v54, v3, 2
	ds_bpermute_b32 v58, v54, v57
	s_waitcnt lgkmcnt(1)
	v_add_u32_e32 v55, 16, v3
	v_cmp_le_u32_e32 vcc, v55, v8
	s_and_saveexec_b64 s[40:41], vcc
	s_cbranch_execz .LBB97_124
; %bb.123:
	s_waitcnt lgkmcnt(0)
	v_add_f16_e32 v9, v4, v58
	v_cmp_eq_u16_e32 vcc, 0, v56
	v_cndmask_b32_e32 v4, v4, v9, vcc
	v_and_b32_e32 v9, 1, v56
	v_mov_b32_e32 v56, 1
	v_and_b32_sdwa v56, v58, v56 dst_sel:DWORD dst_unused:UNUSED_PAD src0_sel:WORD_1 src1_sel:DWORD
	v_cmp_eq_u32_e32 vcc, 1, v9
	v_cndmask_b32_e64 v9, v56, 1, vcc
	v_lshlrev_b32_e32 v56, 16, v9
	v_or_b32_sdwa v57, v56, v4 dst_sel:DWORD dst_unused:UNUSED_PAD src0_sel:DWORD src1_sel:WORD_0
	v_mov_b32_e32 v56, v9
.LBB97_124:
	s_or_b64 exec, exec, s[40:41]
	s_waitcnt lgkmcnt(0)
	v_mov_b32_e32 v58, 0x80
	v_lshl_or_b32 v58, v3, 2, v58
	ds_bpermute_b32 v57, v58, v57
	v_add_u32_e32 v59, 32, v3
	v_cmp_le_u32_e32 vcc, v59, v8
	s_and_saveexec_b64 s[40:41], vcc
	s_cbranch_execz .LBB97_126
; %bb.125:
	s_waitcnt lgkmcnt(0)
	v_add_f16_e32 v3, v4, v57
	v_cmp_eq_u16_e32 vcc, 0, v56
	v_cndmask_b32_e32 v4, v4, v3, vcc
	v_and_b32_e32 v3, 1, v56
	v_mov_b32_e32 v8, 1
	v_and_b32_sdwa v8, v57, v8 dst_sel:DWORD dst_unused:UNUSED_PAD src0_sel:WORD_1 src1_sel:DWORD
	v_cmp_eq_u32_e32 vcc, 1, v3
	v_cndmask_b32_e64 v9, v8, 1, vcc
.LBB97_126:
	s_or_b64 exec, exec, s[40:41]
	v_mov_b32_e32 v3, 0
	v_mov_b32_e32 v60, 2
	;; [unrolled: 1-line block ×3, first 2 shown]
	s_branch .LBB97_129
.LBB97_127:                             ;   in Loop: Header=BB97_129 Depth=1
	s_or_b64 exec, exec, s[40:41]
	v_add_f16_e32 v4, v57, v4
	v_cmp_eq_u16_sdwa vcc, v56, v3 src0_sel:BYTE_0 src1_sel:DWORD
	v_and_b32_e32 v8, 1, v56
	v_cndmask_b32_e32 v4, v57, v4, vcc
	v_and_b32_e32 v9, 1, v9
	v_cmp_eq_u32_e32 vcc, 1, v8
	v_subrev_u32_e32 v2, 64, v2
	v_cndmask_b32_e64 v9, v9, 1, vcc
	s_mov_b64 s[40:41], 0
.LBB97_128:                             ;   in Loop: Header=BB97_129 Depth=1
	s_and_b64 vcc, exec, s[40:41]
	s_cbranch_vccnz .LBB97_159
.LBB97_129:                             ; =>This Loop Header: Depth=1
                                        ;     Child Loop BB97_132 Depth 2
	v_cmp_ne_u16_sdwa s[40:41], v5, v60 src0_sel:BYTE_0 src1_sel:DWORD
	v_mov_b32_e32 v56, v9
	s_waitcnt lgkmcnt(0)
	v_mov_b32_e32 v57, v4
	s_cmp_lg_u64 s[40:41], exec
	s_mov_b64 s[40:41], -1
                                        ; implicit-def: $vgpr9
                                        ; implicit-def: $vgpr4
	s_cbranch_scc1 .LBB97_128
; %bb.130:                              ;   in Loop: Header=BB97_129 Depth=1
	v_lshlrev_b64 v[4:5], 3, v[2:3]
	v_mov_b32_e32 v9, s37
	v_add_co_u32_e32 v8, vcc, s36, v4
	v_addc_co_u32_e32 v9, vcc, v9, v5, vcc
	global_load_dwordx2 v[4:5], v[8:9], off glc
	s_waitcnt vmcnt(0)
	v_cmp_eq_u16_sdwa s[42:43], v5, v3 src0_sel:BYTE_0 src1_sel:DWORD
	s_and_saveexec_b64 s[40:41], s[42:43]
	s_cbranch_execz .LBB97_134
; %bb.131:                              ;   in Loop: Header=BB97_129 Depth=1
	s_mov_b64 s[42:43], 0
.LBB97_132:                             ;   Parent Loop BB97_129 Depth=1
                                        ; =>  This Inner Loop Header: Depth=2
	global_load_dwordx2 v[4:5], v[8:9], off glc
	s_waitcnt vmcnt(0)
	v_cmp_ne_u16_sdwa s[48:49], v5, v3 src0_sel:BYTE_0 src1_sel:DWORD
	s_or_b64 s[42:43], s[48:49], s[42:43]
	s_andn2_b64 exec, exec, s[42:43]
	s_cbranch_execnz .LBB97_132
; %bb.133:                              ;   in Loop: Header=BB97_129 Depth=1
	s_or_b64 exec, exec, s[42:43]
.LBB97_134:                             ;   in Loop: Header=BB97_129 Depth=1
	s_or_b64 exec, exec, s[40:41]
	v_cmp_eq_u16_sdwa s[40:41], v5, v60 src0_sel:BYTE_0 src1_sel:DWORD
	v_and_b32_e32 v8, s41, v7
	v_and_b32_e32 v63, 0xffffff, v4
	v_or_b32_e32 v8, 0x80000000, v8
	ds_bpermute_b32 v64, v46, v63
	v_and_b32_e32 v9, s40, v6
	v_ffbl_b32_e32 v8, v8
	v_add_u32_e32 v8, 32, v8
	v_ffbl_b32_e32 v9, v9
	v_min_u32_e32 v8, v9, v8
	v_lshrrev_b32_e32 v9, 16, v4
	v_cmp_le_u32_e32 vcc, v47, v8
	v_bfe_u32 v62, v4, 16, 8
	s_and_saveexec_b64 s[40:41], vcc
	s_cbranch_execz .LBB97_136
; %bb.135:                              ;   in Loop: Header=BB97_129 Depth=1
	v_and_b32_e32 v9, 0xff0000, v4
	s_waitcnt lgkmcnt(0)
	v_add_f16_e32 v62, v4, v64
	v_cmp_eq_u32_e32 vcc, 0, v9
	v_and_b32_e32 v9, 0x10000, v9
	v_cndmask_b32_e32 v4, v4, v62, vcc
	v_and_b32_sdwa v62, v64, v61 dst_sel:DWORD dst_unused:UNUSED_PAD src0_sel:WORD_1 src1_sel:DWORD
	v_cmp_ne_u32_e32 vcc, 0, v9
	v_cndmask_b32_e64 v9, v62, 1, vcc
	v_lshlrev_b32_e32 v62, 16, v9
	v_or_b32_sdwa v63, v62, v4 dst_sel:DWORD dst_unused:UNUSED_PAD src0_sel:DWORD src1_sel:WORD_0
	v_mov_b32_e32 v62, v9
.LBB97_136:                             ;   in Loop: Header=BB97_129 Depth=1
	s_or_b64 exec, exec, s[40:41]
	s_waitcnt lgkmcnt(0)
	ds_bpermute_b32 v64, v48, v63
	v_cmp_le_u32_e32 vcc, v49, v8
	s_and_saveexec_b64 s[40:41], vcc
	s_cbranch_execz .LBB97_138
; %bb.137:                              ;   in Loop: Header=BB97_129 Depth=1
	s_waitcnt lgkmcnt(0)
	v_add_f16_e32 v9, v4, v64
	v_cmp_eq_u16_e32 vcc, 0, v62
	v_cndmask_b32_e32 v4, v4, v9, vcc
	v_and_b32_e32 v9, 1, v62
	v_and_b32_sdwa v62, v64, v61 dst_sel:DWORD dst_unused:UNUSED_PAD src0_sel:WORD_1 src1_sel:DWORD
	v_cmp_eq_u32_e32 vcc, 1, v9
	v_cndmask_b32_e64 v9, v62, 1, vcc
	v_lshlrev_b32_e32 v62, 16, v9
	v_or_b32_sdwa v63, v62, v4 dst_sel:DWORD dst_unused:UNUSED_PAD src0_sel:DWORD src1_sel:WORD_0
	v_mov_b32_e32 v62, v9
.LBB97_138:                             ;   in Loop: Header=BB97_129 Depth=1
	s_or_b64 exec, exec, s[40:41]
	s_waitcnt lgkmcnt(0)
	ds_bpermute_b32 v64, v50, v63
	v_cmp_le_u32_e32 vcc, v51, v8
	s_and_saveexec_b64 s[40:41], vcc
	s_cbranch_execz .LBB97_140
; %bb.139:                              ;   in Loop: Header=BB97_129 Depth=1
	s_waitcnt lgkmcnt(0)
	v_add_f16_e32 v9, v4, v64
	v_cmp_eq_u16_e32 vcc, 0, v62
	v_cndmask_b32_e32 v4, v4, v9, vcc
	v_and_b32_e32 v9, 1, v62
	v_and_b32_sdwa v62, v64, v61 dst_sel:DWORD dst_unused:UNUSED_PAD src0_sel:WORD_1 src1_sel:DWORD
	v_cmp_eq_u32_e32 vcc, 1, v9
	v_cndmask_b32_e64 v9, v62, 1, vcc
	v_lshlrev_b32_e32 v62, 16, v9
	v_or_b32_sdwa v63, v62, v4 dst_sel:DWORD dst_unused:UNUSED_PAD src0_sel:DWORD src1_sel:WORD_0
	v_mov_b32_e32 v62, v9
.LBB97_140:                             ;   in Loop: Header=BB97_129 Depth=1
	;; [unrolled: 19-line block ×4, first 2 shown]
	s_or_b64 exec, exec, s[40:41]
	ds_bpermute_b32 v63, v58, v63
	v_cmp_le_u32_e32 vcc, v59, v8
	s_and_saveexec_b64 s[40:41], vcc
	s_cbranch_execz .LBB97_127
; %bb.145:                              ;   in Loop: Header=BB97_129 Depth=1
	s_waitcnt lgkmcnt(0)
	v_add_f16_e32 v8, v4, v63
	v_cmp_eq_u16_e32 vcc, 0, v62
	v_cndmask_b32_e32 v4, v4, v8, vcc
	v_and_b32_e32 v8, 1, v62
	v_lshrrev_b32_e32 v9, 16, v63
	v_cmp_eq_u32_e32 vcc, 1, v8
	v_cndmask_b32_e64 v9, v9, 1, vcc
	s_branch .LBB97_127
.LBB97_146:
	s_or_b64 exec, exec, s[40:41]
                                        ; implicit-def: $vgpr20
	s_and_saveexec_b64 s[2:3], s[34:35]
	s_cbranch_execz .LBB97_33
.LBB97_147:
	global_load_ushort v20, v[1:2], off offset:512
	s_or_b64 exec, exec, s[2:3]
                                        ; implicit-def: $vgpr21
	s_and_saveexec_b64 s[2:3], s[8:9]
	s_cbranch_execnz .LBB97_34
.LBB97_148:
	s_or_b64 exec, exec, s[2:3]
                                        ; implicit-def: $vgpr22
	s_and_saveexec_b64 s[2:3], s[10:11]
	s_cbranch_execz .LBB97_35
.LBB97_149:
	global_load_ushort v22, v[1:2], off offset:1536
	s_or_b64 exec, exec, s[2:3]
                                        ; implicit-def: $vgpr23
	s_and_saveexec_b64 s[2:3], s[12:13]
	s_cbranch_execnz .LBB97_36
.LBB97_150:
	s_or_b64 exec, exec, s[2:3]
                                        ; implicit-def: $vgpr24
	s_and_saveexec_b64 s[2:3], s[14:15]
	s_cbranch_execz .LBB97_37
.LBB97_151:
	global_load_ushort v24, v[1:2], off offset:2560
	s_or_b64 exec, exec, s[2:3]
                                        ; implicit-def: $vgpr25
	s_and_saveexec_b64 s[2:3], s[16:17]
	s_cbranch_execnz .LBB97_38
.LBB97_152:
	s_or_b64 exec, exec, s[2:3]
                                        ; implicit-def: $vgpr26
	s_and_saveexec_b64 s[2:3], s[18:19]
	s_cbranch_execz .LBB97_39
.LBB97_153:
	global_load_ushort v26, v[1:2], off offset:3584
	s_or_b64 exec, exec, s[2:3]
                                        ; implicit-def: $vgpr27
	s_and_saveexec_b64 s[2:3], s[20:21]
	s_cbranch_execnz .LBB97_40
.LBB97_154:
	s_or_b64 exec, exec, s[2:3]
                                        ; implicit-def: $vgpr28
	s_and_saveexec_b64 s[2:3], s[22:23]
	s_cbranch_execz .LBB97_41
.LBB97_155:
	v_add_co_u32_e32 v28, vcc, 0x1000, v1
	v_addc_co_u32_e32 v29, vcc, 0, v2, vcc
	global_load_ushort v28, v[28:29], off offset:512
	s_or_b64 exec, exec, s[2:3]
                                        ; implicit-def: $vgpr29
	s_and_saveexec_b64 s[2:3], s[24:25]
	s_cbranch_execnz .LBB97_42
.LBB97_156:
	s_or_b64 exec, exec, s[2:3]
                                        ; implicit-def: $vgpr30
	s_and_saveexec_b64 s[2:3], s[26:27]
	s_cbranch_execz .LBB97_43
.LBB97_157:
	v_add_co_u32_e32 v30, vcc, 0x1000, v1
	v_addc_co_u32_e32 v31, vcc, 0, v2, vcc
	global_load_ushort v30, v[30:31], off offset:1536
	s_or_b64 exec, exec, s[2:3]
                                        ; implicit-def: $vgpr31
	s_and_saveexec_b64 s[2:3], s[28:29]
	s_cbranch_execz .LBB97_45
	s_branch .LBB97_44
.LBB97_158:
                                        ; implicit-def: $vgpr49
                                        ; implicit-def: $vgpr47
                                        ; implicit-def: $vgpr4
                                        ; implicit-def: $vgpr48
                                        ; implicit-def: $vgpr46
                                        ; implicit-def: $vgpr3
                                        ; implicit-def: $vgpr45
                                        ; implicit-def: $vgpr17
                                        ; implicit-def: $vgpr5
                                        ; implicit-def: $vgpr18
                                        ; implicit-def: $vgpr9
                                        ; implicit-def: $vgpr6
                                        ; implicit-def: $vgpr8
                                        ; implicit-def: $vgpr7
	s_cbranch_execnz .LBB97_164
	s_branch .LBB97_195
.LBB97_159:
	s_and_saveexec_b64 s[40:41], s[28:29]
	s_cbranch_execz .LBB97_161
; %bb.160:
	v_and_b32_e32 v2, 0xff0000, v1
	v_add_f16_e32 v3, v1, v57
	v_cmp_eq_u32_e32 vcc, 0, v2
	s_mov_b32 s43, 0
	v_cndmask_b32_e32 v2, v1, v3, vcc
	v_and_b32_e32 v1, 0x10000, v1
	v_mov_b32_e32 v3, 1
	s_add_i32 s42, s6, 64
	v_and_b32_sdwa v3, v56, v3 dst_sel:WORD_1 dst_unused:UNUSED_PAD src0_sel:DWORD src1_sel:DWORD
	v_mov_b32_e32 v4, 0x10000
	v_cmp_eq_u32_e32 vcc, 0, v1
	s_lshl_b64 s[42:43], s[42:43], 3
	v_cndmask_b32_e32 v1, v4, v3, vcc
	s_add_u32 s42, s36, s42
	s_addc_u32 s43, s37, s43
	v_mov_b32_e32 v3, 0
	v_or_b32_sdwa v1, v1, v2 dst_sel:DWORD dst_unused:UNUSED_PAD src0_sel:DWORD src1_sel:WORD_0
	v_mov_b32_e32 v2, 2
	global_store_dwordx2 v3, v[1:2], s[42:43]
.LBB97_161:
	s_or_b64 exec, exec, s[40:41]
	v_cmp_eq_u32_e32 vcc, 0, v0
	s_and_b64 exec, exec, vcc
	s_cbranch_execz .LBB97_163
; %bb.162:
	v_mov_b32_e32 v1, 0
	ds_write_b16 v1, v57 offset:12
	ds_write_b8 v1, v56 offset:14
.LBB97_163:
	s_or_b64 exec, exec, s[34:35]
	v_mov_b32_e32 v1, 0
	s_waitcnt vmcnt(0) lgkmcnt(0)
	s_barrier
	ds_read_b32 v2, v1 offset:12
	s_mov_b64 vcc, s[28:29]
	v_cndmask_b32_e64 v3, v45, v17, s[28:29]
	v_cndmask_b32_sdwa v4, v45, v18, vcc dst_sel:DWORD dst_unused:UNUSED_PAD src0_sel:WORD_1 src1_sel:DWORD
	v_cmp_eq_u16_sdwa vcc, v4, v1 src0_sel:BYTE_0 src1_sel:DWORD
	s_waitcnt lgkmcnt(0)
	v_add_f16_e32 v5, v3, v2
	v_cndmask_b32_e32 v3, v3, v5, vcc
	v_cmp_eq_u32_e32 vcc, 0, v0
	v_cndmask_b32_e32 v4, v3, v2, vcc
	v_add_f16_e32 v2, v40, v4
	v_cmp_eq_u16_sdwa vcc, v36, v1 src0_sel:BYTE_0 src1_sel:DWORD
	v_cndmask_b32_e32 v3, v40, v2, vcc
	v_add_f16_e32 v1, v3, v37
	v_cndmask_b32_e64 v5, v37, v1, s[2:3]
	v_add_f16_e32 v1, v5, v34
	v_cndmask_b32_e64 v6, v34, v1, s[30:31]
	v_add_f16_e32 v1, v6, v33
	v_cndmask_b32_e64 v7, v33, v1, s[8:9]
	v_add_f16_e32 v1, v7, v31
	v_cndmask_b32_e64 v8, v31, v1, s[10:11]
	v_add_f16_e32 v1, v8, v28
	v_cndmask_b32_e64 v9, v28, v1, s[12:13]
	v_add_f16_e32 v1, v9, v25
	v_cndmask_b32_e64 v18, v25, v1, s[14:15]
	v_add_f16_e32 v1, v18, v24
	v_cndmask_b32_e64 v17, v24, v1, s[16:17]
	v_add_f16_e32 v1, v17, v23
	v_cndmask_b32_e64 v45, v23, v1, s[18:19]
	v_add_f16_e32 v1, v45, v22
	v_cndmask_b32_e64 v46, v22, v1, s[20:21]
	v_add_f16_e32 v1, v46, v21
	v_cndmask_b32_e64 v48, v21, v1, s[22:23]
	v_add_f16_e32 v1, v48, v20
	v_cndmask_b32_e64 v47, v20, v1, s[24:25]
	v_add_f16_e32 v1, v47, v19
	v_cndmask_b32_e64 v49, v19, v1, s[26:27]
	s_branch .LBB97_195
.LBB97_164:
	s_cmp_eq_u64 s[46:47], 0
	v_mov_b32_e32 v1, s7
	s_cbranch_scc1 .LBB97_166
; %bb.165:
	v_mov_b32_e32 v1, 0
	global_load_ushort v1, v1, s[46:47]
.LBB97_166:
	v_mov_b32_e32 v2, 0
	v_cmp_eq_u16_sdwa s[2:3], v44, v2 src0_sel:BYTE_0 src1_sel:DWORD
	v_cndmask_b32_e64 v3, v37, v16, s[2:3]
	v_add_f16_e32 v3, v3, v34
	v_cmp_eq_u16_sdwa s[6:7], v43, v2 src0_sel:BYTE_0 src1_sel:DWORD
	v_cndmask_b32_e64 v3, v34, v3, s[6:7]
	v_add_f16_e32 v3, v3, v33
	;; [unrolled: 3-line block ×8, first 2 shown]
	v_cmp_eq_u16_sdwa s[20:21], v30, v2 src0_sel:BYTE_0 src1_sel:DWORD
	v_or_b32_e32 v4, v15, v42
	v_cndmask_b32_e64 v3, v22, v3, s[20:21]
	v_or_b32_e32 v4, v4, v35
	v_add_f16_e32 v3, v3, v21
	v_cmp_eq_u16_sdwa s[22:23], v29, v2 src0_sel:BYTE_0 src1_sel:DWORD
	v_or_b32_e32 v4, v4, v32
	v_cndmask_b32_e64 v3, v21, v3, s[22:23]
	v_or_b32_e32 v4, v4, v43
	v_add_f16_e32 v3, v3, v20
	;; [unrolled: 5-line block ×3, first 2 shown]
	v_cmp_eq_u16_sdwa vcc, v26, v2 src0_sel:BYTE_0 src1_sel:DWORD
	v_or_b32_e32 v4, v5, v4
	v_cndmask_b32_e32 v3, v19, v3, vcc
	v_cmp_eq_u16_sdwa s[26:27], v4, v2 src0_sel:BYTE_0 src1_sel:DWORD
	v_cndmask_b32_e64 v2, 1, v36, s[26:27]
	v_add_f16_e32 v3, v11, v3
	v_cmp_eq_u16_e64 s[26:27], 0, v10
	v_cndmask_b32_e64 v3, v11, v3, s[26:27]
	v_cmp_eq_u32_e64 s[26:27], 1, v12
	v_cndmask_b32_e64 v4, v2, 1, s[26:27]
	v_mbcnt_hi_u32_b32 v2, -1, v13
	v_and_b32_e32 v8, 0xff, v4
	v_and_b32_e32 v5, 0xffff, v3
	;; [unrolled: 1-line block ×3, first 2 shown]
	v_lshl_or_b32 v5, v8, 16, v5
	v_cmp_ne_u32_e64 s[26:27], 0, v7
	s_nop 0
	v_mov_b32_dpp v6, v5 row_shr:1 row_mask:0xf bank_mask:0xf
	s_and_saveexec_b64 s[28:29], s[26:27]
	s_cbranch_execz .LBB97_168
; %bb.167:
	v_add_f16_e32 v5, v3, v6
	v_cmp_eq_u16_e64 s[26:27], 0, v8
	v_cndmask_b32_e64 v3, v3, v5, s[26:27]
	v_and_b32_e32 v4, 1, v4
	v_mov_b32_e32 v5, 1
	v_and_b32_sdwa v5, v6, v5 dst_sel:DWORD dst_unused:UNUSED_PAD src0_sel:WORD_1 src1_sel:DWORD
	v_cmp_eq_u32_e64 s[26:27], 1, v4
	v_cndmask_b32_e64 v4, v5, 1, s[26:27]
	v_lshlrev_b32_e32 v5, 16, v4
	v_or_b32_sdwa v5, v5, v3 dst_sel:DWORD dst_unused:UNUSED_PAD src0_sel:DWORD src1_sel:WORD_0
.LBB97_168:
	s_or_b64 exec, exec, s[28:29]
	v_lshrrev_b32_e32 v6, 16, v5
	v_mov_b32_dpp v8, v5 row_shr:2 row_mask:0xf bank_mask:0xf
	v_cmp_lt_u32_e64 s[26:27], 1, v7
	s_and_saveexec_b64 s[28:29], s[26:27]
	s_cbranch_execz .LBB97_170
; %bb.169:
	s_mov_b32 s26, 0x10000
	v_add_f16_e32 v4, v3, v8
	v_cmp_gt_u32_e64 s[26:27], s26, v5
	v_cndmask_b32_e64 v3, v3, v4, s[26:27]
	v_and_b32_e32 v4, 0x10000, v5
	v_mov_b32_e32 v5, 1
	v_and_b32_sdwa v5, v8, v5 dst_sel:DWORD dst_unused:UNUSED_PAD src0_sel:WORD_1 src1_sel:DWORD
	v_cmp_ne_u32_e64 s[26:27], 0, v4
	v_cndmask_b32_e64 v4, v5, 1, s[26:27]
	v_lshlrev_b32_e32 v5, 16, v4
	v_or_b32_sdwa v5, v5, v3 dst_sel:DWORD dst_unused:UNUSED_PAD src0_sel:DWORD src1_sel:WORD_0
	v_mov_b32_e32 v6, v4
.LBB97_170:
	s_or_b64 exec, exec, s[28:29]
	v_mov_b32_dpp v8, v5 row_shr:4 row_mask:0xf bank_mask:0xf
	v_cmp_lt_u32_e64 s[26:27], 3, v7
	s_and_saveexec_b64 s[28:29], s[26:27]
	s_cbranch_execz .LBB97_172
; %bb.171:
	v_add_f16_e32 v4, v3, v8
	v_cmp_eq_u16_e64 s[26:27], 0, v6
	v_cndmask_b32_e64 v3, v3, v4, s[26:27]
	v_and_b32_e32 v4, 1, v6
	v_mov_b32_e32 v5, 1
	v_and_b32_sdwa v5, v8, v5 dst_sel:DWORD dst_unused:UNUSED_PAD src0_sel:WORD_1 src1_sel:DWORD
	v_cmp_eq_u32_e64 s[26:27], 1, v4
	v_cndmask_b32_e64 v4, v5, 1, s[26:27]
	v_lshlrev_b32_e32 v5, 16, v4
	v_or_b32_sdwa v5, v5, v3 dst_sel:DWORD dst_unused:UNUSED_PAD src0_sel:DWORD src1_sel:WORD_0
	v_mov_b32_e32 v6, v4
.LBB97_172:
	s_or_b64 exec, exec, s[28:29]
	v_mov_b32_dpp v8, v5 row_shr:8 row_mask:0xf bank_mask:0xf
	v_cmp_lt_u32_e64 s[26:27], 7, v7
	s_and_saveexec_b64 s[28:29], s[26:27]
	s_cbranch_execz .LBB97_174
; %bb.173:
	v_add_f16_e32 v4, v3, v8
	v_cmp_eq_u16_e64 s[26:27], 0, v6
	v_cndmask_b32_e64 v3, v3, v4, s[26:27]
	v_and_b32_e32 v4, 1, v6
	v_mov_b32_e32 v5, 1
	v_and_b32_sdwa v5, v8, v5 dst_sel:DWORD dst_unused:UNUSED_PAD src0_sel:WORD_1 src1_sel:DWORD
	v_cmp_eq_u32_e64 s[26:27], 1, v4
	v_cndmask_b32_e64 v4, v5, 1, s[26:27]
	v_lshlrev_b32_e32 v5, 16, v4
	v_or_b32_sdwa v5, v5, v3 dst_sel:DWORD dst_unused:UNUSED_PAD src0_sel:DWORD src1_sel:WORD_0
	v_mov_b32_e32 v6, v4
.LBB97_174:
	s_or_b64 exec, exec, s[28:29]
	v_and_b32_e32 v8, 16, v2
	v_mov_b32_dpp v7, v5 row_bcast:15 row_mask:0xf bank_mask:0xf
	v_cmp_ne_u32_e64 s[26:27], 0, v8
	s_and_saveexec_b64 s[28:29], s[26:27]
	s_cbranch_execz .LBB97_176
; %bb.175:
	v_add_f16_e32 v4, v3, v7
	v_cmp_eq_u16_e64 s[26:27], 0, v6
	v_cndmask_b32_e64 v3, v3, v4, s[26:27]
	v_and_b32_e32 v4, 1, v6
	v_mov_b32_e32 v5, 1
	v_and_b32_sdwa v5, v7, v5 dst_sel:DWORD dst_unused:UNUSED_PAD src0_sel:WORD_1 src1_sel:DWORD
	v_cmp_eq_u32_e64 s[26:27], 1, v4
	v_cndmask_b32_e64 v4, v5, 1, s[26:27]
	v_lshlrev_b32_e32 v5, 16, v4
	v_or_b32_sdwa v5, v5, v3 dst_sel:DWORD dst_unused:UNUSED_PAD src0_sel:DWORD src1_sel:WORD_0
	v_mov_b32_e32 v6, v4
.LBB97_176:
	s_or_b64 exec, exec, s[28:29]
	v_mov_b32_dpp v5, v5 row_bcast:31 row_mask:0xf bank_mask:0xf
	v_cmp_lt_u32_e64 s[26:27], 31, v2
	s_and_saveexec_b64 s[28:29], s[26:27]
; %bb.177:
	v_and_b32_e32 v4, 1, v6
	v_mov_b32_e32 v8, 1
	v_add_f16_e32 v7, v3, v5
	v_and_b32_sdwa v5, v5, v8 dst_sel:DWORD dst_unused:UNUSED_PAD src0_sel:WORD_1 src1_sel:DWORD
	v_cmp_eq_u32_e64 s[26:27], 1, v4
	v_cndmask_b32_e64 v4, v5, 1, s[26:27]
	v_cmp_eq_u16_e64 s[26:27], 0, v6
	v_cndmask_b32_e64 v3, v3, v7, s[26:27]
; %bb.178:
	s_or_b64 exec, exec, s[28:29]
	v_lshrrev_b32_e32 v5, 6, v0
	v_or_b32_e32 v6, 63, v0
	v_cmp_eq_u32_e64 s[26:27], v0, v6
	v_lshlrev_b32_e32 v5, 2, v5
	s_and_saveexec_b64 s[28:29], s[26:27]
	s_cbranch_execz .LBB97_180
; %bb.179:
	ds_write_b16 v5, v3
	ds_write_b8 v5, v4 offset:2
.LBB97_180:
	s_or_b64 exec, exec, s[28:29]
	v_cmp_gt_u32_e64 s[26:27], 4, v0
	s_waitcnt vmcnt(0) lgkmcnt(0)
	s_barrier
	s_and_saveexec_b64 s[28:29], s[26:27]
	s_cbranch_execz .LBB97_186
; %bb.181:
	v_lshlrev_b32_e32 v6, 2, v0
	ds_read_b32 v8, v6
	v_and_b32_e32 v10, 3, v2
	v_cmp_ne_u32_e64 s[26:27], 0, v10
	s_waitcnt lgkmcnt(0)
	v_lshrrev_b32_e32 v9, 16, v8
	v_mov_b32_dpp v11, v8 row_shr:1 row_mask:0xf bank_mask:0xf
	v_mov_b32_e32 v7, v8
	s_and_saveexec_b64 s[30:31], s[26:27]
	s_cbranch_execz .LBB97_183
; %bb.182:
	v_mov_b32_e32 v7, 0
	v_add_f16_e32 v13, v8, v11
	v_cmp_eq_u16_sdwa s[26:27], v9, v7 src0_sel:BYTE_0 src1_sel:DWORD
	v_and_b32_e32 v12, 0xff000000, v8
	v_cndmask_b32_e64 v7, v8, v13, s[26:27]
	v_and_b32_e32 v8, 0x10000, v8
	v_mov_b32_e32 v9, 1
	v_and_b32_sdwa v9, v11, v9 dst_sel:DWORD dst_unused:UNUSED_PAD src0_sel:WORD_1 src1_sel:DWORD
	v_cmp_ne_u32_e64 s[26:27], 0, v8
	v_cndmask_b32_e64 v9, v9, 1, s[26:27]
	v_lshlrev_b32_e32 v8, 16, v9
	v_and_b32_e32 v11, 0xffff, v7
	v_or3_b32 v8, v8, v12, v11
.LBB97_183:
	s_or_b64 exec, exec, s[30:31]
	s_nop 0
	v_mov_b32_dpp v11, v8 row_shr:2 row_mask:0xf bank_mask:0xf
	v_cmp_lt_u32_e64 s[26:27], 1, v10
	s_and_saveexec_b64 s[30:31], s[26:27]
; %bb.184:
	v_and_b32_e32 v9, 0xff0000, v8
	v_add_f16_e32 v10, v7, v11
	v_cmp_eq_u32_e64 s[26:27], 0, v9
	v_and_b32_e32 v8, 0x10000, v8
	v_mov_b32_e32 v9, 1
	v_cndmask_b32_e64 v7, v7, v10, s[26:27]
	v_and_b32_sdwa v9, v11, v9 dst_sel:DWORD dst_unused:UNUSED_PAD src0_sel:WORD_1 src1_sel:DWORD
	v_cmp_eq_u32_e64 s[26:27], 0, v8
	v_cndmask_b32_e64 v9, 1, v9, s[26:27]
; %bb.185:
	s_or_b64 exec, exec, s[30:31]
	ds_write_b16 v6, v7
	ds_write_b8 v6, v9 offset:2
.LBB97_186:
	s_or_b64 exec, exec, s[28:29]
	v_cmp_lt_u32_e64 s[26:27], 63, v0
	v_mov_b32_e32 v6, 0
	v_mov_b32_e32 v8, 0
	;; [unrolled: 1-line block ×3, first 2 shown]
	s_waitcnt lgkmcnt(0)
	s_barrier
	s_and_saveexec_b64 s[28:29], s[26:27]
	s_cbranch_execz .LBB97_192
; %bb.187:
	v_add_u32_e32 v7, -2, v5
	ds_read_u8 v7, v7
	v_add_u32_e32 v5, -4, v5
	s_waitcnt lgkmcnt(0)
	v_cmp_ne_u16_e64 s[26:27], 0, v7
                                        ; implicit-def: $vgpr7
	s_and_saveexec_b64 s[30:31], s[26:27]
	s_xor_b64 s[26:27], exec, s[30:31]
; %bb.188:
	ds_read_u16 v7, v5
                                        ; implicit-def: $vgpr5
; %bb.189:
	s_or_saveexec_b64 s[26:27], s[26:27]
	v_mov_b32_e32 v8, 0x10000
	s_xor_b64 exec, exec, s[26:27]
	s_cbranch_execz .LBB97_191
; %bb.190:
	ds_read_u16 v5, v5
	v_mov_b32_e32 v8, 0
	s_waitcnt lgkmcnt(0)
	v_add_f16_e32 v7, v5, v1
.LBB97_191:
	s_or_b64 exec, exec, s[26:27]
.LBB97_192:
	s_or_b64 exec, exec, s[28:29]
	s_waitcnt lgkmcnt(0)
	v_add_f16_e32 v5, v3, v7
	v_cmp_eq_u16_sdwa s[26:27], v4, v6 src0_sel:BYTE_0 src1_sel:DWORD
	v_and_b32_e32 v4, 1, v4
	v_cndmask_b32_e64 v3, v3, v5, s[26:27]
	v_mov_b32_e32 v5, 0x10000
	v_cmp_eq_u32_e64 s[26:27], 1, v4
	v_cndmask_b32_e64 v4, v8, v5, s[26:27]
	v_or_b32_sdwa v3, v4, v3 dst_sel:DWORD dst_unused:UNUSED_PAD src0_sel:DWORD src1_sel:WORD_0
	v_subrev_co_u32_e64 v4, s[26:27], 1, v2
	v_and_b32_e32 v5, 64, v2
	v_cmp_lt_i32_e64 s[28:29], v4, v5
	v_cndmask_b32_e64 v2, v4, v2, s[28:29]
	v_lshlrev_b32_e32 v2, 2, v2
	ds_bpermute_b32 v2, v2, v3
	v_cmp_eq_u16_sdwa s[28:29], v36, v6 src0_sel:BYTE_0 src1_sel:DWORD
	s_waitcnt lgkmcnt(0)
	v_cndmask_b32_e64 v4, v2, v7, s[26:27]
	v_cmp_eq_u32_e64 s[26:27], 0, v0
	v_cndmask_b32_e64 v2, v4, v1, s[26:27]
	v_add_f16_e32 v2, v40, v2
	v_cndmask_b32_e64 v3, v40, v2, s[28:29]
	v_add_f16_e32 v2, v3, v37
	;; [unrolled: 2-line block ×13, first 2 shown]
	s_and_saveexec_b64 s[6:7], s[26:27]
	s_cbranch_execz .LBB97_194
; %bb.193:
	v_mov_b32_e32 v4, 0
	ds_read_u8 v10, v4 offset:14
	ds_read_u16 v12, v4 offset:12
	v_mov_b32_e32 v11, 2
	s_waitcnt lgkmcnt(1)
	v_cmp_eq_u32_e64 s[2:3], 0, v10
	s_waitcnt lgkmcnt(0)
	v_add_f16_e32 v14, v1, v12
	v_lshlrev_b32_e32 v13, 16, v10
	v_cndmask_b32_e64 v10, v12, v14, s[2:3]
	v_or_b32_sdwa v10, v13, v10 dst_sel:DWORD dst_unused:UNUSED_PAD src0_sel:DWORD src1_sel:WORD_0
	global_store_dwordx2 v4, v[10:11], s[36:37] offset:512
	v_mov_b32_e32 v4, v1
.LBB97_194:
	s_or_b64 exec, exec, s[6:7]
	v_cndmask_b32_e32 v49, v19, v2, vcc
.LBB97_195:
	s_load_dwordx2 s[2:3], s[4:5], 0x18
	s_waitcnt lgkmcnt(0)
	s_add_u32 s2, s2, s44
	s_addc_u32 s3, s3, s45
	s_and_b64 vcc, exec, s[0:1]
	s_cbranch_vccz .LBB97_245
; %bb.196:
	s_add_i32 s33, s33, s38
	v_mul_u32_u24_e32 v1, 14, v0
	v_cmp_gt_u32_e32 vcc, s33, v1
	s_and_saveexec_b64 s[0:1], vcc
	s_cbranch_execz .LBB97_218
; %bb.197:
	v_or_b32_e32 v2, 1, v1
	v_cmp_gt_u32_e32 vcc, s33, v2
	s_and_saveexec_b64 s[4:5], vcc
	s_cbranch_execz .LBB97_217
; %bb.198:
	v_add_u32_e32 v2, 2, v1
	v_cmp_gt_u32_e32 vcc, s33, v2
	s_and_saveexec_b64 s[6:7], vcc
	s_cbranch_execz .LBB97_216
; %bb.199:
	v_add_u32_e32 v2, 3, v1
	;; [unrolled: 5-line block ×9, first 2 shown]
	v_cmp_gt_u32_e32 vcc, s33, v2
	s_and_saveexec_b64 s[22:23], vcc
; %bb.207:
	v_add_u32_e32 v2, 11, v1
	v_cmp_gt_u32_e32 vcc, s33, v2
	s_and_saveexec_b64 s[24:25], vcc
	s_or_b64 exec, exec, s[24:25]
; %bb.208:
	s_or_b64 exec, exec, s[22:23]
.LBB97_209:
	s_or_b64 exec, exec, s[20:21]
.LBB97_210:
	s_or_b64 exec, exec, s[18:19]
.LBB97_211:
	s_or_b64 exec, exec, s[16:17]
.LBB97_212:
	s_or_b64 exec, exec, s[14:15]
.LBB97_213:
	s_or_b64 exec, exec, s[12:13]
.LBB97_214:
	s_or_b64 exec, exec, s[10:11]
.LBB97_215:
	s_or_b64 exec, exec, s[8:9]
.LBB97_216:
	s_or_b64 exec, exec, s[6:7]
.LBB97_217:
	s_or_b64 exec, exec, s[4:5]
.LBB97_218:
	s_or_b64 exec, exec, s[0:1]
	s_mov_b32 s0, 0x5040100
	v_lshlrev_b32_e32 v24, 1, v1
	v_perm_b32 v1, v6, v5, s0
	v_perm_b32 v2, v3, v4, s0
	s_waitcnt vmcnt(0)
	s_barrier
	ds_write2_b32 v24, v2, v1 offset1:1
	v_perm_b32 v1, v18, v9, s0
	v_perm_b32 v2, v8, v7, s0
	ds_write2_b32 v24, v2, v1 offset0:2 offset1:3
	v_perm_b32 v1, v48, v46, s0
	v_perm_b32 v2, v45, v17, s0
	ds_write2_b32 v24, v2, v1 offset0:4 offset1:5
	v_perm_b32 v1, v49, v47, s0
	s_movk_i32 s0, 0xffe6
	ds_write_b32 v24, v1 offset:24
	v_mad_i32_i24 v1, v0, s0, v24
	s_waitcnt lgkmcnt(0)
	s_barrier
	ds_read_u16 v25, v1 offset:512
	ds_read_u16 v23, v1 offset:1024
	;; [unrolled: 1-line block ×13, first 2 shown]
	v_lshlrev_b32_e32 v1, 1, v0
	v_mov_b32_e32 v2, s3
	v_add_co_u32_e32 v1, vcc, s2, v1
	v_addc_co_u32_e32 v2, vcc, 0, v2, vcc
	v_cmp_gt_u32_e32 vcc, s33, v0
	s_and_saveexec_b64 s[0:1], vcc
	s_cbranch_execz .LBB97_220
; %bb.219:
	v_mul_i32_i24_e32 v26, 0xffffffe6, v0
	v_add_u32_e32 v24, v24, v26
	ds_read_u16 v24, v24
	s_waitcnt lgkmcnt(0)
	global_store_short v[1:2], v24, off
.LBB97_220:
	s_or_b64 exec, exec, s[0:1]
	v_or_b32_e32 v24, 0x100, v0
	v_cmp_gt_u32_e32 vcc, s33, v24
	s_and_saveexec_b64 s[0:1], vcc
	s_cbranch_execz .LBB97_222
; %bb.221:
	s_waitcnt lgkmcnt(12)
	global_store_short v[1:2], v25, off offset:512
.LBB97_222:
	s_or_b64 exec, exec, s[0:1]
	v_or_b32_e32 v24, 0x200, v0
	v_cmp_gt_u32_e32 vcc, s33, v24
	s_and_saveexec_b64 s[0:1], vcc
	s_cbranch_execz .LBB97_224
; %bb.223:
	s_waitcnt lgkmcnt(11)
	global_store_short v[1:2], v23, off offset:1024
.LBB97_224:
	s_or_b64 exec, exec, s[0:1]
	s_waitcnt lgkmcnt(11)
	v_or_b32_e32 v23, 0x300, v0
	v_cmp_gt_u32_e32 vcc, s33, v23
	s_and_saveexec_b64 s[0:1], vcc
	s_cbranch_execz .LBB97_226
; %bb.225:
	s_waitcnt lgkmcnt(10)
	global_store_short v[1:2], v22, off offset:1536
.LBB97_226:
	s_or_b64 exec, exec, s[0:1]
	s_waitcnt lgkmcnt(10)
	;; [unrolled: 10-line block ×6, first 2 shown]
	v_or_b32_e32 v16, 0x800, v0
	v_cmp_gt_u32_e32 vcc, s33, v16
	s_and_saveexec_b64 s[0:1], vcc
	s_cbranch_execz .LBB97_236
; %bb.235:
	v_add_co_u32_e32 v19, vcc, 0x1000, v1
	v_addc_co_u32_e32 v20, vcc, 0, v2, vcc
	s_waitcnt lgkmcnt(5)
	global_store_short v[19:20], v15, off
.LBB97_236:
	s_or_b64 exec, exec, s[0:1]
	s_waitcnt lgkmcnt(5)
	v_or_b32_e32 v15, 0x900, v0
	v_cmp_gt_u32_e32 vcc, s33, v15
	s_and_saveexec_b64 s[0:1], vcc
	s_cbranch_execz .LBB97_238
; %bb.237:
	v_add_co_u32_e32 v15, vcc, 0x1000, v1
	v_addc_co_u32_e32 v16, vcc, 0, v2, vcc
	s_waitcnt lgkmcnt(4)
	global_store_short v[15:16], v14, off offset:512
.LBB97_238:
	s_or_b64 exec, exec, s[0:1]
	s_waitcnt lgkmcnt(4)
	v_or_b32_e32 v14, 0xa00, v0
	v_cmp_gt_u32_e32 vcc, s33, v14
	s_and_saveexec_b64 s[0:1], vcc
	s_cbranch_execz .LBB97_240
; %bb.239:
	v_add_co_u32_e32 v14, vcc, 0x1000, v1
	v_addc_co_u32_e32 v15, vcc, 0, v2, vcc
	s_waitcnt lgkmcnt(3)
	global_store_short v[14:15], v13, off offset:1024
.LBB97_240:
	;; [unrolled: 12-line block ×4, first 2 shown]
	s_or_b64 exec, exec, s[0:1]
	v_or_b32_e32 v1, 0xd00, v0
	v_cmp_gt_u32_e64 s[0:1], s33, v1
	s_branch .LBB97_247
.LBB97_245:
	s_mov_b64 s[0:1], 0
                                        ; implicit-def: $vgpr10
	s_cbranch_execz .LBB97_247
; %bb.246:
	s_mov_b32 s4, 0x5040100
	v_mul_u32_u24_e32 v1, 28, v0
	v_perm_b32 v2, v6, v5, s4
	v_perm_b32 v3, v3, v4, s4
	s_waitcnt vmcnt(0) lgkmcnt(0)
	s_barrier
	ds_write2_b32 v1, v3, v2 offset1:1
	v_perm_b32 v2, v18, v9, s4
	v_perm_b32 v3, v8, v7, s4
	ds_write2_b32 v1, v3, v2 offset0:2 offset1:3
	v_perm_b32 v2, v48, v46, s4
	v_perm_b32 v3, v45, v17, s4
	ds_write2_b32 v1, v3, v2 offset0:4 offset1:5
	v_perm_b32 v2, v49, v47, s4
	ds_write_b32 v1, v2 offset:24
	v_mul_i32_i24_e32 v1, 0xffffffe6, v0
	v_mad_u32_u24 v1, v0, 28, v1
	s_waitcnt lgkmcnt(0)
	s_barrier
	ds_read_u16 v2, v1
	ds_read_u16 v3, v1 offset:512
	ds_read_u16 v4, v1 offset:1024
	;; [unrolled: 1-line block ×13, first 2 shown]
	v_lshlrev_b32_e32 v1, 1, v0
	v_mov_b32_e32 v16, s3
	v_add_co_u32_e32 v17, vcc, s2, v1
	v_addc_co_u32_e32 v16, vcc, 0, v16, vcc
	s_waitcnt lgkmcnt(13)
	global_store_short v1, v2, s[2:3]
	s_waitcnt lgkmcnt(12)
	global_store_short v1, v3, s[2:3] offset:512
	s_waitcnt lgkmcnt(11)
	global_store_short v1, v4, s[2:3] offset:1024
	;; [unrolled: 2-line block ×7, first 2 shown]
	v_add_co_u32_e32 v1, vcc, 0x1000, v17
	v_addc_co_u32_e32 v2, vcc, 0, v16, vcc
	s_or_b64 s[0:1], s[0:1], exec
	s_waitcnt lgkmcnt(5)
	global_store_short v[1:2], v11, off
	s_waitcnt lgkmcnt(4)
	global_store_short v[1:2], v12, off offset:512
	s_waitcnt lgkmcnt(3)
	global_store_short v[1:2], v13, off offset:1024
	;; [unrolled: 2-line block ×4, first 2 shown]
.LBB97_247:
	s_and_saveexec_b64 s[4:5], s[0:1]
	s_cbranch_execz .LBB97_249
; %bb.248:
	v_lshlrev_b32_e32 v0, 1, v0
	v_mov_b32_e32 v1, s3
	v_add_co_u32_e32 v0, vcc, s2, v0
	v_addc_co_u32_e32 v1, vcc, 0, v1, vcc
	v_add_co_u32_e32 v0, vcc, 0x1000, v0
	v_addc_co_u32_e32 v1, vcc, 0, v1, vcc
	s_waitcnt lgkmcnt(0)
	global_store_short v[0:1], v10, off offset:2560
	s_endpgm
.LBB97_249:
	s_endpgm
	.section	.rodata,"a",@progbits
	.p2align	6, 0x0
	.amdhsa_kernel _ZN7rocprim6detail25device_scan_by_key_kernelILNS0_25lookback_scan_determinismE0ELb1ENS0_26wrapped_scan_by_key_configINS_14default_configEi6__halfEEPiN6hipcub22TransformInputIteratorIS5_NS8_6CastOpIS5_EEPS5_lEESC_S5_NS8_8EqualityENS8_3SumENS0_19lookback_scan_stateINS_5tupleIJS5_bEEELb0ELb1EEES5_EEvT2_T3_T4_T5_T6_T7_T8_mmmPKNSH_IJT9_bEEE
		.amdhsa_group_segment_fixed_size 16384
		.amdhsa_private_segment_fixed_size 0
		.amdhsa_kernarg_size 80
		.amdhsa_user_sgpr_count 6
		.amdhsa_user_sgpr_private_segment_buffer 1
		.amdhsa_user_sgpr_dispatch_ptr 0
		.amdhsa_user_sgpr_queue_ptr 0
		.amdhsa_user_sgpr_kernarg_segment_ptr 1
		.amdhsa_user_sgpr_dispatch_id 0
		.amdhsa_user_sgpr_flat_scratch_init 0
		.amdhsa_user_sgpr_private_segment_size 0
		.amdhsa_uses_dynamic_stack 0
		.amdhsa_system_sgpr_private_segment_wavefront_offset 0
		.amdhsa_system_sgpr_workgroup_id_x 1
		.amdhsa_system_sgpr_workgroup_id_y 0
		.amdhsa_system_sgpr_workgroup_id_z 0
		.amdhsa_system_sgpr_workgroup_info 0
		.amdhsa_system_vgpr_workitem_id 0
		.amdhsa_next_free_vgpr 72
		.amdhsa_next_free_sgpr 98
		.amdhsa_reserve_vcc 1
		.amdhsa_reserve_flat_scratch 0
		.amdhsa_float_round_mode_32 0
		.amdhsa_float_round_mode_16_64 0
		.amdhsa_float_denorm_mode_32 3
		.amdhsa_float_denorm_mode_16_64 3
		.amdhsa_dx10_clamp 1
		.amdhsa_ieee_mode 1
		.amdhsa_fp16_overflow 0
		.amdhsa_exception_fp_ieee_invalid_op 0
		.amdhsa_exception_fp_denorm_src 0
		.amdhsa_exception_fp_ieee_div_zero 0
		.amdhsa_exception_fp_ieee_overflow 0
		.amdhsa_exception_fp_ieee_underflow 0
		.amdhsa_exception_fp_ieee_inexact 0
		.amdhsa_exception_int_div_zero 0
	.end_amdhsa_kernel
	.section	.text._ZN7rocprim6detail25device_scan_by_key_kernelILNS0_25lookback_scan_determinismE0ELb1ENS0_26wrapped_scan_by_key_configINS_14default_configEi6__halfEEPiN6hipcub22TransformInputIteratorIS5_NS8_6CastOpIS5_EEPS5_lEESC_S5_NS8_8EqualityENS8_3SumENS0_19lookback_scan_stateINS_5tupleIJS5_bEEELb0ELb1EEES5_EEvT2_T3_T4_T5_T6_T7_T8_mmmPKNSH_IJT9_bEEE,"axG",@progbits,_ZN7rocprim6detail25device_scan_by_key_kernelILNS0_25lookback_scan_determinismE0ELb1ENS0_26wrapped_scan_by_key_configINS_14default_configEi6__halfEEPiN6hipcub22TransformInputIteratorIS5_NS8_6CastOpIS5_EEPS5_lEESC_S5_NS8_8EqualityENS8_3SumENS0_19lookback_scan_stateINS_5tupleIJS5_bEEELb0ELb1EEES5_EEvT2_T3_T4_T5_T6_T7_T8_mmmPKNSH_IJT9_bEEE,comdat
.Lfunc_end97:
	.size	_ZN7rocprim6detail25device_scan_by_key_kernelILNS0_25lookback_scan_determinismE0ELb1ENS0_26wrapped_scan_by_key_configINS_14default_configEi6__halfEEPiN6hipcub22TransformInputIteratorIS5_NS8_6CastOpIS5_EEPS5_lEESC_S5_NS8_8EqualityENS8_3SumENS0_19lookback_scan_stateINS_5tupleIJS5_bEEELb0ELb1EEES5_EEvT2_T3_T4_T5_T6_T7_T8_mmmPKNSH_IJT9_bEEE, .Lfunc_end97-_ZN7rocprim6detail25device_scan_by_key_kernelILNS0_25lookback_scan_determinismE0ELb1ENS0_26wrapped_scan_by_key_configINS_14default_configEi6__halfEEPiN6hipcub22TransformInputIteratorIS5_NS8_6CastOpIS5_EEPS5_lEESC_S5_NS8_8EqualityENS8_3SumENS0_19lookback_scan_stateINS_5tupleIJS5_bEEELb0ELb1EEES5_EEvT2_T3_T4_T5_T6_T7_T8_mmmPKNSH_IJT9_bEEE
                                        ; -- End function
	.set _ZN7rocprim6detail25device_scan_by_key_kernelILNS0_25lookback_scan_determinismE0ELb1ENS0_26wrapped_scan_by_key_configINS_14default_configEi6__halfEEPiN6hipcub22TransformInputIteratorIS5_NS8_6CastOpIS5_EEPS5_lEESC_S5_NS8_8EqualityENS8_3SumENS0_19lookback_scan_stateINS_5tupleIJS5_bEEELb0ELb1EEES5_EEvT2_T3_T4_T5_T6_T7_T8_mmmPKNSH_IJT9_bEEE.num_vgpr, 72
	.set _ZN7rocprim6detail25device_scan_by_key_kernelILNS0_25lookback_scan_determinismE0ELb1ENS0_26wrapped_scan_by_key_configINS_14default_configEi6__halfEEPiN6hipcub22TransformInputIteratorIS5_NS8_6CastOpIS5_EEPS5_lEESC_S5_NS8_8EqualityENS8_3SumENS0_19lookback_scan_stateINS_5tupleIJS5_bEEELb0ELb1EEES5_EEvT2_T3_T4_T5_T6_T7_T8_mmmPKNSH_IJT9_bEEE.num_agpr, 0
	.set _ZN7rocprim6detail25device_scan_by_key_kernelILNS0_25lookback_scan_determinismE0ELb1ENS0_26wrapped_scan_by_key_configINS_14default_configEi6__halfEEPiN6hipcub22TransformInputIteratorIS5_NS8_6CastOpIS5_EEPS5_lEESC_S5_NS8_8EqualityENS8_3SumENS0_19lookback_scan_stateINS_5tupleIJS5_bEEELb0ELb1EEES5_EEvT2_T3_T4_T5_T6_T7_T8_mmmPKNSH_IJT9_bEEE.numbered_sgpr, 80
	.set _ZN7rocprim6detail25device_scan_by_key_kernelILNS0_25lookback_scan_determinismE0ELb1ENS0_26wrapped_scan_by_key_configINS_14default_configEi6__halfEEPiN6hipcub22TransformInputIteratorIS5_NS8_6CastOpIS5_EEPS5_lEESC_S5_NS8_8EqualityENS8_3SumENS0_19lookback_scan_stateINS_5tupleIJS5_bEEELb0ELb1EEES5_EEvT2_T3_T4_T5_T6_T7_T8_mmmPKNSH_IJT9_bEEE.num_named_barrier, 0
	.set _ZN7rocprim6detail25device_scan_by_key_kernelILNS0_25lookback_scan_determinismE0ELb1ENS0_26wrapped_scan_by_key_configINS_14default_configEi6__halfEEPiN6hipcub22TransformInputIteratorIS5_NS8_6CastOpIS5_EEPS5_lEESC_S5_NS8_8EqualityENS8_3SumENS0_19lookback_scan_stateINS_5tupleIJS5_bEEELb0ELb1EEES5_EEvT2_T3_T4_T5_T6_T7_T8_mmmPKNSH_IJT9_bEEE.private_seg_size, 0
	.set _ZN7rocprim6detail25device_scan_by_key_kernelILNS0_25lookback_scan_determinismE0ELb1ENS0_26wrapped_scan_by_key_configINS_14default_configEi6__halfEEPiN6hipcub22TransformInputIteratorIS5_NS8_6CastOpIS5_EEPS5_lEESC_S5_NS8_8EqualityENS8_3SumENS0_19lookback_scan_stateINS_5tupleIJS5_bEEELb0ELb1EEES5_EEvT2_T3_T4_T5_T6_T7_T8_mmmPKNSH_IJT9_bEEE.uses_vcc, 1
	.set _ZN7rocprim6detail25device_scan_by_key_kernelILNS0_25lookback_scan_determinismE0ELb1ENS0_26wrapped_scan_by_key_configINS_14default_configEi6__halfEEPiN6hipcub22TransformInputIteratorIS5_NS8_6CastOpIS5_EEPS5_lEESC_S5_NS8_8EqualityENS8_3SumENS0_19lookback_scan_stateINS_5tupleIJS5_bEEELb0ELb1EEES5_EEvT2_T3_T4_T5_T6_T7_T8_mmmPKNSH_IJT9_bEEE.uses_flat_scratch, 0
	.set _ZN7rocprim6detail25device_scan_by_key_kernelILNS0_25lookback_scan_determinismE0ELb1ENS0_26wrapped_scan_by_key_configINS_14default_configEi6__halfEEPiN6hipcub22TransformInputIteratorIS5_NS8_6CastOpIS5_EEPS5_lEESC_S5_NS8_8EqualityENS8_3SumENS0_19lookback_scan_stateINS_5tupleIJS5_bEEELb0ELb1EEES5_EEvT2_T3_T4_T5_T6_T7_T8_mmmPKNSH_IJT9_bEEE.has_dyn_sized_stack, 0
	.set _ZN7rocprim6detail25device_scan_by_key_kernelILNS0_25lookback_scan_determinismE0ELb1ENS0_26wrapped_scan_by_key_configINS_14default_configEi6__halfEEPiN6hipcub22TransformInputIteratorIS5_NS8_6CastOpIS5_EEPS5_lEESC_S5_NS8_8EqualityENS8_3SumENS0_19lookback_scan_stateINS_5tupleIJS5_bEEELb0ELb1EEES5_EEvT2_T3_T4_T5_T6_T7_T8_mmmPKNSH_IJT9_bEEE.has_recursion, 0
	.set _ZN7rocprim6detail25device_scan_by_key_kernelILNS0_25lookback_scan_determinismE0ELb1ENS0_26wrapped_scan_by_key_configINS_14default_configEi6__halfEEPiN6hipcub22TransformInputIteratorIS5_NS8_6CastOpIS5_EEPS5_lEESC_S5_NS8_8EqualityENS8_3SumENS0_19lookback_scan_stateINS_5tupleIJS5_bEEELb0ELb1EEES5_EEvT2_T3_T4_T5_T6_T7_T8_mmmPKNSH_IJT9_bEEE.has_indirect_call, 0
	.section	.AMDGPU.csdata,"",@progbits
; Kernel info:
; codeLenInByte = 12240
; TotalNumSgprs: 84
; NumVgprs: 72
; ScratchSize: 0
; MemoryBound: 0
; FloatMode: 240
; IeeeMode: 1
; LDSByteSize: 16384 bytes/workgroup (compile time only)
; SGPRBlocks: 12
; VGPRBlocks: 17
; NumSGPRsForWavesPerEU: 102
; NumVGPRsForWavesPerEU: 72
; Occupancy: 3
; WaveLimiterHint : 1
; COMPUTE_PGM_RSRC2:SCRATCH_EN: 0
; COMPUTE_PGM_RSRC2:USER_SGPR: 6
; COMPUTE_PGM_RSRC2:TRAP_HANDLER: 0
; COMPUTE_PGM_RSRC2:TGID_X_EN: 1
; COMPUTE_PGM_RSRC2:TGID_Y_EN: 0
; COMPUTE_PGM_RSRC2:TGID_Z_EN: 0
; COMPUTE_PGM_RSRC2:TIDIG_COMP_CNT: 0
	.section	.text._ZN7rocprim6detail25device_scan_by_key_kernelILNS0_25lookback_scan_determinismE0ELb1ENS0_26wrapped_scan_by_key_configINS_14default_configEi6__halfEEPiN6hipcub22TransformInputIteratorIS5_NS8_6CastOpIS5_EEPS5_lEESC_S5_NS8_8EqualityENS8_3MaxENS0_19lookback_scan_stateINS_5tupleIJS5_bEEELb1ELb1EEES5_EEvT2_T3_T4_T5_T6_T7_T8_mmmPKNSH_IJT9_bEEE,"axG",@progbits,_ZN7rocprim6detail25device_scan_by_key_kernelILNS0_25lookback_scan_determinismE0ELb1ENS0_26wrapped_scan_by_key_configINS_14default_configEi6__halfEEPiN6hipcub22TransformInputIteratorIS5_NS8_6CastOpIS5_EEPS5_lEESC_S5_NS8_8EqualityENS8_3MaxENS0_19lookback_scan_stateINS_5tupleIJS5_bEEELb1ELb1EEES5_EEvT2_T3_T4_T5_T6_T7_T8_mmmPKNSH_IJT9_bEEE,comdat
	.protected	_ZN7rocprim6detail25device_scan_by_key_kernelILNS0_25lookback_scan_determinismE0ELb1ENS0_26wrapped_scan_by_key_configINS_14default_configEi6__halfEEPiN6hipcub22TransformInputIteratorIS5_NS8_6CastOpIS5_EEPS5_lEESC_S5_NS8_8EqualityENS8_3MaxENS0_19lookback_scan_stateINS_5tupleIJS5_bEEELb1ELb1EEES5_EEvT2_T3_T4_T5_T6_T7_T8_mmmPKNSH_IJT9_bEEE ; -- Begin function _ZN7rocprim6detail25device_scan_by_key_kernelILNS0_25lookback_scan_determinismE0ELb1ENS0_26wrapped_scan_by_key_configINS_14default_configEi6__halfEEPiN6hipcub22TransformInputIteratorIS5_NS8_6CastOpIS5_EEPS5_lEESC_S5_NS8_8EqualityENS8_3MaxENS0_19lookback_scan_stateINS_5tupleIJS5_bEEELb1ELb1EEES5_EEvT2_T3_T4_T5_T6_T7_T8_mmmPKNSH_IJT9_bEEE
	.globl	_ZN7rocprim6detail25device_scan_by_key_kernelILNS0_25lookback_scan_determinismE0ELb1ENS0_26wrapped_scan_by_key_configINS_14default_configEi6__halfEEPiN6hipcub22TransformInputIteratorIS5_NS8_6CastOpIS5_EEPS5_lEESC_S5_NS8_8EqualityENS8_3MaxENS0_19lookback_scan_stateINS_5tupleIJS5_bEEELb1ELb1EEES5_EEvT2_T3_T4_T5_T6_T7_T8_mmmPKNSH_IJT9_bEEE
	.p2align	8
	.type	_ZN7rocprim6detail25device_scan_by_key_kernelILNS0_25lookback_scan_determinismE0ELb1ENS0_26wrapped_scan_by_key_configINS_14default_configEi6__halfEEPiN6hipcub22TransformInputIteratorIS5_NS8_6CastOpIS5_EEPS5_lEESC_S5_NS8_8EqualityENS8_3MaxENS0_19lookback_scan_stateINS_5tupleIJS5_bEEELb1ELb1EEES5_EEvT2_T3_T4_T5_T6_T7_T8_mmmPKNSH_IJT9_bEEE,@function
_ZN7rocprim6detail25device_scan_by_key_kernelILNS0_25lookback_scan_determinismE0ELb1ENS0_26wrapped_scan_by_key_configINS_14default_configEi6__halfEEPiN6hipcub22TransformInputIteratorIS5_NS8_6CastOpIS5_EEPS5_lEESC_S5_NS8_8EqualityENS8_3MaxENS0_19lookback_scan_stateINS_5tupleIJS5_bEEELb1ELb1EEES5_EEvT2_T3_T4_T5_T6_T7_T8_mmmPKNSH_IJT9_bEEE: ; @_ZN7rocprim6detail25device_scan_by_key_kernelILNS0_25lookback_scan_determinismE0ELb1ENS0_26wrapped_scan_by_key_configINS_14default_configEi6__halfEEPiN6hipcub22TransformInputIteratorIS5_NS8_6CastOpIS5_EEPS5_lEESC_S5_NS8_8EqualityENS8_3MaxENS0_19lookback_scan_stateINS_5tupleIJS5_bEEELb1ELb1EEES5_EEvT2_T3_T4_T5_T6_T7_T8_mmmPKNSH_IJT9_bEEE
; %bb.0:
	s_endpgm
	.section	.rodata,"a",@progbits
	.p2align	6, 0x0
	.amdhsa_kernel _ZN7rocprim6detail25device_scan_by_key_kernelILNS0_25lookback_scan_determinismE0ELb1ENS0_26wrapped_scan_by_key_configINS_14default_configEi6__halfEEPiN6hipcub22TransformInputIteratorIS5_NS8_6CastOpIS5_EEPS5_lEESC_S5_NS8_8EqualityENS8_3MaxENS0_19lookback_scan_stateINS_5tupleIJS5_bEEELb1ELb1EEES5_EEvT2_T3_T4_T5_T6_T7_T8_mmmPKNSH_IJT9_bEEE
		.amdhsa_group_segment_fixed_size 0
		.amdhsa_private_segment_fixed_size 0
		.amdhsa_kernarg_size 80
		.amdhsa_user_sgpr_count 6
		.amdhsa_user_sgpr_private_segment_buffer 1
		.amdhsa_user_sgpr_dispatch_ptr 0
		.amdhsa_user_sgpr_queue_ptr 0
		.amdhsa_user_sgpr_kernarg_segment_ptr 1
		.amdhsa_user_sgpr_dispatch_id 0
		.amdhsa_user_sgpr_flat_scratch_init 0
		.amdhsa_user_sgpr_private_segment_size 0
		.amdhsa_uses_dynamic_stack 0
		.amdhsa_system_sgpr_private_segment_wavefront_offset 0
		.amdhsa_system_sgpr_workgroup_id_x 1
		.amdhsa_system_sgpr_workgroup_id_y 0
		.amdhsa_system_sgpr_workgroup_id_z 0
		.amdhsa_system_sgpr_workgroup_info 0
		.amdhsa_system_vgpr_workitem_id 0
		.amdhsa_next_free_vgpr 1
		.amdhsa_next_free_sgpr 0
		.amdhsa_reserve_vcc 0
		.amdhsa_reserve_flat_scratch 0
		.amdhsa_float_round_mode_32 0
		.amdhsa_float_round_mode_16_64 0
		.amdhsa_float_denorm_mode_32 3
		.amdhsa_float_denorm_mode_16_64 3
		.amdhsa_dx10_clamp 1
		.amdhsa_ieee_mode 1
		.amdhsa_fp16_overflow 0
		.amdhsa_exception_fp_ieee_invalid_op 0
		.amdhsa_exception_fp_denorm_src 0
		.amdhsa_exception_fp_ieee_div_zero 0
		.amdhsa_exception_fp_ieee_overflow 0
		.amdhsa_exception_fp_ieee_underflow 0
		.amdhsa_exception_fp_ieee_inexact 0
		.amdhsa_exception_int_div_zero 0
	.end_amdhsa_kernel
	.section	.text._ZN7rocprim6detail25device_scan_by_key_kernelILNS0_25lookback_scan_determinismE0ELb1ENS0_26wrapped_scan_by_key_configINS_14default_configEi6__halfEEPiN6hipcub22TransformInputIteratorIS5_NS8_6CastOpIS5_EEPS5_lEESC_S5_NS8_8EqualityENS8_3MaxENS0_19lookback_scan_stateINS_5tupleIJS5_bEEELb1ELb1EEES5_EEvT2_T3_T4_T5_T6_T7_T8_mmmPKNSH_IJT9_bEEE,"axG",@progbits,_ZN7rocprim6detail25device_scan_by_key_kernelILNS0_25lookback_scan_determinismE0ELb1ENS0_26wrapped_scan_by_key_configINS_14default_configEi6__halfEEPiN6hipcub22TransformInputIteratorIS5_NS8_6CastOpIS5_EEPS5_lEESC_S5_NS8_8EqualityENS8_3MaxENS0_19lookback_scan_stateINS_5tupleIJS5_bEEELb1ELb1EEES5_EEvT2_T3_T4_T5_T6_T7_T8_mmmPKNSH_IJT9_bEEE,comdat
.Lfunc_end98:
	.size	_ZN7rocprim6detail25device_scan_by_key_kernelILNS0_25lookback_scan_determinismE0ELb1ENS0_26wrapped_scan_by_key_configINS_14default_configEi6__halfEEPiN6hipcub22TransformInputIteratorIS5_NS8_6CastOpIS5_EEPS5_lEESC_S5_NS8_8EqualityENS8_3MaxENS0_19lookback_scan_stateINS_5tupleIJS5_bEEELb1ELb1EEES5_EEvT2_T3_T4_T5_T6_T7_T8_mmmPKNSH_IJT9_bEEE, .Lfunc_end98-_ZN7rocprim6detail25device_scan_by_key_kernelILNS0_25lookback_scan_determinismE0ELb1ENS0_26wrapped_scan_by_key_configINS_14default_configEi6__halfEEPiN6hipcub22TransformInputIteratorIS5_NS8_6CastOpIS5_EEPS5_lEESC_S5_NS8_8EqualityENS8_3MaxENS0_19lookback_scan_stateINS_5tupleIJS5_bEEELb1ELb1EEES5_EEvT2_T3_T4_T5_T6_T7_T8_mmmPKNSH_IJT9_bEEE
                                        ; -- End function
	.set _ZN7rocprim6detail25device_scan_by_key_kernelILNS0_25lookback_scan_determinismE0ELb1ENS0_26wrapped_scan_by_key_configINS_14default_configEi6__halfEEPiN6hipcub22TransformInputIteratorIS5_NS8_6CastOpIS5_EEPS5_lEESC_S5_NS8_8EqualityENS8_3MaxENS0_19lookback_scan_stateINS_5tupleIJS5_bEEELb1ELb1EEES5_EEvT2_T3_T4_T5_T6_T7_T8_mmmPKNSH_IJT9_bEEE.num_vgpr, 0
	.set _ZN7rocprim6detail25device_scan_by_key_kernelILNS0_25lookback_scan_determinismE0ELb1ENS0_26wrapped_scan_by_key_configINS_14default_configEi6__halfEEPiN6hipcub22TransformInputIteratorIS5_NS8_6CastOpIS5_EEPS5_lEESC_S5_NS8_8EqualityENS8_3MaxENS0_19lookback_scan_stateINS_5tupleIJS5_bEEELb1ELb1EEES5_EEvT2_T3_T4_T5_T6_T7_T8_mmmPKNSH_IJT9_bEEE.num_agpr, 0
	.set _ZN7rocprim6detail25device_scan_by_key_kernelILNS0_25lookback_scan_determinismE0ELb1ENS0_26wrapped_scan_by_key_configINS_14default_configEi6__halfEEPiN6hipcub22TransformInputIteratorIS5_NS8_6CastOpIS5_EEPS5_lEESC_S5_NS8_8EqualityENS8_3MaxENS0_19lookback_scan_stateINS_5tupleIJS5_bEEELb1ELb1EEES5_EEvT2_T3_T4_T5_T6_T7_T8_mmmPKNSH_IJT9_bEEE.numbered_sgpr, 0
	.set _ZN7rocprim6detail25device_scan_by_key_kernelILNS0_25lookback_scan_determinismE0ELb1ENS0_26wrapped_scan_by_key_configINS_14default_configEi6__halfEEPiN6hipcub22TransformInputIteratorIS5_NS8_6CastOpIS5_EEPS5_lEESC_S5_NS8_8EqualityENS8_3MaxENS0_19lookback_scan_stateINS_5tupleIJS5_bEEELb1ELb1EEES5_EEvT2_T3_T4_T5_T6_T7_T8_mmmPKNSH_IJT9_bEEE.num_named_barrier, 0
	.set _ZN7rocprim6detail25device_scan_by_key_kernelILNS0_25lookback_scan_determinismE0ELb1ENS0_26wrapped_scan_by_key_configINS_14default_configEi6__halfEEPiN6hipcub22TransformInputIteratorIS5_NS8_6CastOpIS5_EEPS5_lEESC_S5_NS8_8EqualityENS8_3MaxENS0_19lookback_scan_stateINS_5tupleIJS5_bEEELb1ELb1EEES5_EEvT2_T3_T4_T5_T6_T7_T8_mmmPKNSH_IJT9_bEEE.private_seg_size, 0
	.set _ZN7rocprim6detail25device_scan_by_key_kernelILNS0_25lookback_scan_determinismE0ELb1ENS0_26wrapped_scan_by_key_configINS_14default_configEi6__halfEEPiN6hipcub22TransformInputIteratorIS5_NS8_6CastOpIS5_EEPS5_lEESC_S5_NS8_8EqualityENS8_3MaxENS0_19lookback_scan_stateINS_5tupleIJS5_bEEELb1ELb1EEES5_EEvT2_T3_T4_T5_T6_T7_T8_mmmPKNSH_IJT9_bEEE.uses_vcc, 0
	.set _ZN7rocprim6detail25device_scan_by_key_kernelILNS0_25lookback_scan_determinismE0ELb1ENS0_26wrapped_scan_by_key_configINS_14default_configEi6__halfEEPiN6hipcub22TransformInputIteratorIS5_NS8_6CastOpIS5_EEPS5_lEESC_S5_NS8_8EqualityENS8_3MaxENS0_19lookback_scan_stateINS_5tupleIJS5_bEEELb1ELb1EEES5_EEvT2_T3_T4_T5_T6_T7_T8_mmmPKNSH_IJT9_bEEE.uses_flat_scratch, 0
	.set _ZN7rocprim6detail25device_scan_by_key_kernelILNS0_25lookback_scan_determinismE0ELb1ENS0_26wrapped_scan_by_key_configINS_14default_configEi6__halfEEPiN6hipcub22TransformInputIteratorIS5_NS8_6CastOpIS5_EEPS5_lEESC_S5_NS8_8EqualityENS8_3MaxENS0_19lookback_scan_stateINS_5tupleIJS5_bEEELb1ELb1EEES5_EEvT2_T3_T4_T5_T6_T7_T8_mmmPKNSH_IJT9_bEEE.has_dyn_sized_stack, 0
	.set _ZN7rocprim6detail25device_scan_by_key_kernelILNS0_25lookback_scan_determinismE0ELb1ENS0_26wrapped_scan_by_key_configINS_14default_configEi6__halfEEPiN6hipcub22TransformInputIteratorIS5_NS8_6CastOpIS5_EEPS5_lEESC_S5_NS8_8EqualityENS8_3MaxENS0_19lookback_scan_stateINS_5tupleIJS5_bEEELb1ELb1EEES5_EEvT2_T3_T4_T5_T6_T7_T8_mmmPKNSH_IJT9_bEEE.has_recursion, 0
	.set _ZN7rocprim6detail25device_scan_by_key_kernelILNS0_25lookback_scan_determinismE0ELb1ENS0_26wrapped_scan_by_key_configINS_14default_configEi6__halfEEPiN6hipcub22TransformInputIteratorIS5_NS8_6CastOpIS5_EEPS5_lEESC_S5_NS8_8EqualityENS8_3MaxENS0_19lookback_scan_stateINS_5tupleIJS5_bEEELb1ELb1EEES5_EEvT2_T3_T4_T5_T6_T7_T8_mmmPKNSH_IJT9_bEEE.has_indirect_call, 0
	.section	.AMDGPU.csdata,"",@progbits
; Kernel info:
; codeLenInByte = 4
; TotalNumSgprs: 4
; NumVgprs: 0
; ScratchSize: 0
; MemoryBound: 0
; FloatMode: 240
; IeeeMode: 1
; LDSByteSize: 0 bytes/workgroup (compile time only)
; SGPRBlocks: 0
; VGPRBlocks: 0
; NumSGPRsForWavesPerEU: 4
; NumVGPRsForWavesPerEU: 1
; Occupancy: 10
; WaveLimiterHint : 0
; COMPUTE_PGM_RSRC2:SCRATCH_EN: 0
; COMPUTE_PGM_RSRC2:USER_SGPR: 6
; COMPUTE_PGM_RSRC2:TRAP_HANDLER: 0
; COMPUTE_PGM_RSRC2:TGID_X_EN: 1
; COMPUTE_PGM_RSRC2:TGID_Y_EN: 0
; COMPUTE_PGM_RSRC2:TGID_Z_EN: 0
; COMPUTE_PGM_RSRC2:TIDIG_COMP_CNT: 0
	.section	.text._ZN7rocprim6detail25device_scan_by_key_kernelILNS0_25lookback_scan_determinismE0ELb1ENS0_26wrapped_scan_by_key_configINS_14default_configEi6__halfEEPiN6hipcub22TransformInputIteratorIS5_NS8_6CastOpIS5_EEPS5_lEESC_S5_NS8_8EqualityENS8_3MaxENS0_19lookback_scan_stateINS_5tupleIJS5_bEEELb0ELb1EEES5_EEvT2_T3_T4_T5_T6_T7_T8_mmmPKNSH_IJT9_bEEE,"axG",@progbits,_ZN7rocprim6detail25device_scan_by_key_kernelILNS0_25lookback_scan_determinismE0ELb1ENS0_26wrapped_scan_by_key_configINS_14default_configEi6__halfEEPiN6hipcub22TransformInputIteratorIS5_NS8_6CastOpIS5_EEPS5_lEESC_S5_NS8_8EqualityENS8_3MaxENS0_19lookback_scan_stateINS_5tupleIJS5_bEEELb0ELb1EEES5_EEvT2_T3_T4_T5_T6_T7_T8_mmmPKNSH_IJT9_bEEE,comdat
	.protected	_ZN7rocprim6detail25device_scan_by_key_kernelILNS0_25lookback_scan_determinismE0ELb1ENS0_26wrapped_scan_by_key_configINS_14default_configEi6__halfEEPiN6hipcub22TransformInputIteratorIS5_NS8_6CastOpIS5_EEPS5_lEESC_S5_NS8_8EqualityENS8_3MaxENS0_19lookback_scan_stateINS_5tupleIJS5_bEEELb0ELb1EEES5_EEvT2_T3_T4_T5_T6_T7_T8_mmmPKNSH_IJT9_bEEE ; -- Begin function _ZN7rocprim6detail25device_scan_by_key_kernelILNS0_25lookback_scan_determinismE0ELb1ENS0_26wrapped_scan_by_key_configINS_14default_configEi6__halfEEPiN6hipcub22TransformInputIteratorIS5_NS8_6CastOpIS5_EEPS5_lEESC_S5_NS8_8EqualityENS8_3MaxENS0_19lookback_scan_stateINS_5tupleIJS5_bEEELb0ELb1EEES5_EEvT2_T3_T4_T5_T6_T7_T8_mmmPKNSH_IJT9_bEEE
	.globl	_ZN7rocprim6detail25device_scan_by_key_kernelILNS0_25lookback_scan_determinismE0ELb1ENS0_26wrapped_scan_by_key_configINS_14default_configEi6__halfEEPiN6hipcub22TransformInputIteratorIS5_NS8_6CastOpIS5_EEPS5_lEESC_S5_NS8_8EqualityENS8_3MaxENS0_19lookback_scan_stateINS_5tupleIJS5_bEEELb0ELb1EEES5_EEvT2_T3_T4_T5_T6_T7_T8_mmmPKNSH_IJT9_bEEE
	.p2align	8
	.type	_ZN7rocprim6detail25device_scan_by_key_kernelILNS0_25lookback_scan_determinismE0ELb1ENS0_26wrapped_scan_by_key_configINS_14default_configEi6__halfEEPiN6hipcub22TransformInputIteratorIS5_NS8_6CastOpIS5_EEPS5_lEESC_S5_NS8_8EqualityENS8_3MaxENS0_19lookback_scan_stateINS_5tupleIJS5_bEEELb0ELb1EEES5_EEvT2_T3_T4_T5_T6_T7_T8_mmmPKNSH_IJT9_bEEE,@function
_ZN7rocprim6detail25device_scan_by_key_kernelILNS0_25lookback_scan_determinismE0ELb1ENS0_26wrapped_scan_by_key_configINS_14default_configEi6__halfEEPiN6hipcub22TransformInputIteratorIS5_NS8_6CastOpIS5_EEPS5_lEESC_S5_NS8_8EqualityENS8_3MaxENS0_19lookback_scan_stateINS_5tupleIJS5_bEEELb0ELb1EEES5_EEvT2_T3_T4_T5_T6_T7_T8_mmmPKNSH_IJT9_bEEE: ; @_ZN7rocprim6detail25device_scan_by_key_kernelILNS0_25lookback_scan_determinismE0ELb1ENS0_26wrapped_scan_by_key_configINS_14default_configEi6__halfEEPiN6hipcub22TransformInputIteratorIS5_NS8_6CastOpIS5_EEPS5_lEESC_S5_NS8_8EqualityENS8_3MaxENS0_19lookback_scan_stateINS_5tupleIJS5_bEEELb0ELb1EEES5_EEvT2_T3_T4_T5_T6_T7_T8_mmmPKNSH_IJT9_bEEE
; %bb.0:
	s_load_dwordx4 s[0:3], s[4:5], 0x0
	s_load_dword s7, s[4:5], 0x20
	s_load_dwordx8 s[36:43], s[4:5], 0x28
	s_load_dwordx2 s[46:47], s[4:5], 0x48
	s_mul_i32 s8, s6, 0xe00
	s_mov_b32 s9, 0
	s_lshl_b64 s[10:11], s[8:9], 2
	s_waitcnt lgkmcnt(0)
	s_add_u32 s50, s0, s10
	s_addc_u32 s51, s1, s11
	s_lshl_b64 s[44:45], s[8:9], 1
	s_add_u32 s48, s2, s44
	s_addc_u32 s49, s3, s45
	s_add_u32 s0, s40, s6
	s_addc_u32 s1, s41, 0
	s_add_u32 s2, s42, -1
	s_addc_u32 s3, s43, -1
	v_mov_b32_e32 v1, s2
	v_mov_b32_e32 v2, s3
	v_cmp_ge_u64_e64 s[0:1], s[0:1], v[1:2]
	s_mov_b64 s[40:41], -1
	s_and_b64 vcc, exec, s[0:1]
	s_mul_i32 s33, s2, 0xfffff200
	s_cbranch_vccz .LBB99_76
; %bb.1:
	s_load_dword s40, s[50:51], 0x0
	v_lshlrev_b32_e32 v3, 2, v0
	s_add_i32 s39, s33, s38
	v_mov_b32_e32 v2, s51
	v_add_co_u32_e32 v1, vcc, s50, v3
	v_addc_co_u32_e32 v2, vcc, 0, v2, vcc
	v_cmp_gt_u32_e64 s[2:3], s39, v0
	s_waitcnt lgkmcnt(0)
	v_mov_b32_e32 v4, s40
	s_and_saveexec_b64 s[8:9], s[2:3]
	s_cbranch_execz .LBB99_3
; %bb.2:
	global_load_dword v4, v[1:2], off
.LBB99_3:
	s_or_b64 exec, exec, s[8:9]
	v_or_b32_e32 v5, 0x100, v0
	v_cmp_gt_u32_e64 s[34:35], s39, v5
	v_mov_b32_e32 v5, s40
	s_and_saveexec_b64 s[8:9], s[34:35]
	s_cbranch_execz .LBB99_5
; %bb.4:
	global_load_dword v5, v[1:2], off offset:1024
.LBB99_5:
	s_or_b64 exec, exec, s[8:9]
	v_or_b32_e32 v6, 0x200, v0
	v_cmp_gt_u32_e64 s[8:9], s39, v6
	v_mov_b32_e32 v6, s40
	s_and_saveexec_b64 s[10:11], s[8:9]
	s_cbranch_execz .LBB99_7
; %bb.6:
	global_load_dword v6, v[1:2], off offset:2048
.LBB99_7:
	;; [unrolled: 9-line block ×3, first 2 shown]
	s_or_b64 exec, exec, s[12:13]
	v_or_b32_e32 v8, 0x400, v0
	v_cmp_gt_u32_e64 s[12:13], s39, v8
	v_mov_b32_e32 v8, s40
	s_and_saveexec_b64 s[14:15], s[12:13]
	s_cbranch_execz .LBB99_11
; %bb.10:
	v_add_co_u32_e32 v8, vcc, 0x1000, v1
	v_addc_co_u32_e32 v9, vcc, 0, v2, vcc
	global_load_dword v8, v[8:9], off
.LBB99_11:
	s_or_b64 exec, exec, s[14:15]
	v_or_b32_e32 v9, 0x500, v0
	v_cmp_gt_u32_e64 s[14:15], s39, v9
	v_mov_b32_e32 v9, s40
	s_and_saveexec_b64 s[16:17], s[14:15]
	s_cbranch_execz .LBB99_13
; %bb.12:
	v_add_co_u32_e32 v9, vcc, 0x1000, v1
	v_addc_co_u32_e32 v10, vcc, 0, v2, vcc
	global_load_dword v9, v[9:10], off offset:1024
.LBB99_13:
	s_or_b64 exec, exec, s[16:17]
	v_or_b32_e32 v10, 0x600, v0
	v_cmp_gt_u32_e64 s[16:17], s39, v10
	v_mov_b32_e32 v10, s40
	s_and_saveexec_b64 s[18:19], s[16:17]
	s_cbranch_execz .LBB99_15
; %bb.14:
	v_add_co_u32_e32 v10, vcc, 0x1000, v1
	v_addc_co_u32_e32 v11, vcc, 0, v2, vcc
	global_load_dword v10, v[10:11], off offset:2048
.LBB99_15:
	;; [unrolled: 11-line block ×3, first 2 shown]
	s_or_b64 exec, exec, s[20:21]
	v_or_b32_e32 v12, 0x800, v0
	v_cmp_gt_u32_e64 s[20:21], s39, v12
	v_mov_b32_e32 v12, s40
	s_and_saveexec_b64 s[22:23], s[20:21]
	s_cbranch_execz .LBB99_19
; %bb.18:
	v_add_co_u32_e32 v12, vcc, 0x2000, v1
	v_addc_co_u32_e32 v13, vcc, 0, v2, vcc
	global_load_dword v12, v[12:13], off
.LBB99_19:
	s_or_b64 exec, exec, s[22:23]
	v_or_b32_e32 v13, 0x900, v0
	v_cmp_gt_u32_e64 s[22:23], s39, v13
	v_mov_b32_e32 v13, s40
	s_and_saveexec_b64 s[24:25], s[22:23]
	s_cbranch_execz .LBB99_21
; %bb.20:
	v_add_co_u32_e32 v13, vcc, 0x2000, v1
	v_addc_co_u32_e32 v14, vcc, 0, v2, vcc
	global_load_dword v13, v[13:14], off offset:1024
.LBB99_21:
	s_or_b64 exec, exec, s[24:25]
	v_or_b32_e32 v14, 0xa00, v0
	v_cmp_gt_u32_e64 s[24:25], s39, v14
	v_mov_b32_e32 v14, s40
	s_and_saveexec_b64 s[26:27], s[24:25]
	s_cbranch_execz .LBB99_23
; %bb.22:
	v_add_co_u32_e32 v14, vcc, 0x2000, v1
	v_addc_co_u32_e32 v15, vcc, 0, v2, vcc
	global_load_dword v14, v[14:15], off offset:2048
.LBB99_23:
	;; [unrolled: 11-line block ×3, first 2 shown]
	s_or_b64 exec, exec, s[28:29]
	v_or_b32_e32 v16, 0xc00, v0
	v_cmp_gt_u32_e64 s[28:29], s39, v16
	v_mov_b32_e32 v16, s40
	s_and_saveexec_b64 s[30:31], s[28:29]
	s_cbranch_execz .LBB99_27
; %bb.26:
	v_add_co_u32_e32 v16, vcc, 0x3000, v1
	v_addc_co_u32_e32 v17, vcc, 0, v2, vcc
	global_load_dword v16, v[16:17], off
.LBB99_27:
	s_or_b64 exec, exec, s[30:31]
	v_or_b32_e32 v17, 0xd00, v0
	v_cmp_gt_u32_e64 s[30:31], s39, v17
	v_mov_b32_e32 v17, s40
	s_and_saveexec_b64 s[40:41], s[30:31]
	s_cbranch_execz .LBB99_29
; %bb.28:
	v_add_co_u32_e32 v1, vcc, 0x3000, v1
	v_addc_co_u32_e32 v2, vcc, 0, v2, vcc
	global_load_dword v17, v[1:2], off offset:1024
.LBB99_29:
	s_or_b64 exec, exec, s[40:41]
	v_mad_u32_u24 v1, v0, 52, v3
	s_waitcnt vmcnt(0)
	ds_write2st64_b32 v3, v4, v5 offset1:4
	ds_write2st64_b32 v3, v6, v7 offset0:8 offset1:12
	ds_write2st64_b32 v3, v8, v9 offset0:16 offset1:20
	ds_write2st64_b32 v3, v10, v11 offset0:24 offset1:28
	ds_write2st64_b32 v3, v12, v13 offset0:32 offset1:36
	ds_write2st64_b32 v3, v14, v15 offset0:40 offset1:44
	ds_write2st64_b32 v3, v16, v17 offset0:48 offset1:52
	s_waitcnt lgkmcnt(0)
	s_barrier
	ds_read2_b64 v[13:16], v1 offset1:1
	ds_read2_b64 v[9:12], v1 offset0:2 offset1:3
	ds_read2_b64 v[5:8], v1 offset0:4 offset1:5
	ds_read_b64 v[17:18], v1 offset:48
	s_load_dword s40, s[50:51], 0x0
	s_movk_i32 s41, 0xffcc
	v_mad_i32_i24 v3, v0, s41, v1
	s_movk_i32 s41, 0xff
	v_cmp_ne_u32_e32 vcc, s41, v0
	s_waitcnt lgkmcnt(0)
	v_mov_b32_e32 v68, s40
	ds_write_b32 v3, v13 offset:15360
	s_waitcnt lgkmcnt(0)
	s_barrier
	s_and_saveexec_b64 s[40:41], vcc
; %bb.30:
	ds_read_b32 v68, v3 offset:15364
; %bb.31:
	s_or_b64 exec, exec, s[40:41]
	v_lshlrev_b32_e32 v4, 1, v0
	v_mov_b32_e32 v2, s49
	v_add_co_u32_e32 v1, vcc, s48, v4
	v_addc_co_u32_e32 v2, vcc, 0, v2, vcc
	s_waitcnt lgkmcnt(0)
	s_barrier
                                        ; implicit-def: $vgpr19
	s_and_saveexec_b64 s[40:41], s[2:3]
	s_cbranch_execz .LBB99_152
; %bb.32:
	global_load_ushort v19, v[1:2], off
	s_or_b64 exec, exec, s[40:41]
                                        ; implicit-def: $vgpr20
	s_and_saveexec_b64 s[2:3], s[34:35]
	s_cbranch_execnz .LBB99_153
.LBB99_33:
	s_or_b64 exec, exec, s[2:3]
                                        ; implicit-def: $vgpr21
	s_and_saveexec_b64 s[2:3], s[8:9]
	s_cbranch_execz .LBB99_154
.LBB99_34:
	global_load_ushort v21, v[1:2], off offset:1024
	s_or_b64 exec, exec, s[2:3]
                                        ; implicit-def: $vgpr22
	s_and_saveexec_b64 s[2:3], s[10:11]
	s_cbranch_execnz .LBB99_155
.LBB99_35:
	s_or_b64 exec, exec, s[2:3]
                                        ; implicit-def: $vgpr23
	s_and_saveexec_b64 s[2:3], s[12:13]
	s_cbranch_execz .LBB99_156
.LBB99_36:
	global_load_ushort v23, v[1:2], off offset:2048
	s_or_b64 exec, exec, s[2:3]
                                        ; implicit-def: $vgpr24
	s_and_saveexec_b64 s[2:3], s[14:15]
	s_cbranch_execnz .LBB99_157
.LBB99_37:
	s_or_b64 exec, exec, s[2:3]
                                        ; implicit-def: $vgpr25
	s_and_saveexec_b64 s[2:3], s[16:17]
	s_cbranch_execz .LBB99_158
.LBB99_38:
	global_load_ushort v25, v[1:2], off offset:3072
	s_or_b64 exec, exec, s[2:3]
                                        ; implicit-def: $vgpr26
	s_and_saveexec_b64 s[2:3], s[18:19]
	s_cbranch_execnz .LBB99_159
.LBB99_39:
	s_or_b64 exec, exec, s[2:3]
                                        ; implicit-def: $vgpr27
	s_and_saveexec_b64 s[2:3], s[20:21]
	s_cbranch_execz .LBB99_160
.LBB99_40:
	v_add_co_u32_e32 v27, vcc, 0x1000, v1
	v_addc_co_u32_e32 v28, vcc, 0, v2, vcc
	global_load_ushort v27, v[27:28], off
	s_or_b64 exec, exec, s[2:3]
                                        ; implicit-def: $vgpr28
	s_and_saveexec_b64 s[2:3], s[22:23]
	s_cbranch_execnz .LBB99_161
.LBB99_41:
	s_or_b64 exec, exec, s[2:3]
                                        ; implicit-def: $vgpr29
	s_and_saveexec_b64 s[2:3], s[24:25]
	s_cbranch_execz .LBB99_162
.LBB99_42:
	v_add_co_u32_e32 v29, vcc, 0x1000, v1
	v_addc_co_u32_e32 v30, vcc, 0, v2, vcc
	global_load_ushort v29, v[29:30], off offset:1024
	s_or_b64 exec, exec, s[2:3]
                                        ; implicit-def: $vgpr30
	s_and_saveexec_b64 s[2:3], s[26:27]
	s_cbranch_execnz .LBB99_163
.LBB99_43:
	s_or_b64 exec, exec, s[2:3]
                                        ; implicit-def: $vgpr31
	s_and_saveexec_b64 s[2:3], s[28:29]
	s_cbranch_execz .LBB99_45
.LBB99_44:
	v_add_co_u32_e32 v31, vcc, 0x1000, v1
	v_addc_co_u32_e32 v32, vcc, 0, v2, vcc
	global_load_ushort v31, v[31:32], off offset:2048
.LBB99_45:
	s_or_b64 exec, exec, s[2:3]
	v_mul_u32_u24_e32 v71, 14, v0
                                        ; implicit-def: $vgpr32
	s_and_saveexec_b64 s[2:3], s[30:31]
	s_cbranch_execz .LBB99_47
; %bb.46:
	v_add_co_u32_e32 v1, vcc, 0x1000, v1
	v_addc_co_u32_e32 v2, vcc, 0, v2, vcc
	global_load_ushort v32, v[1:2], off offset:2560
.LBB99_47:
	s_or_b64 exec, exec, s[2:3]
	v_sub_u32_e32 v2, v3, v4
	s_waitcnt vmcnt(0)
	ds_write_b16 v2, v19
	ds_write_b16 v2, v20 offset:512
	ds_write_b16 v2, v21 offset:1024
	;; [unrolled: 1-line block ×13, first 2 shown]
	v_cmp_gt_u32_e32 vcc, s39, v71
	s_mov_b64 s[40:41], 0
	v_mov_b32_e32 v36, 0
	s_mov_b64 s[2:3], 0
	v_mov_b32_e32 v45, 0
	v_mov_b32_e32 v47, 0
	;; [unrolled: 1-line block ×50, first 2 shown]
	s_waitcnt lgkmcnt(0)
	s_barrier
                                        ; implicit-def: $sgpr34_sgpr35
                                        ; implicit-def: $vgpr46
	s_and_saveexec_b64 s[42:43], vcc
	s_cbranch_execz .LBB99_75
; %bb.48:
	v_mad_u32_u24 v1, v0, 26, v2
	v_cmp_ne_u32_e64 s[2:3], v13, v14
	ds_read_u16 v13, v1
	v_or_b32_e32 v1, 1, v71
	v_mov_b32_e32 v40, s7
	v_cmp_gt_u32_e32 vcc, s39, v1
	s_mov_b64 s[8:9], 0
	v_mov_b32_e32 v45, 0
	v_mov_b32_e32 v47, 0
	;; [unrolled: 1-line block ×48, first 2 shown]
                                        ; implicit-def: $sgpr34_sgpr35
                                        ; implicit-def: $vgpr46
	s_and_saveexec_b64 s[52:53], vcc
	s_cbranch_execz .LBB99_74
; %bb.49:
	v_mul_u32_u24_e32 v1, 26, v0
	v_add_u32_e32 v36, v2, v1
	ds_read_b128 v[1:4], v36 offset:2
	v_add_u32_e32 v19, 2, v71
	v_cmp_ne_u32_e64 s[28:29], v14, v15
	v_mov_b32_e32 v14, s7
	v_cmp_gt_u32_e32 vcc, s39, v19
	v_mov_b32_e32 v45, 0
	v_mov_b32_e32 v47, 0
	;; [unrolled: 1-line block ×44, first 2 shown]
                                        ; implicit-def: $sgpr34_sgpr35
                                        ; implicit-def: $vgpr46
	s_and_saveexec_b64 s[54:55], vcc
	s_cbranch_execz .LBB99_73
; %bb.50:
	v_add_u32_e32 v19, 3, v71
	v_cmp_ne_u32_e64 s[8:9], v15, v16
	v_mov_b32_e32 v15, s7
	v_cmp_gt_u32_e32 vcc, s39, v19
	s_mov_b64 s[10:11], 0
	v_mov_b32_e32 v45, 0
	v_mov_b32_e32 v47, 0
	;; [unrolled: 1-line block ×40, first 2 shown]
                                        ; implicit-def: $sgpr34_sgpr35
                                        ; implicit-def: $vgpr46
	s_and_saveexec_b64 s[56:57], vcc
	s_cbranch_execz .LBB99_72
; %bb.51:
	v_add_u32_e32 v19, 4, v71
	v_cmp_ne_u32_e64 s[10:11], v16, v9
	v_mov_b32_e32 v16, s7
	v_cmp_gt_u32_e32 vcc, s39, v19
	s_mov_b64 s[12:13], 0
	v_mov_b32_e32 v45, 0
	v_mov_b32_e32 v47, 0
	v_mov_b32_e32 v49, 0
	v_mov_b32_e32 v48, 0
	v_mov_b32_e32 v51, 0
	v_mov_b32_e32 v50, 0
	v_mov_b32_e32 v53, 0
	v_mov_b32_e32 v52, 0
	v_mov_b32_e32 v55, 0
	v_mov_b32_e32 v54, 0
	v_mov_b32_e32 v57, 0
	v_mov_b32_e32 v56, 0
	v_mov_b32_e32 v59, 0
	v_mov_b32_e32 v58, 0
	v_mov_b32_e32 v61, 0
	v_mov_b32_e32 v60, 0
	v_mov_b32_e32 v62, 0
	v_mov_b32_e32 v63, 0
	v_mov_b32_e32 v19, 0
	v_mov_b32_e32 v25, 0
	v_mov_b32_e32 v20, 0
	v_mov_b32_e32 v27, 0
	v_mov_b32_e32 v21, 0
	v_mov_b32_e32 v29, 0
	v_mov_b32_e32 v22, 0
	v_mov_b32_e32 v30, 0
	v_mov_b32_e32 v23, 0
	v_mov_b32_e32 v32, 0
	v_mov_b32_e32 v24, 0
	v_mov_b32_e32 v34, 0
	v_mov_b32_e32 v26, 0
	v_mov_b32_e32 v37, 0
	v_mov_b32_e32 v28, 0
	v_mov_b32_e32 v39, 0
	v_mov_b32_e32 v41, 0
	v_mov_b32_e32 v31, 0
                                        ; implicit-def: $sgpr34_sgpr35
                                        ; implicit-def: $vgpr46
	s_and_saveexec_b64 s[58:59], vcc
	s_cbranch_execz .LBB99_71
; %bb.52:
	v_cmp_ne_u32_e64 s[12:13], v9, v10
	v_add_u32_e32 v9, 5, v71
	v_mov_b32_e32 v31, s7
	v_cmp_gt_u32_e32 vcc, s39, v9
	s_mov_b64 s[14:15], 0
	v_mov_b32_e32 v45, 0
	v_mov_b32_e32 v47, 0
	;; [unrolled: 1-line block ×32, first 2 shown]
                                        ; implicit-def: $sgpr34_sgpr35
                                        ; implicit-def: $vgpr46
	s_and_saveexec_b64 s[60:61], vcc
	s_cbranch_execz .LBB99_70
; %bb.53:
	v_add_u32_e32 v9, 6, v71
	v_cmp_ne_u32_e64 s[14:15], v10, v11
	v_mov_b32_e32 v28, s7
	v_cmp_gt_u32_e32 vcc, s39, v9
	s_mov_b64 s[16:17], 0
	v_mov_b32_e32 v45, 0
	v_mov_b32_e32 v47, 0
	;; [unrolled: 1-line block ×28, first 2 shown]
                                        ; implicit-def: $sgpr34_sgpr35
                                        ; implicit-def: $vgpr46
	s_and_saveexec_b64 s[62:63], vcc
	s_cbranch_execz .LBB99_69
; %bb.54:
	v_add_u32_e32 v9, 7, v71
	v_cmp_ne_u32_e64 s[16:17], v11, v12
	v_mov_b32_e32 v11, s7
	v_cmp_gt_u32_e32 vcc, s39, v9
	s_mov_b64 s[18:19], 0
	v_mov_b32_e32 v45, 0
	v_mov_b32_e32 v47, 0
	;; [unrolled: 1-line block ×24, first 2 shown]
                                        ; implicit-def: $sgpr34_sgpr35
                                        ; implicit-def: $vgpr46
	s_and_saveexec_b64 s[64:65], vcc
	s_cbranch_execz .LBB99_68
; %bb.55:
	v_add_u32_e32 v9, 8, v71
	v_cmp_ne_u32_e64 s[18:19], v12, v5
	v_mov_b32_e32 v12, s7
	v_cmp_gt_u32_e32 vcc, s39, v9
	s_mov_b64 s[20:21], 0
	v_mov_b32_e32 v45, 0
	v_mov_b32_e32 v47, 0
	;; [unrolled: 1-line block ×20, first 2 shown]
                                        ; implicit-def: $sgpr34_sgpr35
                                        ; implicit-def: $vgpr46
	s_and_saveexec_b64 s[66:67], vcc
	s_cbranch_execz .LBB99_67
; %bb.56:
	v_add_u32_e32 v9, 9, v71
	v_cmp_ne_u32_e64 s[20:21], v5, v6
	v_mov_b32_e32 v5, s7
	v_cmp_gt_u32_e32 vcc, s39, v9
	s_mov_b64 s[22:23], 0
	v_mov_b32_e32 v45, 0
	v_mov_b32_e32 v47, 0
	;; [unrolled: 1-line block ×16, first 2 shown]
                                        ; implicit-def: $sgpr34_sgpr35
                                        ; implicit-def: $vgpr46
	s_and_saveexec_b64 s[68:69], vcc
	s_cbranch_execz .LBB99_66
; %bb.57:
	ds_read_b64 v[9:10], v36 offset:18
	v_add_u32_e32 v19, 10, v71
	v_cmp_ne_u32_e64 s[22:23], v6, v7
	v_mov_b32_e32 v6, s7
	v_cmp_gt_u32_e32 vcc, s39, v19
	s_mov_b64 s[24:25], 0
	v_mov_b32_e32 v45, 0
	v_mov_b32_e32 v47, 0
	;; [unrolled: 1-line block ×12, first 2 shown]
                                        ; implicit-def: $sgpr34_sgpr35
                                        ; implicit-def: $vgpr46
	s_and_saveexec_b64 s[70:71], vcc
	s_cbranch_execz .LBB99_65
; %bb.58:
	v_add_u32_e32 v19, 11, v71
	v_cmp_ne_u32_e64 s[24:25], v7, v8
	v_mov_b32_e32 v7, s7
	v_cmp_gt_u32_e32 vcc, s39, v19
	s_mov_b64 s[26:27], 0
	v_mov_b32_e32 v45, 0
	v_mov_b32_e32 v47, 0
	;; [unrolled: 1-line block ×7, first 2 shown]
                                        ; implicit-def: $sgpr34_sgpr35
                                        ; implicit-def: $vgpr46
	s_and_saveexec_b64 s[72:73], vcc
	s_cbranch_execz .LBB99_64
; %bb.59:
	v_add_u32_e32 v19, 12, v71
	v_cmp_ne_u32_e64 s[26:27], v8, v17
	v_mov_b32_e32 v8, s7
	v_cmp_gt_u32_e32 vcc, s39, v19
	s_mov_b64 s[30:31], 0
	v_mov_b32_e32 v45, 0
	v_mov_b32_e32 v47, 0
                                        ; implicit-def: $sgpr34_sgpr35
                                        ; implicit-def: $vgpr46
	s_and_saveexec_b64 s[74:75], vcc
	s_cbranch_execz .LBB99_63
; %bb.60:
	v_add_u32_e32 v19, 13, v71
	v_cmp_ne_u32_e32 vcc, v17, v18
	v_mov_b32_e32 v17, s7
	v_cmp_gt_u32_e64 s[30:31], s39, v19
	s_mov_b64 s[76:77], 0
                                        ; implicit-def: $sgpr34_sgpr35
                                        ; implicit-def: $vgpr46
	s_and_saveexec_b64 s[78:79], s[30:31]
	s_xor_b64 s[30:31], exec, s[78:79]
	s_cbranch_execz .LBB99_62
; %bb.61:
	ds_read_u16 v19, v36 offset:26
	v_mov_b32_e32 v20, s7
	v_cmp_ne_u32_e64 s[34:35], v18, v68
	s_mov_b64 s[76:77], exec
	s_waitcnt lgkmcnt(0)
	v_cndmask_b32_e64 v46, v19, v20, s[34:35]
.LBB99_62:
	s_or_b64 exec, exec, s[30:31]
	v_cndmask_b32_e64 v47, 0, 1, vcc
	s_waitcnt lgkmcnt(0)
	v_cndmask_b32_sdwa v45, v10, v17, vcc dst_sel:DWORD dst_unused:UNUSED_PAD src0_sel:WORD_1 src1_sel:DWORD
	s_and_b64 s[30:31], s[76:77], exec
.LBB99_63:
	s_or_b64 exec, exec, s[74:75]
	v_cndmask_b32_e64 v48, 0, 1, s[26:27]
	s_waitcnt lgkmcnt(0)
	v_cndmask_b32_e64 v49, v10, v8, s[26:27]
	s_and_b64 s[26:27], s[30:31], exec
	v_mov_b32_e32 v25, v47
	v_mov_b32_e32 v20, v49
	;; [unrolled: 1-line block ×3, first 2 shown]
.LBB99_64:
	s_or_b64 exec, exec, s[72:73]
	s_mov_b64 vcc, s[24:25]
	v_cndmask_b32_e64 v50, 0, 1, s[24:25]
	s_waitcnt lgkmcnt(0)
	v_cndmask_b32_sdwa v51, v9, v7, vcc dst_sel:DWORD dst_unused:UNUSED_PAD src0_sel:WORD_1 src1_sel:DWORD
	s_and_b64 s[24:25], s[26:27], exec
	v_mov_b32_e32 v19, v45
	v_mov_b32_e32 v21, v51
	;; [unrolled: 1-line block ×3, first 2 shown]
.LBB99_65:
	s_or_b64 exec, exec, s[70:71]
	v_cndmask_b32_e64 v52, 0, 1, s[22:23]
	s_waitcnt lgkmcnt(0)
	v_cndmask_b32_e64 v53, v9, v6, s[22:23]
	s_and_b64 s[22:23], s[24:25], exec
	v_mov_b32_e32 v22, v53
	v_mov_b32_e32 v30, v52
.LBB99_66:
	s_or_b64 exec, exec, s[68:69]
	s_mov_b64 vcc, s[20:21]
	v_cndmask_b32_e64 v54, 0, 1, s[20:21]
	s_waitcnt lgkmcnt(0)
	v_cndmask_b32_sdwa v55, v4, v5, vcc dst_sel:DWORD dst_unused:UNUSED_PAD src0_sel:WORD_1 src1_sel:DWORD
	s_and_b64 s[20:21], s[22:23], exec
	v_mov_b32_e32 v23, v55
	v_mov_b32_e32 v32, v54
.LBB99_67:
	s_or_b64 exec, exec, s[66:67]
	v_cndmask_b32_e64 v56, 0, 1, s[18:19]
	s_waitcnt lgkmcnt(0)
	v_cndmask_b32_e64 v57, v4, v12, s[18:19]
	s_and_b64 s[18:19], s[20:21], exec
	v_mov_b32_e32 v24, v57
	v_mov_b32_e32 v34, v56
.LBB99_68:
	s_or_b64 exec, exec, s[64:65]
	s_mov_b64 vcc, s[16:17]
	v_cndmask_b32_e64 v58, 0, 1, s[16:17]
	s_waitcnt lgkmcnt(0)
	v_cndmask_b32_sdwa v59, v3, v11, vcc dst_sel:DWORD dst_unused:UNUSED_PAD src0_sel:WORD_1 src1_sel:DWORD
	s_and_b64 s[16:17], s[18:19], exec
	v_mov_b32_e32 v26, v59
	v_mov_b32_e32 v37, v58
.LBB99_69:
	s_or_b64 exec, exec, s[62:63]
	v_cndmask_b32_e64 v60, 0, 1, s[14:15]
	s_waitcnt lgkmcnt(0)
	v_cndmask_b32_e64 v61, v3, v28, s[14:15]
	s_and_b64 s[14:15], s[16:17], exec
	v_mov_b32_e32 v28, v61
	v_mov_b32_e32 v39, v60
.LBB99_70:
	s_or_b64 exec, exec, s[60:61]
	s_mov_b64 vcc, s[12:13]
	v_cndmask_b32_e64 v62, 0, 1, s[12:13]
	s_waitcnt lgkmcnt(0)
	v_cndmask_b32_sdwa v63, v2, v31, vcc dst_sel:DWORD dst_unused:UNUSED_PAD src0_sel:WORD_1 src1_sel:DWORD
	s_and_b64 s[12:13], s[14:15], exec
	v_mov_b32_e32 v41, v62
	v_mov_b32_e32 v31, v63
.LBB99_71:
	s_or_b64 exec, exec, s[58:59]
	v_cndmask_b32_e64 v64, 0, 1, s[10:11]
	s_waitcnt lgkmcnt(0)
	v_cndmask_b32_e64 v65, v2, v16, s[10:11]
	s_and_b64 s[10:11], s[12:13], exec
	v_mov_b32_e32 v42, v64
	v_mov_b32_e32 v33, v65
.LBB99_72:
	s_or_b64 exec, exec, s[56:57]
	s_mov_b64 vcc, s[8:9]
	v_cndmask_b32_e64 v66, 0, 1, s[8:9]
	s_waitcnt lgkmcnt(0)
	v_cndmask_b32_sdwa v67, v1, v15, vcc dst_sel:DWORD dst_unused:UNUSED_PAD src0_sel:WORD_1 src1_sel:DWORD
	s_and_b64 s[8:9], s[10:11], exec
	v_mov_b32_e32 v43, v66
	v_mov_b32_e32 v35, v67
.LBB99_73:
	s_or_b64 exec, exec, s[54:55]
	v_cndmask_b32_e64 v69, 0, 1, s[28:29]
	s_waitcnt lgkmcnt(0)
	v_cndmask_b32_e64 v1, v1, v14, s[28:29]
	s_and_b64 s[8:9], s[8:9], exec
	v_mov_b32_e32 v44, v69
	v_mov_b32_e32 v38, v1
.LBB99_74:
	s_or_b64 exec, exec, s[52:53]
	s_waitcnt lgkmcnt(0)
	v_cndmask_b32_e64 v70, v13, v40, s[2:3]
	v_cndmask_b32_e64 v36, 0, 1, s[2:3]
	s_and_b64 s[2:3], s[8:9], exec
	v_mov_b32_e32 v40, v70
.LBB99_75:
	s_or_b64 exec, exec, s[42:43]
	s_and_b64 vcc, exec, s[40:41]
	s_cbranch_vccnz .LBB99_77
	s_branch .LBB99_82
.LBB99_76:
	s_mov_b64 s[2:3], 0
                                        ; implicit-def: $sgpr34_sgpr35
                                        ; implicit-def: $vgpr46
                                        ; implicit-def: $vgpr36
                                        ; implicit-def: $vgpr45
                                        ; implicit-def: $vgpr47
                                        ; implicit-def: $vgpr70
                                        ; implicit-def: $vgpr49
                                        ; implicit-def: $vgpr48
                                        ; implicit-def: $vgpr69
                                        ; implicit-def: $vgpr51
                                        ; implicit-def: $vgpr50
                                        ; implicit-def: $vgpr1
                                        ; implicit-def: $vgpr53
                                        ; implicit-def: $vgpr52
                                        ; implicit-def: $vgpr66
                                        ; implicit-def: $vgpr55
                                        ; implicit-def: $vgpr54
                                        ; implicit-def: $vgpr67
                                        ; implicit-def: $vgpr57
                                        ; implicit-def: $vgpr56
                                        ; implicit-def: $vgpr64
                                        ; implicit-def: $vgpr59
                                        ; implicit-def: $vgpr58
                                        ; implicit-def: $vgpr65
                                        ; implicit-def: $vgpr61
                                        ; implicit-def: $vgpr60
                                        ; implicit-def: $vgpr62
                                        ; implicit-def: $vgpr63
                                        ; implicit-def: $vgpr19
                                        ; implicit-def: $vgpr25
                                        ; implicit-def: $vgpr40
                                        ; implicit-def: $vgpr20
                                        ; implicit-def: $vgpr27
                                        ; implicit-def: $vgpr44
                                        ; implicit-def: $vgpr21
                                        ; implicit-def: $vgpr29
                                        ; implicit-def: $vgpr38
                                        ; implicit-def: $vgpr22
                                        ; implicit-def: $vgpr30
                                        ; implicit-def: $vgpr43
                                        ; implicit-def: $vgpr23
                                        ; implicit-def: $vgpr32
                                        ; implicit-def: $vgpr35
                                        ; implicit-def: $vgpr24
                                        ; implicit-def: $vgpr34
                                        ; implicit-def: $vgpr42
                                        ; implicit-def: $vgpr26
                                        ; implicit-def: $vgpr37
                                        ; implicit-def: $vgpr33
                                        ; implicit-def: $vgpr28
                                        ; implicit-def: $vgpr39
                                        ; implicit-def: $vgpr41
                                        ; implicit-def: $vgpr31
	s_and_b64 vcc, exec, s[40:41]
	s_cbranch_vccz .LBB99_82
.LBB99_77:
	v_lshlrev_b32_e32 v5, 2, v0
	v_mov_b32_e32 v1, s51
	v_add_co_u32_e32 v3, vcc, s50, v5
	v_addc_co_u32_e32 v4, vcc, 0, v1, vcc
	v_add_co_u32_e32 v1, vcc, 0x1000, v3
	v_addc_co_u32_e32 v2, vcc, 0, v4, vcc
	global_load_dword v6, v5, s[50:51]
	global_load_dword v7, v5, s[50:51] offset:1024
	global_load_dword v8, v5, s[50:51] offset:2048
	global_load_dword v9, v5, s[50:51] offset:3072
	global_load_dword v10, v[1:2], off
	global_load_dword v11, v[1:2], off offset:1024
	global_load_dword v12, v[1:2], off offset:2048
	;; [unrolled: 1-line block ×3, first 2 shown]
	v_add_co_u32_e32 v1, vcc, 0x2000, v3
	v_addc_co_u32_e32 v2, vcc, 0, v4, vcc
	v_add_co_u32_e32 v3, vcc, 0x3000, v3
	v_addc_co_u32_e32 v4, vcc, 0, v4, vcc
	global_load_dword v15, v[1:2], off
	global_load_dword v16, v[1:2], off offset:1024
	global_load_dword v17, v[1:2], off offset:2048
	;; [unrolled: 1-line block ×3, first 2 shown]
	global_load_dword v19, v[3:4], off
	global_load_dword v20, v[3:4], off offset:1024
	s_movk_i32 s2, 0xffcc
	v_mad_u32_u24 v21, v0, 52, v5
	v_mad_i32_i24 v13, v0, s2, v21
	s_movk_i32 s3, 0xff
	s_movk_i32 s8, 0x1000
	v_cmp_ne_u32_e32 vcc, s3, v0
	s_waitcnt vmcnt(12)
	ds_write2st64_b32 v5, v6, v7 offset1:4
	s_waitcnt vmcnt(10)
	ds_write2st64_b32 v5, v8, v9 offset0:8 offset1:12
	s_waitcnt vmcnt(8)
	ds_write2st64_b32 v5, v10, v11 offset0:16 offset1:20
	;; [unrolled: 2-line block ×6, first 2 shown]
	s_waitcnt lgkmcnt(0)
	s_barrier
	ds_read2_b64 v[9:12], v21 offset1:1
	ds_read2_b64 v[5:8], v21 offset0:2 offset1:3
	ds_read2_b64 v[1:4], v21 offset0:4 offset1:5
	ds_read_b64 v[17:18], v21 offset:48
	s_load_dword s2, s[50:51], 0x3800
	s_waitcnt lgkmcnt(0)
	ds_write_b32 v13, v9 offset:15360
	s_waitcnt lgkmcnt(0)
	s_barrier
	v_mov_b32_e32 v21, s2
	s_and_saveexec_b64 s[2:3], vcc
; %bb.78:
	ds_read_b32 v21, v13 offset:15364
; %bb.79:
	s_or_b64 exec, exec, s[2:3]
	v_lshlrev_b32_e32 v16, 1, v0
	v_mov_b32_e32 v14, s49
	v_add_co_u32_e32 v15, vcc, s48, v16
	v_addc_co_u32_e32 v19, vcc, 0, v14, vcc
	v_add_co_u32_e32 v14, vcc, s8, v15
	v_addc_co_u32_e32 v15, vcc, 0, v19, vcc
	s_waitcnt lgkmcnt(0)
	s_barrier
	global_load_ushort v20, v16, s[48:49]
	global_load_ushort v22, v16, s[48:49] offset:512
	global_load_ushort v24, v16, s[48:49] offset:1024
	;; [unrolled: 1-line block ×7, first 2 shown]
	global_load_ushort v19, v[14:15], off
	global_load_ushort v30, v[14:15], off offset:512
	global_load_ushort v31, v[14:15], off offset:1024
	;; [unrolled: 1-line block ×5, first 2 shown]
	v_sub_u32_e32 v23, v13, v16
	v_mad_u32_u24 v35, v0, 26, v23
	v_cmp_ne_u32_e32 vcc, v9, v10
	v_cmp_eq_u32_e64 s[2:3], v9, v10
	v_mov_b32_e32 v70, s7
	s_waitcnt vmcnt(13)
	ds_write_b16 v23, v20
	s_waitcnt vmcnt(12)
	ds_write_b16 v23, v22 offset:512
	s_waitcnt vmcnt(11)
	ds_write_b16 v23, v24 offset:1024
	;; [unrolled: 2-line block ×13, first 2 shown]
	s_waitcnt lgkmcnt(0)
	s_barrier
	ds_read_b128 v[13:16], v35 offset:2
	ds_read_b64 v[19:20], v35 offset:18
	ds_read_u16 v22, v35 offset:26
	s_and_saveexec_b64 s[8:9], s[2:3]
; %bb.80:
	v_mul_u32_u24_e32 v9, 26, v0
	v_add_u32_e32 v9, v23, v9
	ds_read_u16 v70, v9
; %bb.81:
	s_or_b64 exec, exec, s[8:9]
	v_cndmask_b32_e64 v36, 0, 1, vcc
	v_cmp_ne_u32_e32 vcc, v10, v11
	v_cmp_ne_u32_e64 s[2:3], v11, v12
	v_cmp_ne_u32_e64 s[18:19], v1, v2
	;; [unrolled: 1-line block ×3, first 2 shown]
	v_mov_b32_e32 v2, s7
	v_cndmask_b32_e64 v69, 0, 1, vcc
	v_cmp_ne_u32_e64 s[10:11], v5, v6
	v_cmp_ne_u32_e64 s[16:17], v8, v1
	s_waitcnt lgkmcnt(2)
	v_cndmask_b32_e32 v1, v13, v2, vcc
	s_mov_b64 vcc, s[2:3]
	v_cmp_ne_u32_e64 s[14:15], v7, v8
	v_cndmask_b32_sdwa v67, v13, v2, vcc dst_sel:DWORD dst_unused:UNUSED_PAD src0_sel:WORD_1 src1_sel:DWORD
	s_mov_b64 vcc, s[10:11]
	v_cndmask_b32_sdwa v63, v14, v2, vcc dst_sel:DWORD dst_unused:UNUSED_PAD src0_sel:WORD_1 src1_sel:DWORD
	s_mov_b64 vcc, s[14:15]
	v_cmp_ne_u32_e64 s[22:23], v3, v4
	v_cndmask_b32_sdwa v59, v15, v2, vcc dst_sel:DWORD dst_unused:UNUSED_PAD src0_sel:WORD_1 src1_sel:DWORD
	s_mov_b64 vcc, s[18:19]
	v_cmp_ne_u32_e64 s[26:27], v17, v18
	;; [unrolled: 3-line block ×3, first 2 shown]
	v_cmp_ne_u32_e64 s[12:13], v6, v7
	v_cmp_ne_u32_e64 s[24:25], v4, v17
	s_waitcnt lgkmcnt(1)
	v_cndmask_b32_sdwa v51, v19, v2, vcc dst_sel:DWORD dst_unused:UNUSED_PAD src0_sel:WORD_1 src1_sel:DWORD
	s_mov_b64 vcc, s[26:27]
	v_cndmask_b32_e64 v66, 0, 1, s[2:3]
	v_cndmask_b32_e64 v64, 0, 1, s[8:9]
	v_cndmask_b32_e64 v62, 0, 1, s[10:11]
	v_cndmask_b32_e64 v60, 0, 1, s[12:13]
	v_cndmask_b32_e64 v58, 0, 1, s[14:15]
	v_cndmask_b32_e64 v56, 0, 1, s[16:17]
	v_cndmask_b32_e64 v54, 0, 1, s[18:19]
	v_cndmask_b32_e64 v52, 0, 1, s[20:21]
	v_cndmask_b32_e64 v50, 0, 1, s[22:23]
	v_cndmask_b32_e64 v48, 0, 1, s[24:25]
	v_cndmask_b32_e64 v47, 0, 1, s[26:27]
	v_cndmask_b32_e64 v65, v14, v2, s[8:9]
	v_cndmask_b32_e64 v61, v15, v2, s[12:13]
	v_cndmask_b32_e64 v57, v16, v2, s[16:17]
	v_cndmask_b32_e64 v53, v19, v2, s[20:21]
	v_cndmask_b32_e64 v49, v20, v2, s[24:25]
	v_cndmask_b32_sdwa v45, v20, v2, vcc dst_sel:DWORD dst_unused:UNUSED_PAD src0_sel:WORD_1 src1_sel:DWORD
	v_cmp_ne_u32_e64 s[34:35], v18, v21
	s_waitcnt lgkmcnt(0)
	v_cndmask_b32_e64 v46, v22, v2, s[34:35]
	s_mov_b64 s[2:3], -1
	v_mov_b32_e32 v19, v45
	v_mov_b32_e32 v25, v47
	;; [unrolled: 1-line block ×25, first 2 shown]
.LBB99_82:
	v_mov_b32_e32 v11, 0
	v_mov_b32_e32 v10, 0
	s_and_saveexec_b64 s[8:9], s[2:3]
	s_cbranch_execz .LBB99_84
; %bb.83:
	v_cndmask_b32_e64 v10, 0, 1, s[34:35]
	v_mov_b32_e32 v31, v63
	v_mov_b32_e32 v41, v62
	;; [unrolled: 1-line block ×26, first 2 shown]
.LBB99_84:
	s_or_b64 exec, exec, s[8:9]
	s_cmp_lg_u32 s6, 0
	s_barrier
	s_cbranch_scc0 .LBB99_164
; %bb.85:
	v_mov_b32_e32 v1, 0
	v_cmp_eq_u16_sdwa s[2:3], v44, v1 src0_sel:BYTE_0 src1_sel:DWORD
	v_cmp_ne_u16_sdwa s[8:9], v44, v1 src0_sel:BYTE_0 src1_sel:DWORD
                                        ; implicit-def: $vgpr1
	s_and_saveexec_b64 s[10:11], s[8:9]
	s_xor_b64 s[8:9], exec, s[10:11]
; %bb.86:
	v_mov_b32_e32 v1, v38
; %bb.87:
	s_andn2_saveexec_b64 s[8:9], s[8:9]
; %bb.88:
	v_cmp_lt_f16_e32 vcc, v40, v38
	v_cndmask_b32_e32 v1, v40, v38, vcc
; %bb.89:
	s_or_b64 exec, exec, s[8:9]
	v_mov_b32_e32 v2, 0
	v_cmp_lt_f16_e32 vcc, v1, v35
	v_cndmask_b32_e32 v1, v1, v35, vcc
	v_cmp_eq_u16_sdwa s[30:31], v43, v2 src0_sel:BYTE_0 src1_sel:DWORD
	v_cndmask_b32_e64 v1, v35, v1, s[30:31]
	v_cmp_lt_f16_e32 vcc, v1, v33
	v_cndmask_b32_e32 v1, v1, v33, vcc
	v_cmp_eq_u16_sdwa s[8:9], v42, v2 src0_sel:BYTE_0 src1_sel:DWORD
	v_cndmask_b32_e64 v1, v33, v1, s[8:9]
	;; [unrolled: 4-line block ×8, first 2 shown]
	v_or_b32_e32 v3, v39, v41
	v_cmp_lt_f16_e32 vcc, v1, v21
	v_or_b32_e32 v3, v3, v37
	v_cndmask_b32_e32 v1, v1, v21, vcc
	v_cmp_eq_u16_sdwa s[22:23], v29, v2 src0_sel:BYTE_0 src1_sel:DWORD
	v_or_b32_e32 v3, v3, v42
	v_cndmask_b32_e64 v1, v21, v1, s[22:23]
	v_or_b32_e32 v3, v3, v34
	v_cmp_lt_f16_e32 vcc, v1, v20
	v_or_b32_e32 v3, v3, v32
	v_or_b32_e32 v4, v29, v30
	v_cndmask_b32_e32 v1, v1, v20, vcc
	v_cmp_eq_u16_sdwa s[24:25], v27, v2 src0_sel:BYTE_0 src1_sel:DWORD
	v_or_b32_e32 v3, v3, v43
	v_cndmask_b32_e64 v1, v20, v1, s[24:25]
	v_or_b32_e32 v4, v4, v27
	v_or_b32_e32 v3, v3, v44
	v_cmp_lt_f16_e32 vcc, v1, v19
	v_or_b32_e32 v4, v4, v25
	v_cndmask_b32_e32 v1, v1, v19, vcc
	v_cmp_eq_u16_sdwa s[26:27], v25, v2 src0_sel:BYTE_0 src1_sel:DWORD
	v_or_b32_e32 v3, v4, v3
	v_cndmask_b32_e64 v1, v19, v1, s[26:27]
	v_cmp_eq_u16_sdwa vcc, v3, v2 src0_sel:BYTE_0 src1_sel:DWORD
	v_cndmask_b32_e32 v2, 1, v36, vcc
	v_cmp_lt_f16_e32 vcc, v1, v11
	v_cndmask_b32_e32 v1, v1, v11, vcc
	v_cmp_eq_u16_e32 vcc, 0, v10
	v_and_b32_e32 v3, 1, v10
	v_cndmask_b32_e32 v1, v11, v1, vcc
	v_cmp_eq_u32_e32 vcc, 1, v3
	v_cndmask_b32_e64 v2, v2, 1, vcc
	v_mbcnt_lo_u32_b32 v3, -1, 0
	v_mbcnt_hi_u32_b32 v3, -1, v3
	v_and_b32_e32 v7, 0xff, v2
	v_and_b32_e32 v4, 0xffff, v1
	;; [unrolled: 1-line block ×3, first 2 shown]
	v_lshl_or_b32 v4, v7, 16, v4
	v_cmp_ne_u32_e32 vcc, 0, v6
	s_nop 0
	v_mov_b32_dpp v5, v4 row_shr:1 row_mask:0xf bank_mask:0xf
	s_and_saveexec_b64 s[28:29], vcc
	s_xor_b64 s[28:29], exec, s[28:29]
	s_cbranch_execz .LBB99_91
; %bb.90:
	v_cmp_gt_f16_e32 vcc, v1, v5
	v_cndmask_b32_e32 v4, v5, v1, vcc
	v_cmp_eq_u16_e32 vcc, 0, v7
	v_cndmask_b32_e32 v1, v1, v4, vcc
	v_and_b32_e32 v2, 1, v2
	v_mov_b32_e32 v4, 1
	v_and_b32_sdwa v4, v5, v4 dst_sel:DWORD dst_unused:UNUSED_PAD src0_sel:WORD_1 src1_sel:DWORD
	v_cmp_eq_u32_e32 vcc, 1, v2
	v_cndmask_b32_e64 v2, v4, 1, vcc
	v_lshlrev_b32_e32 v4, 16, v2
	v_or_b32_sdwa v4, v4, v1 dst_sel:DWORD dst_unused:UNUSED_PAD src0_sel:DWORD src1_sel:WORD_0
.LBB99_91:
	s_or_b64 exec, exec, s[28:29]
	v_lshrrev_b32_e32 v5, 16, v4
	v_mov_b32_dpp v7, v4 row_shr:2 row_mask:0xf bank_mask:0xf
	v_cmp_lt_u32_e32 vcc, 1, v6
	s_and_saveexec_b64 s[28:29], vcc
	s_cbranch_execz .LBB99_93
; %bb.92:
	s_mov_b32 s34, 0x10000
	v_cmp_gt_f16_e32 vcc, v1, v7
	v_cndmask_b32_e32 v2, v7, v1, vcc
	v_cmp_gt_u32_e32 vcc, s34, v4
	v_cndmask_b32_e32 v1, v1, v2, vcc
	v_and_b32_e32 v2, 0x10000, v4
	v_mov_b32_e32 v4, 1
	v_and_b32_sdwa v4, v7, v4 dst_sel:DWORD dst_unused:UNUSED_PAD src0_sel:WORD_1 src1_sel:DWORD
	v_cmp_ne_u32_e32 vcc, 0, v2
	v_cndmask_b32_e64 v2, v4, 1, vcc
	v_lshlrev_b32_e32 v4, 16, v2
	v_or_b32_sdwa v4, v4, v1 dst_sel:DWORD dst_unused:UNUSED_PAD src0_sel:DWORD src1_sel:WORD_0
	v_mov_b32_e32 v5, v2
.LBB99_93:
	s_or_b64 exec, exec, s[28:29]
	v_mov_b32_dpp v7, v4 row_shr:4 row_mask:0xf bank_mask:0xf
	v_cmp_lt_u32_e32 vcc, 3, v6
	s_and_saveexec_b64 s[28:29], vcc
	s_cbranch_execz .LBB99_95
; %bb.94:
	v_cmp_gt_f16_e32 vcc, v1, v7
	v_cndmask_b32_e32 v2, v7, v1, vcc
	v_cmp_eq_u16_e32 vcc, 0, v5
	v_cndmask_b32_e32 v1, v1, v2, vcc
	v_and_b32_e32 v2, 1, v5
	v_mov_b32_e32 v4, 1
	v_and_b32_sdwa v4, v7, v4 dst_sel:DWORD dst_unused:UNUSED_PAD src0_sel:WORD_1 src1_sel:DWORD
	v_cmp_eq_u32_e32 vcc, 1, v2
	v_cndmask_b32_e64 v2, v4, 1, vcc
	v_lshlrev_b32_e32 v4, 16, v2
	v_or_b32_sdwa v4, v4, v1 dst_sel:DWORD dst_unused:UNUSED_PAD src0_sel:DWORD src1_sel:WORD_0
	v_mov_b32_e32 v5, v2
.LBB99_95:
	s_or_b64 exec, exec, s[28:29]
	v_mov_b32_dpp v7, v4 row_shr:8 row_mask:0xf bank_mask:0xf
	v_cmp_lt_u32_e32 vcc, 7, v6
	s_and_saveexec_b64 s[28:29], vcc
	s_cbranch_execz .LBB99_97
; %bb.96:
	v_cmp_gt_f16_e32 vcc, v1, v7
	v_cndmask_b32_e32 v2, v7, v1, vcc
	v_cmp_eq_u16_e32 vcc, 0, v5
	v_cndmask_b32_e32 v1, v1, v2, vcc
	v_and_b32_e32 v2, 1, v5
	v_mov_b32_e32 v4, 1
	v_and_b32_sdwa v4, v7, v4 dst_sel:DWORD dst_unused:UNUSED_PAD src0_sel:WORD_1 src1_sel:DWORD
	v_cmp_eq_u32_e32 vcc, 1, v2
	v_cndmask_b32_e64 v2, v4, 1, vcc
	v_lshlrev_b32_e32 v4, 16, v2
	v_or_b32_sdwa v4, v4, v1 dst_sel:DWORD dst_unused:UNUSED_PAD src0_sel:DWORD src1_sel:WORD_0
	v_mov_b32_e32 v5, v2
.LBB99_97:
	s_or_b64 exec, exec, s[28:29]
	v_and_b32_e32 v7, 16, v3
	v_mov_b32_dpp v6, v4 row_bcast:15 row_mask:0xf bank_mask:0xf
	v_cmp_ne_u32_e32 vcc, 0, v7
	s_and_saveexec_b64 s[28:29], vcc
	s_cbranch_execz .LBB99_99
; %bb.98:
	v_cmp_gt_f16_e32 vcc, v1, v6
	v_cndmask_b32_e32 v2, v6, v1, vcc
	v_cmp_eq_u16_e32 vcc, 0, v5
	v_cndmask_b32_e32 v1, v1, v2, vcc
	v_and_b32_e32 v2, 1, v5
	v_mov_b32_e32 v4, 1
	v_and_b32_sdwa v4, v6, v4 dst_sel:DWORD dst_unused:UNUSED_PAD src0_sel:WORD_1 src1_sel:DWORD
	v_cmp_eq_u32_e32 vcc, 1, v2
	v_cndmask_b32_e64 v2, v4, 1, vcc
	v_lshlrev_b32_e32 v4, 16, v2
	v_or_b32_sdwa v4, v4, v1 dst_sel:DWORD dst_unused:UNUSED_PAD src0_sel:DWORD src1_sel:WORD_0
	v_mov_b32_e32 v5, v2
.LBB99_99:
	s_or_b64 exec, exec, s[28:29]
	v_mov_b32_dpp v4, v4 row_bcast:31 row_mask:0xf bank_mask:0xf
	v_cmp_lt_u32_e32 vcc, 31, v3
	s_and_saveexec_b64 s[28:29], vcc
; %bb.100:
	v_and_b32_e32 v2, 1, v5
	v_mov_b32_e32 v6, 1
	v_and_b32_sdwa v6, v4, v6 dst_sel:DWORD dst_unused:UNUSED_PAD src0_sel:WORD_1 src1_sel:DWORD
	v_cmp_eq_u32_e32 vcc, 1, v2
	v_cndmask_b32_e64 v2, v6, 1, vcc
	v_cmp_gt_f16_e32 vcc, v1, v4
	v_cndmask_b32_e32 v4, v4, v1, vcc
	v_cmp_eq_u16_e32 vcc, 0, v5
	v_cndmask_b32_e32 v1, v1, v4, vcc
; %bb.101:
	s_or_b64 exec, exec, s[28:29]
	v_lshrrev_b32_e32 v4, 6, v0
	v_or_b32_e32 v5, 63, v0
	v_cmp_eq_u32_e32 vcc, v0, v5
	v_lshlrev_b32_e32 v4, 2, v4
	s_and_saveexec_b64 s[28:29], vcc
	s_cbranch_execz .LBB99_103
; %bb.102:
	ds_write_b16 v4, v1
	ds_write_b8 v4, v2 offset:2
.LBB99_103:
	s_or_b64 exec, exec, s[28:29]
	v_cmp_gt_u32_e32 vcc, 4, v0
	s_waitcnt lgkmcnt(0)
	s_barrier
	s_and_saveexec_b64 s[34:35], vcc
	s_cbranch_execz .LBB99_107
; %bb.104:
	v_lshlrev_b32_e32 v5, 2, v0
	ds_read_b32 v9, v5
	v_and_b32_e32 v6, 3, v3
	v_cmp_ne_u32_e32 vcc, 0, v6
	s_waitcnt lgkmcnt(0)
	v_lshrrev_b32_e32 v8, 16, v9
	v_mov_b32_dpp v12, v9 row_shr:1 row_mask:0xf bank_mask:0xf
	v_mov_b32_e32 v7, v9
	s_and_saveexec_b64 s[28:29], vcc
	s_cbranch_execz .LBB99_106
; %bb.105:
	v_mov_b32_e32 v7, 0
	v_cmp_gt_f16_e32 vcc, v9, v12
	v_cndmask_b32_e32 v13, v12, v9, vcc
	v_cmp_eq_u16_sdwa vcc, v8, v7 src0_sel:BYTE_0 src1_sel:DWORD
	v_cndmask_b32_e32 v7, v9, v13, vcc
	v_and_b32_e32 v13, 0xff000000, v9
	v_and_b32_e32 v8, 0x10000, v9
	v_mov_b32_e32 v9, 1
	v_and_b32_sdwa v9, v12, v9 dst_sel:DWORD dst_unused:UNUSED_PAD src0_sel:WORD_1 src1_sel:DWORD
	v_cmp_ne_u32_e32 vcc, 0, v8
	v_cndmask_b32_e64 v8, v9, 1, vcc
	v_lshlrev_b32_e32 v9, 16, v8
	v_and_b32_e32 v12, 0xffff, v7
	v_or3_b32 v9, v9, v13, v12
.LBB99_106:
	s_or_b64 exec, exec, s[28:29]
	s_nop 0
	v_mov_b32_dpp v12, v9 row_shr:2 row_mask:0xf bank_mask:0xf
	v_and_b32_e32 v13, 0xff0000, v9
	v_cmp_gt_f16_e64 s[28:29], v7, v12
	v_and_b32_e32 v9, 0x10000, v9
	v_mov_b32_e32 v14, 1
	v_cmp_eq_u32_e32 vcc, 0, v13
	v_cndmask_b32_e64 v13, v12, v7, s[28:29]
	v_and_b32_sdwa v12, v12, v14 dst_sel:DWORD dst_unused:UNUSED_PAD src0_sel:WORD_1 src1_sel:DWORD
	v_cmp_eq_u32_e64 s[28:29], 0, v9
	v_cndmask_b32_e64 v9, 1, v12, s[28:29]
	v_cmp_lt_u32_e64 s[28:29], 1, v6
	s_and_b64 vcc, s[28:29], vcc
	v_cndmask_b32_e32 v7, v7, v13, vcc
	v_cndmask_b32_e64 v6, v8, v9, s[28:29]
	ds_write_b16 v5, v7
	ds_write_b8 v5, v6 offset:2
.LBB99_107:
	s_or_b64 exec, exec, s[34:35]
	v_cmp_gt_u32_e32 vcc, 64, v0
	v_cmp_lt_u32_e64 s[28:29], 63, v0
	v_mov_b32_e32 v13, 0
	v_mov_b32_e32 v12, 0
	s_waitcnt lgkmcnt(0)
	s_barrier
	s_and_saveexec_b64 s[34:35], s[28:29]
	s_cbranch_execz .LBB99_109
; %bb.108:
	v_add_u32_e32 v5, -4, v4
	ds_read_u16 v12, v5
	v_add_u32_e32 v4, -2, v4
	ds_read_u8 v13, v4
	v_mov_b32_e32 v5, 0
	s_waitcnt lgkmcnt(1)
	v_cmp_lt_f16_e64 s[28:29], v12, v1
	v_cndmask_b32_e64 v4, v12, v1, s[28:29]
	v_cmp_eq_u16_sdwa s[28:29], v2, v5 src0_sel:BYTE_0 src1_sel:DWORD
	v_and_b32_e32 v2, 1, v2
	v_cndmask_b32_e64 v1, v1, v4, s[28:29]
	v_cmp_eq_u32_e64 s[28:29], 1, v2
	s_waitcnt lgkmcnt(0)
	v_cndmask_b32_e64 v2, v13, 1, s[28:29]
.LBB99_109:
	s_or_b64 exec, exec, s[34:35]
	v_and_b32_e32 v2, 0xff, v2
	v_and_b32_e32 v1, 0xffff, v1
	v_lshl_or_b32 v1, v2, 16, v1
	v_subrev_co_u32_e64 v2, s[28:29], 1, v3
	v_and_b32_e32 v4, 64, v3
	v_cmp_lt_i32_e64 s[34:35], v2, v4
	v_cndmask_b32_e64 v2, v2, v3, s[34:35]
	v_lshlrev_b32_e32 v2, 2, v2
	ds_bpermute_b32 v14, v2, v1
	s_and_saveexec_b64 s[34:35], vcc
	s_cbranch_execz .LBB99_169
; %bb.110:
	v_mov_b32_e32 v6, 0
	ds_read_b32 v1, v6 offset:12
	s_and_saveexec_b64 s[40:41], s[28:29]
	s_cbranch_execz .LBB99_112
; %bb.111:
	s_add_i32 s42, s6, 64
	s_mov_b32 s43, 0
	s_lshl_b64 s[42:43], s[42:43], 3
	s_add_u32 s42, s36, s42
	v_mov_b32_e32 v2, 1
	s_addc_u32 s43, s37, s43
	s_waitcnt lgkmcnt(0)
	global_store_dwordx2 v6, v[1:2], s[42:43]
.LBB99_112:
	s_or_b64 exec, exec, s[40:41]
	v_xad_u32 v2, v3, -1, s6
	v_add_u32_e32 v5, 64, v2
	v_lshlrev_b64 v[4:5], 3, v[5:6]
	v_mov_b32_e32 v8, s37
	v_add_co_u32_e32 v7, vcc, s36, v4
	v_addc_co_u32_e32 v8, vcc, v8, v5, vcc
	global_load_dwordx2 v[4:5], v[7:8], off glc
	s_waitcnt vmcnt(0)
	v_cmp_eq_u16_sdwa s[42:43], v5, v6 src0_sel:BYTE_0 src1_sel:DWORD
	s_and_saveexec_b64 s[40:41], s[42:43]
	s_cbranch_execz .LBB99_116
; %bb.113:
	s_mov_b64 s[42:43], 0
	v_mov_b32_e32 v6, 0
.LBB99_114:                             ; =>This Inner Loop Header: Depth=1
	global_load_dwordx2 v[4:5], v[7:8], off glc
	s_waitcnt vmcnt(0)
	v_cmp_ne_u16_sdwa s[48:49], v5, v6 src0_sel:BYTE_0 src1_sel:DWORD
	s_or_b64 s[42:43], s[48:49], s[42:43]
	s_andn2_b64 exec, exec, s[42:43]
	s_cbranch_execnz .LBB99_114
; %bb.115:
	s_or_b64 exec, exec, s[42:43]
.LBB99_116:
	s_or_b64 exec, exec, s[40:41]
	v_mov_b32_e32 v8, 2
	v_lshlrev_b64 v[6:7], v3, -1
	v_cmp_eq_u16_sdwa s[40:41], v5, v8 src0_sel:BYTE_0 src1_sel:DWORD
	v_and_b32_e32 v8, s41, v7
	v_or_b32_e32 v8, 0x80000000, v8
	v_and_b32_e32 v9, s40, v6
	v_ffbl_b32_e32 v8, v8
	v_and_b32_e32 v49, 63, v3
	v_add_u32_e32 v8, 32, v8
	v_ffbl_b32_e32 v9, v9
	v_cmp_ne_u32_e32 vcc, 63, v49
	v_min_u32_e32 v8, v9, v8
	v_addc_co_u32_e32 v9, vcc, 0, v3, vcc
	v_and_b32_e32 v51, 0xffffff, v4
	v_lshlrev_b32_e32 v15, 2, v9
	ds_bpermute_b32 v17, v15, v51
	v_add_u32_e32 v16, 1, v3
	v_lshrrev_b32_e32 v9, 16, v4
	v_cmp_le_u32_e32 vcc, v16, v8
	v_bfe_u32 v52, v4, 16, 8
	s_and_saveexec_b64 s[40:41], vcc
	s_cbranch_execz .LBB99_118
; %bb.117:
	v_and_b32_e32 v9, 0xff0000, v4
	s_waitcnt lgkmcnt(0)
	v_cmp_gt_f16_e32 vcc, v4, v17
	v_cndmask_b32_e32 v18, v17, v4, vcc
	v_cmp_eq_u32_e32 vcc, 0, v9
	v_cndmask_b32_e32 v4, v4, v18, vcc
	v_and_b32_e32 v9, 0x10000, v9
	v_mov_b32_e32 v18, 1
	v_and_b32_sdwa v17, v17, v18 dst_sel:DWORD dst_unused:UNUSED_PAD src0_sel:WORD_1 src1_sel:DWORD
	v_cmp_ne_u32_e32 vcc, 0, v9
	v_cndmask_b32_e64 v9, v17, 1, vcc
	v_lshlrev_b32_e32 v17, 16, v9
	v_or_b32_sdwa v51, v17, v4 dst_sel:DWORD dst_unused:UNUSED_PAD src0_sel:DWORD src1_sel:WORD_0
	v_mov_b32_e32 v52, v9
.LBB99_118:
	s_or_b64 exec, exec, s[40:41]
	v_cmp_gt_u32_e32 vcc, 62, v49
	s_waitcnt lgkmcnt(0)
	v_cndmask_b32_e64 v17, 0, 2, vcc
	v_add_lshl_u32 v17, v17, v3, 2
	ds_bpermute_b32 v45, v17, v51
	v_add_u32_e32 v18, 2, v3
	v_cmp_le_u32_e32 vcc, v18, v8
	s_and_saveexec_b64 s[40:41], vcc
	s_cbranch_execz .LBB99_120
; %bb.119:
	s_waitcnt lgkmcnt(0)
	v_cmp_gt_f16_e32 vcc, v4, v45
	v_cndmask_b32_e32 v9, v45, v4, vcc
	v_cmp_eq_u16_e32 vcc, 0, v52
	v_cndmask_b32_e32 v4, v4, v9, vcc
	v_and_b32_e32 v9, 1, v52
	v_mov_b32_e32 v46, 1
	v_and_b32_sdwa v45, v45, v46 dst_sel:DWORD dst_unused:UNUSED_PAD src0_sel:WORD_1 src1_sel:DWORD
	v_cmp_eq_u32_e32 vcc, 1, v9
	v_cndmask_b32_e64 v9, v45, 1, vcc
	v_lshlrev_b32_e32 v45, 16, v9
	v_or_b32_sdwa v51, v45, v4 dst_sel:DWORD dst_unused:UNUSED_PAD src0_sel:DWORD src1_sel:WORD_0
	v_mov_b32_e32 v52, v9
.LBB99_120:
	s_or_b64 exec, exec, s[40:41]
	v_cmp_gt_u32_e32 vcc, 60, v49
	s_waitcnt lgkmcnt(0)
	v_cndmask_b32_e64 v45, 0, 4, vcc
	v_add_lshl_u32 v45, v45, v3, 2
	ds_bpermute_b32 v47, v45, v51
	v_add_u32_e32 v46, 4, v3
	v_cmp_le_u32_e32 vcc, v46, v8
	s_and_saveexec_b64 s[40:41], vcc
	s_cbranch_execz .LBB99_122
; %bb.121:
	s_waitcnt lgkmcnt(0)
	v_cmp_gt_f16_e32 vcc, v4, v47
	v_cndmask_b32_e32 v9, v47, v4, vcc
	v_cmp_eq_u16_e32 vcc, 0, v52
	v_cndmask_b32_e32 v4, v4, v9, vcc
	v_and_b32_e32 v9, 1, v52
	v_mov_b32_e32 v48, 1
	v_and_b32_sdwa v47, v47, v48 dst_sel:DWORD dst_unused:UNUSED_PAD src0_sel:WORD_1 src1_sel:DWORD
	v_cmp_eq_u32_e32 vcc, 1, v9
	v_cndmask_b32_e64 v9, v47, 1, vcc
	v_lshlrev_b32_e32 v47, 16, v9
	v_or_b32_sdwa v51, v47, v4 dst_sel:DWORD dst_unused:UNUSED_PAD src0_sel:DWORD src1_sel:WORD_0
	v_mov_b32_e32 v52, v9
.LBB99_122:
	s_or_b64 exec, exec, s[40:41]
	v_cmp_gt_u32_e32 vcc, 56, v49
	s_waitcnt lgkmcnt(0)
	v_cndmask_b32_e64 v47, 0, 8, vcc
	v_add_lshl_u32 v47, v47, v3, 2
	ds_bpermute_b32 v50, v47, v51
	v_add_u32_e32 v48, 8, v3
	v_cmp_le_u32_e32 vcc, v48, v8
	s_and_saveexec_b64 s[40:41], vcc
	s_cbranch_execz .LBB99_124
; %bb.123:
	s_waitcnt lgkmcnt(0)
	v_cmp_gt_f16_e32 vcc, v4, v50
	v_cndmask_b32_e32 v9, v50, v4, vcc
	v_cmp_eq_u16_e32 vcc, 0, v52
	v_cndmask_b32_e32 v4, v4, v9, vcc
	v_and_b32_e32 v9, 1, v52
	v_mov_b32_e32 v51, 1
	v_and_b32_sdwa v50, v50, v51 dst_sel:DWORD dst_unused:UNUSED_PAD src0_sel:WORD_1 src1_sel:DWORD
	v_cmp_eq_u32_e32 vcc, 1, v9
	v_cndmask_b32_e64 v9, v50, 1, vcc
	v_lshlrev_b32_e32 v50, 16, v9
	v_or_b32_sdwa v51, v50, v4 dst_sel:DWORD dst_unused:UNUSED_PAD src0_sel:DWORD src1_sel:WORD_0
	v_mov_b32_e32 v52, v9
.LBB99_124:
	s_or_b64 exec, exec, s[40:41]
	v_cmp_gt_u32_e32 vcc, 48, v49
	v_cndmask_b32_e64 v49, 0, 16, vcc
	v_add_lshl_u32 v49, v49, v3, 2
	ds_bpermute_b32 v53, v49, v51
	s_waitcnt lgkmcnt(1)
	v_add_u32_e32 v50, 16, v3
	v_cmp_le_u32_e32 vcc, v50, v8
	s_and_saveexec_b64 s[40:41], vcc
	s_xor_b64 s[40:41], exec, s[40:41]
	s_cbranch_execz .LBB99_126
; %bb.125:
	s_waitcnt lgkmcnt(0)
	v_cmp_gt_f16_e32 vcc, v4, v53
	v_cndmask_b32_e32 v9, v53, v4, vcc
	v_cmp_eq_u16_e32 vcc, 0, v52
	v_cndmask_b32_e32 v4, v4, v9, vcc
	v_and_b32_e32 v9, 1, v52
	v_mov_b32_e32 v51, 1
	v_and_b32_sdwa v51, v53, v51 dst_sel:DWORD dst_unused:UNUSED_PAD src0_sel:WORD_1 src1_sel:DWORD
	v_cmp_eq_u32_e32 vcc, 1, v9
	v_cndmask_b32_e64 v9, v51, 1, vcc
	v_lshlrev_b32_e32 v51, 16, v9
	v_or_b32_sdwa v51, v51, v4 dst_sel:DWORD dst_unused:UNUSED_PAD src0_sel:DWORD src1_sel:WORD_0
                                        ; implicit-def: $vgpr52
.LBB99_126:
	s_or_saveexec_b64 s[40:41], s[40:41]
	v_mov_b32_e32 v55, v9
	s_xor_b64 exec, exec, s[40:41]
; %bb.127:
	v_mov_b32_e32 v55, v52
; %bb.128:
	s_or_b64 exec, exec, s[40:41]
	v_mov_b32_e32 v52, 0x80
	s_waitcnt lgkmcnt(0)
	v_lshl_or_b32 v53, v3, 2, v52
	ds_bpermute_b32 v51, v53, v51
	v_add_u32_e32 v54, 32, v3
	v_cmp_le_u32_e32 vcc, v54, v8
	s_and_saveexec_b64 s[40:41], vcc
	s_cbranch_execz .LBB99_130
; %bb.129:
	s_waitcnt lgkmcnt(0)
	v_cmp_gt_f16_e32 vcc, v4, v51
	v_and_b32_e32 v9, 1, v55
	v_mov_b32_e32 v52, 1
	v_mov_b32_e32 v3, 0
	v_cndmask_b32_e32 v8, v51, v4, vcc
	v_and_b32_sdwa v51, v51, v52 dst_sel:DWORD dst_unused:UNUSED_PAD src0_sel:WORD_1 src1_sel:DWORD
	v_cmp_eq_u32_e32 vcc, 1, v9
	v_cndmask_b32_e64 v9, v51, 1, vcc
	v_cmp_eq_u16_sdwa vcc, v55, v3 src0_sel:BYTE_0 src1_sel:DWORD
	v_cndmask_b32_e32 v4, v4, v8, vcc
.LBB99_130:
	s_or_b64 exec, exec, s[40:41]
	v_mov_b32_e32 v3, 0
	v_mov_b32_e32 v55, 2
	;; [unrolled: 1-line block ×3, first 2 shown]
	s_branch .LBB99_133
.LBB99_131:                             ;   in Loop: Header=BB99_133 Depth=1
	s_or_b64 exec, exec, s[40:41]
	v_cmp_lt_f16_e32 vcc, v4, v52
	v_cndmask_b32_e32 v4, v4, v52, vcc
	v_cmp_eq_u16_sdwa vcc, v51, v3 src0_sel:BYTE_0 src1_sel:DWORD
	v_and_b32_e32 v8, 1, v51
	v_cndmask_b32_e32 v4, v52, v4, vcc
	v_and_b32_e32 v9, 1, v9
	v_cmp_eq_u32_e32 vcc, 1, v8
	v_subrev_u32_e32 v2, 64, v2
	v_cndmask_b32_e64 v9, v9, 1, vcc
	s_mov_b64 s[40:41], 0
.LBB99_132:                             ;   in Loop: Header=BB99_133 Depth=1
	s_and_b64 vcc, exec, s[40:41]
	s_cbranch_vccnz .LBB99_165
.LBB99_133:                             ; =>This Loop Header: Depth=1
                                        ;     Child Loop BB99_136 Depth 2
	v_cmp_ne_u16_sdwa s[40:41], v5, v55 src0_sel:BYTE_0 src1_sel:DWORD
	s_waitcnt lgkmcnt(0)
	v_mov_b32_e32 v51, v9
	v_mov_b32_e32 v52, v4
	s_cmp_lg_u64 s[40:41], exec
	s_mov_b64 s[40:41], -1
                                        ; implicit-def: $vgpr9
                                        ; implicit-def: $vgpr4
	s_cbranch_scc1 .LBB99_132
; %bb.134:                              ;   in Loop: Header=BB99_133 Depth=1
	v_lshlrev_b64 v[4:5], 3, v[2:3]
	v_mov_b32_e32 v9, s37
	v_add_co_u32_e32 v8, vcc, s36, v4
	v_addc_co_u32_e32 v9, vcc, v9, v5, vcc
	global_load_dwordx2 v[4:5], v[8:9], off glc
	s_waitcnt vmcnt(0)
	v_cmp_eq_u16_sdwa s[42:43], v5, v3 src0_sel:BYTE_0 src1_sel:DWORD
	s_and_saveexec_b64 s[40:41], s[42:43]
	s_cbranch_execz .LBB99_138
; %bb.135:                              ;   in Loop: Header=BB99_133 Depth=1
	s_mov_b64 s[42:43], 0
.LBB99_136:                             ;   Parent Loop BB99_133 Depth=1
                                        ; =>  This Inner Loop Header: Depth=2
	global_load_dwordx2 v[4:5], v[8:9], off glc
	s_waitcnt vmcnt(0)
	v_cmp_ne_u16_sdwa s[48:49], v5, v3 src0_sel:BYTE_0 src1_sel:DWORD
	s_or_b64 s[42:43], s[48:49], s[42:43]
	s_andn2_b64 exec, exec, s[42:43]
	s_cbranch_execnz .LBB99_136
; %bb.137:                              ;   in Loop: Header=BB99_133 Depth=1
	s_or_b64 exec, exec, s[42:43]
.LBB99_138:                             ;   in Loop: Header=BB99_133 Depth=1
	s_or_b64 exec, exec, s[40:41]
	v_cmp_eq_u16_sdwa s[40:41], v5, v55 src0_sel:BYTE_0 src1_sel:DWORD
	v_and_b32_e32 v8, s41, v7
	v_and_b32_e32 v57, 0xffffff, v4
	v_or_b32_e32 v8, 0x80000000, v8
	ds_bpermute_b32 v59, v15, v57
	v_and_b32_e32 v9, s40, v6
	v_ffbl_b32_e32 v8, v8
	v_add_u32_e32 v8, 32, v8
	v_ffbl_b32_e32 v9, v9
	v_min_u32_e32 v8, v9, v8
	v_lshrrev_b32_e32 v9, 16, v4
	v_cmp_le_u32_e32 vcc, v16, v8
	v_bfe_u32 v58, v4, 16, 8
	s_and_saveexec_b64 s[40:41], vcc
	s_cbranch_execz .LBB99_140
; %bb.139:                              ;   in Loop: Header=BB99_133 Depth=1
	v_and_b32_e32 v9, 0xff0000, v4
	s_waitcnt lgkmcnt(0)
	v_cmp_gt_f16_e32 vcc, v4, v59
	v_cndmask_b32_e32 v57, v59, v4, vcc
	v_cmp_eq_u32_e32 vcc, 0, v9
	v_and_b32_e32 v9, 0x10000, v9
	v_cndmask_b32_e32 v4, v4, v57, vcc
	v_and_b32_sdwa v57, v59, v56 dst_sel:DWORD dst_unused:UNUSED_PAD src0_sel:WORD_1 src1_sel:DWORD
	v_cmp_ne_u32_e32 vcc, 0, v9
	v_cndmask_b32_e64 v9, v57, 1, vcc
	v_lshlrev_b32_e32 v57, 16, v9
	v_or_b32_sdwa v57, v57, v4 dst_sel:DWORD dst_unused:UNUSED_PAD src0_sel:DWORD src1_sel:WORD_0
	v_mov_b32_e32 v58, v9
.LBB99_140:                             ;   in Loop: Header=BB99_133 Depth=1
	s_or_b64 exec, exec, s[40:41]
	s_waitcnt lgkmcnt(0)
	ds_bpermute_b32 v59, v17, v57
	v_cmp_le_u32_e32 vcc, v18, v8
	s_and_saveexec_b64 s[40:41], vcc
	s_cbranch_execz .LBB99_142
; %bb.141:                              ;   in Loop: Header=BB99_133 Depth=1
	s_waitcnt lgkmcnt(0)
	v_cmp_gt_f16_e32 vcc, v4, v59
	v_cndmask_b32_e32 v9, v59, v4, vcc
	v_cmp_eq_u16_e32 vcc, 0, v58
	v_cndmask_b32_e32 v4, v4, v9, vcc
	v_and_b32_e32 v9, 1, v58
	v_and_b32_sdwa v57, v59, v56 dst_sel:DWORD dst_unused:UNUSED_PAD src0_sel:WORD_1 src1_sel:DWORD
	v_cmp_eq_u32_e32 vcc, 1, v9
	v_cndmask_b32_e64 v9, v57, 1, vcc
	v_lshlrev_b32_e32 v57, 16, v9
	v_or_b32_sdwa v57, v57, v4 dst_sel:DWORD dst_unused:UNUSED_PAD src0_sel:DWORD src1_sel:WORD_0
	v_mov_b32_e32 v58, v9
.LBB99_142:                             ;   in Loop: Header=BB99_133 Depth=1
	s_or_b64 exec, exec, s[40:41]
	s_waitcnt lgkmcnt(0)
	ds_bpermute_b32 v59, v45, v57
	v_cmp_le_u32_e32 vcc, v46, v8
	s_and_saveexec_b64 s[40:41], vcc
	s_cbranch_execz .LBB99_144
; %bb.143:                              ;   in Loop: Header=BB99_133 Depth=1
	s_waitcnt lgkmcnt(0)
	v_cmp_gt_f16_e32 vcc, v4, v59
	v_cndmask_b32_e32 v9, v59, v4, vcc
	v_cmp_eq_u16_e32 vcc, 0, v58
	v_cndmask_b32_e32 v4, v4, v9, vcc
	v_and_b32_e32 v9, 1, v58
	v_and_b32_sdwa v57, v59, v56 dst_sel:DWORD dst_unused:UNUSED_PAD src0_sel:WORD_1 src1_sel:DWORD
	v_cmp_eq_u32_e32 vcc, 1, v9
	v_cndmask_b32_e64 v9, v57, 1, vcc
	v_lshlrev_b32_e32 v57, 16, v9
	v_or_b32_sdwa v57, v57, v4 dst_sel:DWORD dst_unused:UNUSED_PAD src0_sel:DWORD src1_sel:WORD_0
	v_mov_b32_e32 v58, v9
.LBB99_144:                             ;   in Loop: Header=BB99_133 Depth=1
	;; [unrolled: 20-line block ×3, first 2 shown]
	s_or_b64 exec, exec, s[40:41]
	s_waitcnt lgkmcnt(0)
	ds_bpermute_b32 v59, v49, v57
	v_cmp_le_u32_e32 vcc, v50, v8
	s_and_saveexec_b64 s[40:41], vcc
	s_xor_b64 s[40:41], exec, s[40:41]
	s_cbranch_execz .LBB99_148
; %bb.147:                              ;   in Loop: Header=BB99_133 Depth=1
	s_waitcnt lgkmcnt(0)
	v_cmp_gt_f16_e32 vcc, v4, v59
	v_cndmask_b32_e32 v9, v59, v4, vcc
	v_cmp_eq_u16_e32 vcc, 0, v58
	v_cndmask_b32_e32 v4, v4, v9, vcc
	v_and_b32_e32 v9, 1, v58
	v_and_b32_sdwa v57, v59, v56 dst_sel:DWORD dst_unused:UNUSED_PAD src0_sel:WORD_1 src1_sel:DWORD
	v_cmp_eq_u32_e32 vcc, 1, v9
	v_cndmask_b32_e64 v9, v57, 1, vcc
	v_lshlrev_b32_e32 v57, 16, v9
	v_or_b32_sdwa v57, v57, v4 dst_sel:DWORD dst_unused:UNUSED_PAD src0_sel:DWORD src1_sel:WORD_0
                                        ; implicit-def: $vgpr58
.LBB99_148:                             ;   in Loop: Header=BB99_133 Depth=1
	s_or_saveexec_b64 s[40:41], s[40:41]
	s_waitcnt lgkmcnt(0)
	v_mov_b32_e32 v59, v9
	s_xor_b64 exec, exec, s[40:41]
; %bb.149:                              ;   in Loop: Header=BB99_133 Depth=1
	v_mov_b32_e32 v59, v58
; %bb.150:                              ;   in Loop: Header=BB99_133 Depth=1
	s_or_b64 exec, exec, s[40:41]
	ds_bpermute_b32 v57, v53, v57
	v_cmp_le_u32_e32 vcc, v54, v8
	s_and_saveexec_b64 s[40:41], vcc
	s_cbranch_execz .LBB99_131
; %bb.151:                              ;   in Loop: Header=BB99_133 Depth=1
	s_waitcnt lgkmcnt(0)
	v_cmp_gt_f16_e32 vcc, v4, v57
	v_and_b32_e32 v9, 1, v59
	v_cndmask_b32_e32 v8, v57, v4, vcc
	v_lshrrev_b32_e32 v57, 16, v57
	v_cmp_eq_u32_e32 vcc, 1, v9
	v_cndmask_b32_e64 v9, v57, 1, vcc
	v_cmp_eq_u16_sdwa vcc, v59, v3 src0_sel:BYTE_0 src1_sel:DWORD
	v_cndmask_b32_e32 v4, v4, v8, vcc
	s_branch .LBB99_131
.LBB99_152:
	s_or_b64 exec, exec, s[40:41]
                                        ; implicit-def: $vgpr20
	s_and_saveexec_b64 s[2:3], s[34:35]
	s_cbranch_execz .LBB99_33
.LBB99_153:
	global_load_ushort v20, v[1:2], off offset:512
	s_or_b64 exec, exec, s[2:3]
                                        ; implicit-def: $vgpr21
	s_and_saveexec_b64 s[2:3], s[8:9]
	s_cbranch_execnz .LBB99_34
.LBB99_154:
	s_or_b64 exec, exec, s[2:3]
                                        ; implicit-def: $vgpr22
	s_and_saveexec_b64 s[2:3], s[10:11]
	s_cbranch_execz .LBB99_35
.LBB99_155:
	global_load_ushort v22, v[1:2], off offset:1536
	s_or_b64 exec, exec, s[2:3]
                                        ; implicit-def: $vgpr23
	s_and_saveexec_b64 s[2:3], s[12:13]
	s_cbranch_execnz .LBB99_36
.LBB99_156:
	s_or_b64 exec, exec, s[2:3]
                                        ; implicit-def: $vgpr24
	s_and_saveexec_b64 s[2:3], s[14:15]
	s_cbranch_execz .LBB99_37
.LBB99_157:
	global_load_ushort v24, v[1:2], off offset:2560
	s_or_b64 exec, exec, s[2:3]
                                        ; implicit-def: $vgpr25
	s_and_saveexec_b64 s[2:3], s[16:17]
	s_cbranch_execnz .LBB99_38
.LBB99_158:
	s_or_b64 exec, exec, s[2:3]
                                        ; implicit-def: $vgpr26
	s_and_saveexec_b64 s[2:3], s[18:19]
	s_cbranch_execz .LBB99_39
.LBB99_159:
	global_load_ushort v26, v[1:2], off offset:3584
	s_or_b64 exec, exec, s[2:3]
                                        ; implicit-def: $vgpr27
	s_and_saveexec_b64 s[2:3], s[20:21]
	s_cbranch_execnz .LBB99_40
.LBB99_160:
	s_or_b64 exec, exec, s[2:3]
                                        ; implicit-def: $vgpr28
	s_and_saveexec_b64 s[2:3], s[22:23]
	s_cbranch_execz .LBB99_41
.LBB99_161:
	v_add_co_u32_e32 v28, vcc, 0x1000, v1
	v_addc_co_u32_e32 v29, vcc, 0, v2, vcc
	global_load_ushort v28, v[28:29], off offset:512
	s_or_b64 exec, exec, s[2:3]
                                        ; implicit-def: $vgpr29
	s_and_saveexec_b64 s[2:3], s[24:25]
	s_cbranch_execnz .LBB99_42
.LBB99_162:
	s_or_b64 exec, exec, s[2:3]
                                        ; implicit-def: $vgpr30
	s_and_saveexec_b64 s[2:3], s[26:27]
	s_cbranch_execz .LBB99_43
.LBB99_163:
	v_add_co_u32_e32 v30, vcc, 0x1000, v1
	v_addc_co_u32_e32 v31, vcc, 0, v2, vcc
	global_load_ushort v30, v[30:31], off offset:1536
	s_or_b64 exec, exec, s[2:3]
                                        ; implicit-def: $vgpr31
	s_and_saveexec_b64 s[2:3], s[28:29]
	s_cbranch_execz .LBB99_45
	s_branch .LBB99_44
.LBB99_164:
                                        ; implicit-def: $vgpr18
                                        ; implicit-def: $vgpr17
                                        ; implicit-def: $vgpr4
                                        ; implicit-def: $vgpr16
                                        ; implicit-def: $vgpr15
                                        ; implicit-def: $vgpr3
                                        ; implicit-def: $vgpr14
                                        ; implicit-def: $vgpr12
                                        ; implicit-def: $vgpr5
                                        ; implicit-def: $vgpr13
                                        ; implicit-def: $vgpr9
                                        ; implicit-def: $vgpr6
                                        ; implicit-def: $vgpr8
                                        ; implicit-def: $vgpr7
	s_cbranch_execnz .LBB99_170
	s_branch .LBB99_199
.LBB99_165:
	s_and_saveexec_b64 s[40:41], s[28:29]
	s_cbranch_execz .LBB99_167
; %bb.166:
	v_and_b32_e32 v2, 0xff0000, v1
	v_cmp_lt_f16_e32 vcc, v52, v1
	v_cndmask_b32_e32 v3, v52, v1, vcc
	v_cmp_eq_u32_e32 vcc, 0, v2
	s_mov_b32 s43, 0
	v_cndmask_b32_e32 v2, v1, v3, vcc
	v_and_b32_e32 v1, 0x10000, v1
	v_mov_b32_e32 v3, 1
	s_add_i32 s42, s6, 64
	v_and_b32_sdwa v3, v51, v3 dst_sel:WORD_1 dst_unused:UNUSED_PAD src0_sel:DWORD src1_sel:DWORD
	v_mov_b32_e32 v4, 0x10000
	v_cmp_eq_u32_e32 vcc, 0, v1
	s_lshl_b64 s[42:43], s[42:43], 3
	v_cndmask_b32_e32 v1, v4, v3, vcc
	s_add_u32 s42, s36, s42
	s_addc_u32 s43, s37, s43
	v_mov_b32_e32 v3, 0
	v_or_b32_sdwa v1, v1, v2 dst_sel:DWORD dst_unused:UNUSED_PAD src0_sel:DWORD src1_sel:WORD_0
	v_mov_b32_e32 v2, 2
	global_store_dwordx2 v3, v[1:2], s[42:43]
.LBB99_167:
	s_or_b64 exec, exec, s[40:41]
	v_cmp_eq_u32_e32 vcc, 0, v0
	s_and_b64 exec, exec, vcc
	s_cbranch_execz .LBB99_169
; %bb.168:
	v_mov_b32_e32 v1, 0
	ds_write_b16 v1, v52 offset:12
	ds_write_b8 v1, v51 offset:14
.LBB99_169:
	s_or_b64 exec, exec, s[34:35]
	v_mov_b32_e32 v1, 0
	s_waitcnt vmcnt(0) lgkmcnt(0)
	s_barrier
	ds_read_u16 v2, v1 offset:12
	s_mov_b64 vcc, s[28:29]
	v_cndmask_b32_e64 v4, v14, v12, s[28:29]
	v_cndmask_b32_sdwa v3, v14, v13, vcc dst_sel:DWORD dst_unused:UNUSED_PAD src0_sel:WORD_1 src1_sel:DWORD
	s_waitcnt lgkmcnt(0)
	v_cmp_lt_f16_e32 vcc, v2, v4
	v_cndmask_b32_e32 v5, v2, v4, vcc
	v_cmp_eq_u16_sdwa vcc, v3, v1 src0_sel:BYTE_0 src1_sel:DWORD
	v_cndmask_b32_e32 v3, v4, v5, vcc
	v_cmp_eq_u32_e32 vcc, 0, v0
	v_cndmask_b32_e32 v4, v3, v2, vcc
	v_cmp_lt_f16_e32 vcc, v4, v40
	v_cndmask_b32_e32 v2, v4, v40, vcc
	v_cmp_eq_u16_sdwa vcc, v36, v1 src0_sel:BYTE_0 src1_sel:DWORD
	v_cndmask_b32_e32 v3, v40, v2, vcc
	v_cmp_lt_f16_e32 vcc, v3, v38
	v_cndmask_b32_e32 v1, v3, v38, vcc
	v_cndmask_b32_e64 v5, v38, v1, s[2:3]
	v_cmp_lt_f16_e32 vcc, v5, v35
	v_cndmask_b32_e32 v1, v5, v35, vcc
	v_cndmask_b32_e64 v6, v35, v1, s[30:31]
	;; [unrolled: 3-line block ×12, first 2 shown]
	s_branch .LBB99_199
.LBB99_170:
	s_cmp_eq_u64 s[46:47], 0
	v_mov_b32_e32 v1, s7
	s_cbranch_scc1 .LBB99_172
; %bb.171:
	v_mov_b32_e32 v1, 0
	global_load_ushort v1, v1, s[46:47]
.LBB99_172:
	v_mov_b32_e32 v2, 0
	v_cmp_eq_u16_sdwa vcc, v44, v2 src0_sel:BYTE_0 src1_sel:DWORD
	v_cmp_ne_u16_sdwa s[2:3], v44, v2 src0_sel:BYTE_0 src1_sel:DWORD
                                        ; implicit-def: $vgpr2
	s_and_saveexec_b64 s[6:7], s[2:3]
	s_xor_b64 s[2:3], exec, s[6:7]
; %bb.173:
	v_mov_b32_e32 v2, v38
; %bb.174:
	s_andn2_saveexec_b64 s[6:7], s[2:3]
; %bb.175:
	v_cmp_lt_f16_e64 s[2:3], v40, v38
	v_cndmask_b32_e64 v2, v40, v38, s[2:3]
; %bb.176:
	s_or_b64 exec, exec, s[6:7]
	v_mov_b32_e32 v3, 0
	v_cmp_lt_f16_e64 s[2:3], v2, v35
	v_cndmask_b32_e64 v2, v2, v35, s[2:3]
	v_cmp_eq_u16_sdwa s[2:3], v43, v3 src0_sel:BYTE_0 src1_sel:DWORD
	v_cndmask_b32_e64 v2, v35, v2, s[2:3]
	v_cmp_lt_f16_e64 s[6:7], v2, v33
	v_cndmask_b32_e64 v2, v2, v33, s[6:7]
	v_cmp_eq_u16_sdwa s[8:9], v42, v3 src0_sel:BYTE_0 src1_sel:DWORD
	v_cndmask_b32_e64 v2, v33, v2, s[8:9]
	;; [unrolled: 4-line block ×8, first 2 shown]
	v_or_b32_e32 v4, v39, v41
	v_cmp_lt_f16_e64 s[6:7], v2, v21
	v_or_b32_e32 v4, v4, v37
	v_cndmask_b32_e64 v2, v2, v21, s[6:7]
	v_cmp_eq_u16_sdwa s[22:23], v29, v3 src0_sel:BYTE_0 src1_sel:DWORD
	v_or_b32_e32 v4, v4, v42
	v_cndmask_b32_e64 v2, v21, v2, s[22:23]
	v_or_b32_e32 v4, v4, v34
	v_cmp_lt_f16_e64 s[6:7], v2, v20
	v_or_b32_e32 v4, v4, v32
	v_or_b32_e32 v5, v29, v30
	v_cndmask_b32_e64 v2, v2, v20, s[6:7]
	v_cmp_eq_u16_sdwa s[24:25], v27, v3 src0_sel:BYTE_0 src1_sel:DWORD
	v_or_b32_e32 v4, v4, v43
	v_cndmask_b32_e64 v2, v20, v2, s[24:25]
	v_or_b32_e32 v5, v5, v27
	v_or_b32_e32 v4, v4, v44
	v_cmp_lt_f16_e64 s[6:7], v2, v19
	v_or_b32_e32 v5, v5, v25
	v_cndmask_b32_e64 v2, v2, v19, s[6:7]
	v_cmp_eq_u16_sdwa s[6:7], v25, v3 src0_sel:BYTE_0 src1_sel:DWORD
	v_or_b32_e32 v4, v5, v4
	v_cndmask_b32_e64 v2, v19, v2, s[6:7]
	v_cmp_eq_u16_sdwa s[26:27], v4, v3 src0_sel:BYTE_0 src1_sel:DWORD
	v_cndmask_b32_e64 v4, 1, v36, s[26:27]
	v_cmp_lt_f16_e64 s[26:27], v2, v11
	v_cndmask_b32_e64 v2, v2, v11, s[26:27]
	v_cmp_eq_u16_e64 s[26:27], 0, v10
	v_cndmask_b32_e64 v3, v11, v2, s[26:27]
	v_and_b32_e32 v2, 1, v10
	v_cmp_eq_u32_e64 s[26:27], 1, v2
	v_cndmask_b32_e64 v4, v4, 1, s[26:27]
	v_mbcnt_lo_u32_b32 v2, -1, 0
	v_mbcnt_hi_u32_b32 v2, -1, v2
	v_and_b32_e32 v8, 0xff, v4
	v_and_b32_e32 v5, 0xffff, v3
	;; [unrolled: 1-line block ×3, first 2 shown]
	v_lshl_or_b32 v5, v8, 16, v5
	v_cmp_ne_u32_e64 s[26:27], 0, v7
	s_nop 0
	v_mov_b32_dpp v6, v5 row_shr:1 row_mask:0xf bank_mask:0xf
	s_and_saveexec_b64 s[28:29], s[26:27]
	s_xor_b64 s[28:29], exec, s[28:29]
	s_cbranch_execz .LBB99_178
; %bb.177:
	v_cmp_gt_f16_e64 s[26:27], v3, v6
	v_cndmask_b32_e64 v5, v6, v3, s[26:27]
	v_cmp_eq_u16_e64 s[26:27], 0, v8
	v_cndmask_b32_e64 v3, v3, v5, s[26:27]
	v_and_b32_e32 v4, 1, v4
	v_mov_b32_e32 v5, 1
	v_and_b32_sdwa v5, v6, v5 dst_sel:DWORD dst_unused:UNUSED_PAD src0_sel:WORD_1 src1_sel:DWORD
	v_cmp_eq_u32_e64 s[26:27], 1, v4
	v_cndmask_b32_e64 v4, v5, 1, s[26:27]
	v_lshlrev_b32_e32 v5, 16, v4
	v_or_b32_sdwa v5, v5, v3 dst_sel:DWORD dst_unused:UNUSED_PAD src0_sel:DWORD src1_sel:WORD_0
.LBB99_178:
	s_or_b64 exec, exec, s[28:29]
	v_lshrrev_b32_e32 v6, 16, v5
	v_mov_b32_dpp v8, v5 row_shr:2 row_mask:0xf bank_mask:0xf
	v_cmp_lt_u32_e64 s[26:27], 1, v7
	s_and_saveexec_b64 s[28:29], s[26:27]
	s_cbranch_execz .LBB99_180
; %bb.179:
	s_mov_b32 s30, 0x10000
	v_cmp_gt_f16_e64 s[26:27], v3, v8
	v_cndmask_b32_e64 v4, v8, v3, s[26:27]
	v_cmp_gt_u32_e64 s[26:27], s30, v5
	v_cndmask_b32_e64 v3, v3, v4, s[26:27]
	v_and_b32_e32 v4, 0x10000, v5
	v_mov_b32_e32 v5, 1
	v_and_b32_sdwa v5, v8, v5 dst_sel:DWORD dst_unused:UNUSED_PAD src0_sel:WORD_1 src1_sel:DWORD
	v_cmp_ne_u32_e64 s[26:27], 0, v4
	v_cndmask_b32_e64 v4, v5, 1, s[26:27]
	v_lshlrev_b32_e32 v5, 16, v4
	v_or_b32_sdwa v5, v5, v3 dst_sel:DWORD dst_unused:UNUSED_PAD src0_sel:DWORD src1_sel:WORD_0
	v_mov_b32_e32 v6, v4
.LBB99_180:
	s_or_b64 exec, exec, s[28:29]
	v_mov_b32_dpp v8, v5 row_shr:4 row_mask:0xf bank_mask:0xf
	v_cmp_lt_u32_e64 s[26:27], 3, v7
	s_and_saveexec_b64 s[28:29], s[26:27]
	s_cbranch_execz .LBB99_182
; %bb.181:
	v_cmp_gt_f16_e64 s[26:27], v3, v8
	v_cndmask_b32_e64 v4, v8, v3, s[26:27]
	v_cmp_eq_u16_e64 s[26:27], 0, v6
	v_cndmask_b32_e64 v3, v3, v4, s[26:27]
	v_and_b32_e32 v4, 1, v6
	v_mov_b32_e32 v5, 1
	v_and_b32_sdwa v5, v8, v5 dst_sel:DWORD dst_unused:UNUSED_PAD src0_sel:WORD_1 src1_sel:DWORD
	v_cmp_eq_u32_e64 s[26:27], 1, v4
	v_cndmask_b32_e64 v4, v5, 1, s[26:27]
	v_lshlrev_b32_e32 v5, 16, v4
	v_or_b32_sdwa v5, v5, v3 dst_sel:DWORD dst_unused:UNUSED_PAD src0_sel:DWORD src1_sel:WORD_0
	v_mov_b32_e32 v6, v4
.LBB99_182:
	s_or_b64 exec, exec, s[28:29]
	v_mov_b32_dpp v8, v5 row_shr:8 row_mask:0xf bank_mask:0xf
	v_cmp_lt_u32_e64 s[26:27], 7, v7
	s_and_saveexec_b64 s[28:29], s[26:27]
	s_cbranch_execz .LBB99_184
; %bb.183:
	v_cmp_gt_f16_e64 s[26:27], v3, v8
	v_cndmask_b32_e64 v4, v8, v3, s[26:27]
	v_cmp_eq_u16_e64 s[26:27], 0, v6
	v_cndmask_b32_e64 v3, v3, v4, s[26:27]
	v_and_b32_e32 v4, 1, v6
	v_mov_b32_e32 v5, 1
	v_and_b32_sdwa v5, v8, v5 dst_sel:DWORD dst_unused:UNUSED_PAD src0_sel:WORD_1 src1_sel:DWORD
	v_cmp_eq_u32_e64 s[26:27], 1, v4
	v_cndmask_b32_e64 v4, v5, 1, s[26:27]
	v_lshlrev_b32_e32 v5, 16, v4
	v_or_b32_sdwa v5, v5, v3 dst_sel:DWORD dst_unused:UNUSED_PAD src0_sel:DWORD src1_sel:WORD_0
	v_mov_b32_e32 v6, v4
.LBB99_184:
	s_or_b64 exec, exec, s[28:29]
	v_and_b32_e32 v8, 16, v2
	v_mov_b32_dpp v7, v5 row_bcast:15 row_mask:0xf bank_mask:0xf
	v_cmp_ne_u32_e64 s[26:27], 0, v8
	s_and_saveexec_b64 s[28:29], s[26:27]
	s_cbranch_execz .LBB99_186
; %bb.185:
	v_cmp_gt_f16_e64 s[26:27], v3, v7
	v_cndmask_b32_e64 v4, v7, v3, s[26:27]
	v_cmp_eq_u16_e64 s[26:27], 0, v6
	v_cndmask_b32_e64 v3, v3, v4, s[26:27]
	v_and_b32_e32 v4, 1, v6
	v_mov_b32_e32 v5, 1
	v_and_b32_sdwa v5, v7, v5 dst_sel:DWORD dst_unused:UNUSED_PAD src0_sel:WORD_1 src1_sel:DWORD
	v_cmp_eq_u32_e64 s[26:27], 1, v4
	v_cndmask_b32_e64 v4, v5, 1, s[26:27]
	v_lshlrev_b32_e32 v5, 16, v4
	v_or_b32_sdwa v5, v5, v3 dst_sel:DWORD dst_unused:UNUSED_PAD src0_sel:DWORD src1_sel:WORD_0
	v_mov_b32_e32 v6, v4
.LBB99_186:
	s_or_b64 exec, exec, s[28:29]
	v_mov_b32_dpp v5, v5 row_bcast:31 row_mask:0xf bank_mask:0xf
	v_cmp_lt_u32_e64 s[26:27], 31, v2
	s_and_saveexec_b64 s[28:29], s[26:27]
; %bb.187:
	v_and_b32_e32 v4, 1, v6
	v_mov_b32_e32 v7, 1
	v_and_b32_sdwa v7, v5, v7 dst_sel:DWORD dst_unused:UNUSED_PAD src0_sel:WORD_1 src1_sel:DWORD
	v_cmp_eq_u32_e64 s[26:27], 1, v4
	v_cndmask_b32_e64 v4, v7, 1, s[26:27]
	v_cmp_gt_f16_e64 s[26:27], v3, v5
	v_cndmask_b32_e64 v5, v5, v3, s[26:27]
	v_cmp_eq_u16_e64 s[26:27], 0, v6
	v_cndmask_b32_e64 v3, v3, v5, s[26:27]
; %bb.188:
	s_or_b64 exec, exec, s[28:29]
	v_lshrrev_b32_e32 v5, 6, v0
	v_or_b32_e32 v6, 63, v0
	v_cmp_eq_u32_e64 s[26:27], v0, v6
	v_lshlrev_b32_e32 v5, 2, v5
	s_and_saveexec_b64 s[28:29], s[26:27]
	s_cbranch_execz .LBB99_190
; %bb.189:
	ds_write_b16 v5, v3
	ds_write_b8 v5, v4 offset:2
.LBB99_190:
	s_or_b64 exec, exec, s[28:29]
	v_cmp_gt_u32_e64 s[26:27], 4, v0
	s_waitcnt vmcnt(0) lgkmcnt(0)
	s_barrier
	s_and_saveexec_b64 s[30:31], s[26:27]
	s_cbranch_execz .LBB99_194
; %bb.191:
	v_lshlrev_b32_e32 v6, 2, v0
	ds_read_b32 v10, v6
	v_and_b32_e32 v7, 3, v2
	v_cmp_ne_u32_e64 s[26:27], 0, v7
	s_waitcnt lgkmcnt(0)
	v_lshrrev_b32_e32 v9, 16, v10
	v_mov_b32_dpp v11, v10 row_shr:1 row_mask:0xf bank_mask:0xf
	v_mov_b32_e32 v8, v10
	s_and_saveexec_b64 s[28:29], s[26:27]
	s_cbranch_execz .LBB99_193
; %bb.192:
	v_mov_b32_e32 v8, 0
	v_cmp_gt_f16_e64 s[26:27], v10, v11
	v_cndmask_b32_e64 v12, v11, v10, s[26:27]
	v_cmp_eq_u16_sdwa s[26:27], v9, v8 src0_sel:BYTE_0 src1_sel:DWORD
	v_cndmask_b32_e64 v8, v10, v12, s[26:27]
	v_and_b32_e32 v12, 0xff000000, v10
	v_and_b32_e32 v9, 0x10000, v10
	v_mov_b32_e32 v10, 1
	v_and_b32_sdwa v10, v11, v10 dst_sel:DWORD dst_unused:UNUSED_PAD src0_sel:WORD_1 src1_sel:DWORD
	v_cmp_ne_u32_e64 s[26:27], 0, v9
	v_cndmask_b32_e64 v9, v10, 1, s[26:27]
	v_lshlrev_b32_e32 v10, 16, v9
	v_and_b32_e32 v11, 0xffff, v8
	v_or3_b32 v10, v10, v12, v11
.LBB99_193:
	s_or_b64 exec, exec, s[28:29]
	s_nop 0
	v_mov_b32_dpp v11, v10 row_shr:2 row_mask:0xf bank_mask:0xf
	v_and_b32_e32 v12, 0xff0000, v10
	v_cmp_gt_f16_e64 s[28:29], v8, v11
	v_and_b32_e32 v10, 0x10000, v10
	v_mov_b32_e32 v13, 1
	v_cmp_eq_u32_e64 s[26:27], 0, v12
	v_cndmask_b32_e64 v12, v11, v8, s[28:29]
	v_and_b32_sdwa v11, v11, v13 dst_sel:DWORD dst_unused:UNUSED_PAD src0_sel:WORD_1 src1_sel:DWORD
	v_cmp_eq_u32_e64 s[28:29], 0, v10
	v_cndmask_b32_e64 v10, 1, v11, s[28:29]
	v_cmp_lt_u32_e64 s[28:29], 1, v7
	s_and_b64 s[26:27], s[28:29], s[26:27]
	v_cndmask_b32_e64 v8, v8, v12, s[26:27]
	v_cndmask_b32_e64 v7, v9, v10, s[28:29]
	ds_write_b16 v6, v8
	ds_write_b8 v6, v7 offset:2
.LBB99_194:
	s_or_b64 exec, exec, s[30:31]
	v_cmp_lt_u32_e64 s[26:27], 63, v0
	v_mov_b32_e32 v6, 0
	v_mov_b32_e32 v8, 0
	;; [unrolled: 1-line block ×3, first 2 shown]
	s_waitcnt lgkmcnt(0)
	s_barrier
	s_and_saveexec_b64 s[28:29], s[26:27]
	s_cbranch_execz .LBB99_196
; %bb.195:
	v_add_u32_e32 v7, -4, v5
	ds_read_u16 v7, v7
	v_add_u32_e32 v5, -2, v5
	ds_read_u8 v5, v5
	s_waitcnt lgkmcnt(1)
	v_cmp_gt_f16_e64 s[26:27], v7, v1
	v_cndmask_b32_e64 v8, v1, v7, s[26:27]
	s_waitcnt lgkmcnt(0)
	v_cmp_eq_u32_e64 s[26:27], 0, v5
	v_cndmask_b32_e64 v7, v7, v8, s[26:27]
	v_lshlrev_b32_e32 v8, 16, v5
.LBB99_196:
	s_or_b64 exec, exec, s[28:29]
	v_cmp_lt_f16_e64 s[26:27], v7, v3
	v_cndmask_b32_e64 v5, v7, v3, s[26:27]
	v_cmp_eq_u16_sdwa s[26:27], v4, v6 src0_sel:BYTE_0 src1_sel:DWORD
	v_and_b32_e32 v4, 1, v4
	v_cndmask_b32_e64 v3, v3, v5, s[26:27]
	v_mov_b32_e32 v5, 0x10000
	v_cmp_eq_u32_e64 s[26:27], 1, v4
	v_cndmask_b32_e64 v4, v8, v5, s[26:27]
	v_or_b32_sdwa v3, v4, v3 dst_sel:DWORD dst_unused:UNUSED_PAD src0_sel:DWORD src1_sel:WORD_0
	v_subrev_co_u32_e64 v4, s[26:27], 1, v2
	v_and_b32_e32 v5, 64, v2
	v_cmp_lt_i32_e64 s[28:29], v4, v5
	v_cndmask_b32_e64 v2, v4, v2, s[28:29]
	v_lshlrev_b32_e32 v2, 2, v2
	ds_bpermute_b32 v2, v2, v3
	s_waitcnt lgkmcnt(0)
	v_cndmask_b32_e64 v4, v2, v7, s[26:27]
	v_cmp_eq_u32_e64 s[26:27], 0, v0
	v_cndmask_b32_e64 v2, v4, v1, s[26:27]
	v_cmp_lt_f16_e64 s[28:29], v2, v40
	v_cndmask_b32_e64 v2, v2, v40, s[28:29]
	v_cmp_eq_u16_sdwa s[28:29], v36, v6 src0_sel:BYTE_0 src1_sel:DWORD
	v_cndmask_b32_e64 v3, v40, v2, s[28:29]
	v_cmp_lt_f16_e64 s[28:29], v3, v38
	v_cndmask_b32_e64 v2, v3, v38, s[28:29]
	v_cndmask_b32_e32 v5, v38, v2, vcc
	v_cmp_lt_f16_e32 vcc, v5, v35
	v_cndmask_b32_e32 v2, v5, v35, vcc
	v_cndmask_b32_e64 v6, v35, v2, s[2:3]
	v_cmp_lt_f16_e32 vcc, v6, v33
	v_cndmask_b32_e32 v2, v6, v33, vcc
	v_cndmask_b32_e64 v7, v33, v2, s[8:9]
	;; [unrolled: 3-line block ×10, first 2 shown]
	v_cmp_lt_f16_e32 vcc, v17, v19
	v_cndmask_b32_e32 v2, v17, v19, vcc
	s_and_saveexec_b64 s[2:3], s[26:27]
	s_cbranch_execz .LBB99_198
; %bb.197:
	v_mov_b32_e32 v4, 0
	ds_read_u8 v10, v4 offset:14
	ds_read_u16 v11, v4 offset:12
	s_waitcnt lgkmcnt(1)
	v_lshlrev_b32_e32 v18, 16, v10
	s_waitcnt lgkmcnt(0)
	v_cmp_lt_f16_e32 vcc, v1, v11
	v_cndmask_b32_e32 v20, v1, v11, vcc
	v_cmp_eq_u32_e32 vcc, 0, v10
	v_cndmask_b32_e32 v10, v11, v20, vcc
	v_or_b32_sdwa v10, v18, v10 dst_sel:DWORD dst_unused:UNUSED_PAD src0_sel:DWORD src1_sel:WORD_0
	v_mov_b32_e32 v11, 2
	global_store_dwordx2 v4, v[10:11], s[36:37] offset:512
	v_mov_b32_e32 v4, v1
.LBB99_198:
	s_or_b64 exec, exec, s[2:3]
	v_cndmask_b32_e64 v18, v19, v2, s[6:7]
.LBB99_199:
	s_load_dwordx2 s[2:3], s[4:5], 0x18
	s_waitcnt lgkmcnt(0)
	s_add_u32 s2, s2, s44
	s_addc_u32 s3, s3, s45
	s_and_b64 vcc, exec, s[0:1]
	s_cbranch_vccz .LBB99_249
; %bb.200:
	s_add_i32 s33, s33, s38
	v_mul_u32_u24_e32 v1, 14, v0
	v_cmp_gt_u32_e32 vcc, s33, v1
	s_and_saveexec_b64 s[0:1], vcc
	s_cbranch_execz .LBB99_222
; %bb.201:
	v_or_b32_e32 v2, 1, v1
	v_cmp_gt_u32_e32 vcc, s33, v2
	s_and_saveexec_b64 s[4:5], vcc
	s_cbranch_execz .LBB99_221
; %bb.202:
	v_add_u32_e32 v2, 2, v1
	v_cmp_gt_u32_e32 vcc, s33, v2
	s_and_saveexec_b64 s[6:7], vcc
	s_cbranch_execz .LBB99_220
; %bb.203:
	v_add_u32_e32 v2, 3, v1
	;; [unrolled: 5-line block ×9, first 2 shown]
	v_cmp_gt_u32_e32 vcc, s33, v2
	s_and_saveexec_b64 s[22:23], vcc
; %bb.211:
	v_add_u32_e32 v2, 11, v1
	v_cmp_gt_u32_e32 vcc, s33, v2
	s_and_saveexec_b64 s[24:25], vcc
	s_or_b64 exec, exec, s[24:25]
; %bb.212:
	s_or_b64 exec, exec, s[22:23]
.LBB99_213:
	s_or_b64 exec, exec, s[20:21]
.LBB99_214:
	s_or_b64 exec, exec, s[18:19]
.LBB99_215:
	s_or_b64 exec, exec, s[16:17]
.LBB99_216:
	s_or_b64 exec, exec, s[14:15]
.LBB99_217:
	s_or_b64 exec, exec, s[12:13]
.LBB99_218:
	s_or_b64 exec, exec, s[10:11]
.LBB99_219:
	s_or_b64 exec, exec, s[8:9]
.LBB99_220:
	s_or_b64 exec, exec, s[6:7]
.LBB99_221:
	s_or_b64 exec, exec, s[4:5]
.LBB99_222:
	s_or_b64 exec, exec, s[0:1]
	s_mov_b32 s0, 0x5040100
	v_lshlrev_b32_e32 v29, 1, v1
	v_perm_b32 v1, v6, v5, s0
	v_perm_b32 v2, v3, v4, s0
	s_waitcnt vmcnt(0)
	s_barrier
	ds_write2_b32 v29, v2, v1 offset1:1
	v_perm_b32 v1, v13, v9, s0
	v_perm_b32 v2, v8, v7, s0
	ds_write2_b32 v29, v2, v1 offset0:2 offset1:3
	v_perm_b32 v1, v16, v15, s0
	v_perm_b32 v2, v14, v12, s0
	ds_write2_b32 v29, v2, v1 offset0:4 offset1:5
	v_perm_b32 v1, v18, v17, s0
	s_movk_i32 s0, 0xffe6
	ds_write_b32 v29, v1 offset:24
	v_mad_i32_i24 v1, v0, s0, v29
	s_waitcnt lgkmcnt(0)
	s_barrier
	ds_read_u16 v30, v1 offset:512
	ds_read_u16 v28, v1 offset:1024
	;; [unrolled: 1-line block ×13, first 2 shown]
	v_lshlrev_b32_e32 v1, 1, v0
	v_mov_b32_e32 v2, s3
	v_add_co_u32_e32 v1, vcc, s2, v1
	v_addc_co_u32_e32 v2, vcc, 0, v2, vcc
	v_cmp_gt_u32_e32 vcc, s33, v0
	s_and_saveexec_b64 s[0:1], vcc
	s_cbranch_execz .LBB99_224
; %bb.223:
	v_mul_i32_i24_e32 v31, 0xffffffe6, v0
	v_add_u32_e32 v29, v29, v31
	ds_read_u16 v29, v29
	s_waitcnt lgkmcnt(0)
	global_store_short v[1:2], v29, off
.LBB99_224:
	s_or_b64 exec, exec, s[0:1]
	v_or_b32_e32 v29, 0x100, v0
	v_cmp_gt_u32_e32 vcc, s33, v29
	s_and_saveexec_b64 s[0:1], vcc
	s_cbranch_execz .LBB99_226
; %bb.225:
	s_waitcnt lgkmcnt(12)
	global_store_short v[1:2], v30, off offset:512
.LBB99_226:
	s_or_b64 exec, exec, s[0:1]
	v_or_b32_e32 v29, 0x200, v0
	v_cmp_gt_u32_e32 vcc, s33, v29
	s_and_saveexec_b64 s[0:1], vcc
	s_cbranch_execz .LBB99_228
; %bb.227:
	s_waitcnt lgkmcnt(11)
	global_store_short v[1:2], v28, off offset:1024
.LBB99_228:
	s_or_b64 exec, exec, s[0:1]
	s_waitcnt lgkmcnt(11)
	v_or_b32_e32 v28, 0x300, v0
	v_cmp_gt_u32_e32 vcc, s33, v28
	s_and_saveexec_b64 s[0:1], vcc
	s_cbranch_execz .LBB99_230
; %bb.229:
	s_waitcnt lgkmcnt(10)
	global_store_short v[1:2], v27, off offset:1536
.LBB99_230:
	s_or_b64 exec, exec, s[0:1]
	s_waitcnt lgkmcnt(10)
	;; [unrolled: 10-line block ×6, first 2 shown]
	v_or_b32_e32 v23, 0x800, v0
	v_cmp_gt_u32_e32 vcc, s33, v23
	s_and_saveexec_b64 s[0:1], vcc
	s_cbranch_execz .LBB99_240
; %bb.239:
	v_add_co_u32_e32 v23, vcc, 0x1000, v1
	v_addc_co_u32_e32 v24, vcc, 0, v2, vcc
	s_waitcnt lgkmcnt(5)
	global_store_short v[23:24], v22, off
.LBB99_240:
	s_or_b64 exec, exec, s[0:1]
	s_waitcnt lgkmcnt(5)
	v_or_b32_e32 v22, 0x900, v0
	v_cmp_gt_u32_e32 vcc, s33, v22
	s_and_saveexec_b64 s[0:1], vcc
	s_cbranch_execz .LBB99_242
; %bb.241:
	v_add_co_u32_e32 v22, vcc, 0x1000, v1
	v_addc_co_u32_e32 v23, vcc, 0, v2, vcc
	s_waitcnt lgkmcnt(4)
	global_store_short v[22:23], v21, off offset:512
.LBB99_242:
	s_or_b64 exec, exec, s[0:1]
	s_waitcnt lgkmcnt(4)
	v_or_b32_e32 v21, 0xa00, v0
	v_cmp_gt_u32_e32 vcc, s33, v21
	s_and_saveexec_b64 s[0:1], vcc
	s_cbranch_execz .LBB99_244
; %bb.243:
	v_add_co_u32_e32 v21, vcc, 0x1000, v1
	v_addc_co_u32_e32 v22, vcc, 0, v2, vcc
	s_waitcnt lgkmcnt(3)
	global_store_short v[21:22], v20, off offset:1024
.LBB99_244:
	;; [unrolled: 12-line block ×4, first 2 shown]
	s_or_b64 exec, exec, s[0:1]
	v_or_b32_e32 v1, 0xd00, v0
	v_cmp_gt_u32_e64 s[0:1], s33, v1
	s_branch .LBB99_251
.LBB99_249:
	s_mov_b64 s[0:1], 0
                                        ; implicit-def: $vgpr10
	s_cbranch_execz .LBB99_251
; %bb.250:
	s_mov_b32 s4, 0x5040100
	v_mul_u32_u24_e32 v1, 28, v0
	v_perm_b32 v2, v6, v5, s4
	v_perm_b32 v3, v3, v4, s4
	s_waitcnt vmcnt(0) lgkmcnt(0)
	s_barrier
	ds_write2_b32 v1, v3, v2 offset1:1
	v_perm_b32 v2, v13, v9, s4
	v_perm_b32 v3, v8, v7, s4
	ds_write2_b32 v1, v3, v2 offset0:2 offset1:3
	v_perm_b32 v2, v16, v15, s4
	v_perm_b32 v3, v14, v12, s4
	ds_write2_b32 v1, v3, v2 offset0:4 offset1:5
	v_perm_b32 v2, v18, v17, s4
	ds_write_b32 v1, v2 offset:24
	v_mul_i32_i24_e32 v1, 0xffffffe6, v0
	v_mad_u32_u24 v1, v0, 28, v1
	s_waitcnt lgkmcnt(0)
	s_barrier
	ds_read_u16 v2, v1
	ds_read_u16 v3, v1 offset:512
	ds_read_u16 v4, v1 offset:1024
	;; [unrolled: 1-line block ×13, first 2 shown]
	v_lshlrev_b32_e32 v1, 1, v0
	v_mov_b32_e32 v16, s3
	v_add_co_u32_e32 v17, vcc, s2, v1
	v_addc_co_u32_e32 v16, vcc, 0, v16, vcc
	s_waitcnt lgkmcnt(13)
	global_store_short v1, v2, s[2:3]
	s_waitcnt lgkmcnt(12)
	global_store_short v1, v3, s[2:3] offset:512
	s_waitcnt lgkmcnt(11)
	global_store_short v1, v4, s[2:3] offset:1024
	;; [unrolled: 2-line block ×7, first 2 shown]
	v_add_co_u32_e32 v1, vcc, 0x1000, v17
	v_addc_co_u32_e32 v2, vcc, 0, v16, vcc
	s_or_b64 s[0:1], s[0:1], exec
	s_waitcnt lgkmcnt(5)
	global_store_short v[1:2], v11, off
	s_waitcnt lgkmcnt(4)
	global_store_short v[1:2], v12, off offset:512
	s_waitcnt lgkmcnt(3)
	global_store_short v[1:2], v13, off offset:1024
	;; [unrolled: 2-line block ×4, first 2 shown]
.LBB99_251:
	s_and_saveexec_b64 s[4:5], s[0:1]
	s_cbranch_execz .LBB99_253
; %bb.252:
	v_lshlrev_b32_e32 v0, 1, v0
	v_mov_b32_e32 v1, s3
	v_add_co_u32_e32 v0, vcc, s2, v0
	v_addc_co_u32_e32 v1, vcc, 0, v1, vcc
	v_add_co_u32_e32 v0, vcc, 0x1000, v0
	v_addc_co_u32_e32 v1, vcc, 0, v1, vcc
	s_waitcnt lgkmcnt(0)
	global_store_short v[0:1], v10, off offset:2560
	s_endpgm
.LBB99_253:
	s_endpgm
	.section	.rodata,"a",@progbits
	.p2align	6, 0x0
	.amdhsa_kernel _ZN7rocprim6detail25device_scan_by_key_kernelILNS0_25lookback_scan_determinismE0ELb1ENS0_26wrapped_scan_by_key_configINS_14default_configEi6__halfEEPiN6hipcub22TransformInputIteratorIS5_NS8_6CastOpIS5_EEPS5_lEESC_S5_NS8_8EqualityENS8_3MaxENS0_19lookback_scan_stateINS_5tupleIJS5_bEEELb0ELb1EEES5_EEvT2_T3_T4_T5_T6_T7_T8_mmmPKNSH_IJT9_bEEE
		.amdhsa_group_segment_fixed_size 16384
		.amdhsa_private_segment_fixed_size 0
		.amdhsa_kernarg_size 80
		.amdhsa_user_sgpr_count 6
		.amdhsa_user_sgpr_private_segment_buffer 1
		.amdhsa_user_sgpr_dispatch_ptr 0
		.amdhsa_user_sgpr_queue_ptr 0
		.amdhsa_user_sgpr_kernarg_segment_ptr 1
		.amdhsa_user_sgpr_dispatch_id 0
		.amdhsa_user_sgpr_flat_scratch_init 0
		.amdhsa_user_sgpr_private_segment_size 0
		.amdhsa_uses_dynamic_stack 0
		.amdhsa_system_sgpr_private_segment_wavefront_offset 0
		.amdhsa_system_sgpr_workgroup_id_x 1
		.amdhsa_system_sgpr_workgroup_id_y 0
		.amdhsa_system_sgpr_workgroup_id_z 0
		.amdhsa_system_sgpr_workgroup_info 0
		.amdhsa_system_vgpr_workitem_id 0
		.amdhsa_next_free_vgpr 72
		.amdhsa_next_free_sgpr 98
		.amdhsa_reserve_vcc 1
		.amdhsa_reserve_flat_scratch 0
		.amdhsa_float_round_mode_32 0
		.amdhsa_float_round_mode_16_64 0
		.amdhsa_float_denorm_mode_32 3
		.amdhsa_float_denorm_mode_16_64 3
		.amdhsa_dx10_clamp 1
		.amdhsa_ieee_mode 1
		.amdhsa_fp16_overflow 0
		.amdhsa_exception_fp_ieee_invalid_op 0
		.amdhsa_exception_fp_denorm_src 0
		.amdhsa_exception_fp_ieee_div_zero 0
		.amdhsa_exception_fp_ieee_overflow 0
		.amdhsa_exception_fp_ieee_underflow 0
		.amdhsa_exception_fp_ieee_inexact 0
		.amdhsa_exception_int_div_zero 0
	.end_amdhsa_kernel
	.section	.text._ZN7rocprim6detail25device_scan_by_key_kernelILNS0_25lookback_scan_determinismE0ELb1ENS0_26wrapped_scan_by_key_configINS_14default_configEi6__halfEEPiN6hipcub22TransformInputIteratorIS5_NS8_6CastOpIS5_EEPS5_lEESC_S5_NS8_8EqualityENS8_3MaxENS0_19lookback_scan_stateINS_5tupleIJS5_bEEELb0ELb1EEES5_EEvT2_T3_T4_T5_T6_T7_T8_mmmPKNSH_IJT9_bEEE,"axG",@progbits,_ZN7rocprim6detail25device_scan_by_key_kernelILNS0_25lookback_scan_determinismE0ELb1ENS0_26wrapped_scan_by_key_configINS_14default_configEi6__halfEEPiN6hipcub22TransformInputIteratorIS5_NS8_6CastOpIS5_EEPS5_lEESC_S5_NS8_8EqualityENS8_3MaxENS0_19lookback_scan_stateINS_5tupleIJS5_bEEELb0ELb1EEES5_EEvT2_T3_T4_T5_T6_T7_T8_mmmPKNSH_IJT9_bEEE,comdat
.Lfunc_end99:
	.size	_ZN7rocprim6detail25device_scan_by_key_kernelILNS0_25lookback_scan_determinismE0ELb1ENS0_26wrapped_scan_by_key_configINS_14default_configEi6__halfEEPiN6hipcub22TransformInputIteratorIS5_NS8_6CastOpIS5_EEPS5_lEESC_S5_NS8_8EqualityENS8_3MaxENS0_19lookback_scan_stateINS_5tupleIJS5_bEEELb0ELb1EEES5_EEvT2_T3_T4_T5_T6_T7_T8_mmmPKNSH_IJT9_bEEE, .Lfunc_end99-_ZN7rocprim6detail25device_scan_by_key_kernelILNS0_25lookback_scan_determinismE0ELb1ENS0_26wrapped_scan_by_key_configINS_14default_configEi6__halfEEPiN6hipcub22TransformInputIteratorIS5_NS8_6CastOpIS5_EEPS5_lEESC_S5_NS8_8EqualityENS8_3MaxENS0_19lookback_scan_stateINS_5tupleIJS5_bEEELb0ELb1EEES5_EEvT2_T3_T4_T5_T6_T7_T8_mmmPKNSH_IJT9_bEEE
                                        ; -- End function
	.set _ZN7rocprim6detail25device_scan_by_key_kernelILNS0_25lookback_scan_determinismE0ELb1ENS0_26wrapped_scan_by_key_configINS_14default_configEi6__halfEEPiN6hipcub22TransformInputIteratorIS5_NS8_6CastOpIS5_EEPS5_lEESC_S5_NS8_8EqualityENS8_3MaxENS0_19lookback_scan_stateINS_5tupleIJS5_bEEELb0ELb1EEES5_EEvT2_T3_T4_T5_T6_T7_T8_mmmPKNSH_IJT9_bEEE.num_vgpr, 72
	.set _ZN7rocprim6detail25device_scan_by_key_kernelILNS0_25lookback_scan_determinismE0ELb1ENS0_26wrapped_scan_by_key_configINS_14default_configEi6__halfEEPiN6hipcub22TransformInputIteratorIS5_NS8_6CastOpIS5_EEPS5_lEESC_S5_NS8_8EqualityENS8_3MaxENS0_19lookback_scan_stateINS_5tupleIJS5_bEEELb0ELb1EEES5_EEvT2_T3_T4_T5_T6_T7_T8_mmmPKNSH_IJT9_bEEE.num_agpr, 0
	.set _ZN7rocprim6detail25device_scan_by_key_kernelILNS0_25lookback_scan_determinismE0ELb1ENS0_26wrapped_scan_by_key_configINS_14default_configEi6__halfEEPiN6hipcub22TransformInputIteratorIS5_NS8_6CastOpIS5_EEPS5_lEESC_S5_NS8_8EqualityENS8_3MaxENS0_19lookback_scan_stateINS_5tupleIJS5_bEEELb0ELb1EEES5_EEvT2_T3_T4_T5_T6_T7_T8_mmmPKNSH_IJT9_bEEE.numbered_sgpr, 80
	.set _ZN7rocprim6detail25device_scan_by_key_kernelILNS0_25lookback_scan_determinismE0ELb1ENS0_26wrapped_scan_by_key_configINS_14default_configEi6__halfEEPiN6hipcub22TransformInputIteratorIS5_NS8_6CastOpIS5_EEPS5_lEESC_S5_NS8_8EqualityENS8_3MaxENS0_19lookback_scan_stateINS_5tupleIJS5_bEEELb0ELb1EEES5_EEvT2_T3_T4_T5_T6_T7_T8_mmmPKNSH_IJT9_bEEE.num_named_barrier, 0
	.set _ZN7rocprim6detail25device_scan_by_key_kernelILNS0_25lookback_scan_determinismE0ELb1ENS0_26wrapped_scan_by_key_configINS_14default_configEi6__halfEEPiN6hipcub22TransformInputIteratorIS5_NS8_6CastOpIS5_EEPS5_lEESC_S5_NS8_8EqualityENS8_3MaxENS0_19lookback_scan_stateINS_5tupleIJS5_bEEELb0ELb1EEES5_EEvT2_T3_T4_T5_T6_T7_T8_mmmPKNSH_IJT9_bEEE.private_seg_size, 0
	.set _ZN7rocprim6detail25device_scan_by_key_kernelILNS0_25lookback_scan_determinismE0ELb1ENS0_26wrapped_scan_by_key_configINS_14default_configEi6__halfEEPiN6hipcub22TransformInputIteratorIS5_NS8_6CastOpIS5_EEPS5_lEESC_S5_NS8_8EqualityENS8_3MaxENS0_19lookback_scan_stateINS_5tupleIJS5_bEEELb0ELb1EEES5_EEvT2_T3_T4_T5_T6_T7_T8_mmmPKNSH_IJT9_bEEE.uses_vcc, 1
	.set _ZN7rocprim6detail25device_scan_by_key_kernelILNS0_25lookback_scan_determinismE0ELb1ENS0_26wrapped_scan_by_key_configINS_14default_configEi6__halfEEPiN6hipcub22TransformInputIteratorIS5_NS8_6CastOpIS5_EEPS5_lEESC_S5_NS8_8EqualityENS8_3MaxENS0_19lookback_scan_stateINS_5tupleIJS5_bEEELb0ELb1EEES5_EEvT2_T3_T4_T5_T6_T7_T8_mmmPKNSH_IJT9_bEEE.uses_flat_scratch, 0
	.set _ZN7rocprim6detail25device_scan_by_key_kernelILNS0_25lookback_scan_determinismE0ELb1ENS0_26wrapped_scan_by_key_configINS_14default_configEi6__halfEEPiN6hipcub22TransformInputIteratorIS5_NS8_6CastOpIS5_EEPS5_lEESC_S5_NS8_8EqualityENS8_3MaxENS0_19lookback_scan_stateINS_5tupleIJS5_bEEELb0ELb1EEES5_EEvT2_T3_T4_T5_T6_T7_T8_mmmPKNSH_IJT9_bEEE.has_dyn_sized_stack, 0
	.set _ZN7rocprim6detail25device_scan_by_key_kernelILNS0_25lookback_scan_determinismE0ELb1ENS0_26wrapped_scan_by_key_configINS_14default_configEi6__halfEEPiN6hipcub22TransformInputIteratorIS5_NS8_6CastOpIS5_EEPS5_lEESC_S5_NS8_8EqualityENS8_3MaxENS0_19lookback_scan_stateINS_5tupleIJS5_bEEELb0ELb1EEES5_EEvT2_T3_T4_T5_T6_T7_T8_mmmPKNSH_IJT9_bEEE.has_recursion, 0
	.set _ZN7rocprim6detail25device_scan_by_key_kernelILNS0_25lookback_scan_determinismE0ELb1ENS0_26wrapped_scan_by_key_configINS_14default_configEi6__halfEEPiN6hipcub22TransformInputIteratorIS5_NS8_6CastOpIS5_EEPS5_lEESC_S5_NS8_8EqualityENS8_3MaxENS0_19lookback_scan_stateINS_5tupleIJS5_bEEELb0ELb1EEES5_EEvT2_T3_T4_T5_T6_T7_T8_mmmPKNSH_IJT9_bEEE.has_indirect_call, 0
	.section	.AMDGPU.csdata,"",@progbits
; Kernel info:
; codeLenInByte = 12908
; TotalNumSgprs: 84
; NumVgprs: 72
; ScratchSize: 0
; MemoryBound: 0
; FloatMode: 240
; IeeeMode: 1
; LDSByteSize: 16384 bytes/workgroup (compile time only)
; SGPRBlocks: 12
; VGPRBlocks: 17
; NumSGPRsForWavesPerEU: 102
; NumVGPRsForWavesPerEU: 72
; Occupancy: 3
; WaveLimiterHint : 1
; COMPUTE_PGM_RSRC2:SCRATCH_EN: 0
; COMPUTE_PGM_RSRC2:USER_SGPR: 6
; COMPUTE_PGM_RSRC2:TRAP_HANDLER: 0
; COMPUTE_PGM_RSRC2:TGID_X_EN: 1
; COMPUTE_PGM_RSRC2:TGID_Y_EN: 0
; COMPUTE_PGM_RSRC2:TGID_Z_EN: 0
; COMPUTE_PGM_RSRC2:TIDIG_COMP_CNT: 0
	.section	.text._ZN7rocprim6detail25device_scan_by_key_kernelILNS0_25lookback_scan_determinismE0ELb1ENS0_26wrapped_scan_by_key_configINS_14default_configEi12hip_bfloat16EEPiN6hipcub22TransformInputIteratorIS5_NS8_6CastOpIS5_EEPS5_lEESC_S5_NS8_8EqualityENS8_3SumENS0_19lookback_scan_stateINS_5tupleIJS5_bEEELb1ELb1EEES5_EEvT2_T3_T4_T5_T6_T7_T8_mmmPKNSH_IJT9_bEEE,"axG",@progbits,_ZN7rocprim6detail25device_scan_by_key_kernelILNS0_25lookback_scan_determinismE0ELb1ENS0_26wrapped_scan_by_key_configINS_14default_configEi12hip_bfloat16EEPiN6hipcub22TransformInputIteratorIS5_NS8_6CastOpIS5_EEPS5_lEESC_S5_NS8_8EqualityENS8_3SumENS0_19lookback_scan_stateINS_5tupleIJS5_bEEELb1ELb1EEES5_EEvT2_T3_T4_T5_T6_T7_T8_mmmPKNSH_IJT9_bEEE,comdat
	.protected	_ZN7rocprim6detail25device_scan_by_key_kernelILNS0_25lookback_scan_determinismE0ELb1ENS0_26wrapped_scan_by_key_configINS_14default_configEi12hip_bfloat16EEPiN6hipcub22TransformInputIteratorIS5_NS8_6CastOpIS5_EEPS5_lEESC_S5_NS8_8EqualityENS8_3SumENS0_19lookback_scan_stateINS_5tupleIJS5_bEEELb1ELb1EEES5_EEvT2_T3_T4_T5_T6_T7_T8_mmmPKNSH_IJT9_bEEE ; -- Begin function _ZN7rocprim6detail25device_scan_by_key_kernelILNS0_25lookback_scan_determinismE0ELb1ENS0_26wrapped_scan_by_key_configINS_14default_configEi12hip_bfloat16EEPiN6hipcub22TransformInputIteratorIS5_NS8_6CastOpIS5_EEPS5_lEESC_S5_NS8_8EqualityENS8_3SumENS0_19lookback_scan_stateINS_5tupleIJS5_bEEELb1ELb1EEES5_EEvT2_T3_T4_T5_T6_T7_T8_mmmPKNSH_IJT9_bEEE
	.globl	_ZN7rocprim6detail25device_scan_by_key_kernelILNS0_25lookback_scan_determinismE0ELb1ENS0_26wrapped_scan_by_key_configINS_14default_configEi12hip_bfloat16EEPiN6hipcub22TransformInputIteratorIS5_NS8_6CastOpIS5_EEPS5_lEESC_S5_NS8_8EqualityENS8_3SumENS0_19lookback_scan_stateINS_5tupleIJS5_bEEELb1ELb1EEES5_EEvT2_T3_T4_T5_T6_T7_T8_mmmPKNSH_IJT9_bEEE
	.p2align	8
	.type	_ZN7rocprim6detail25device_scan_by_key_kernelILNS0_25lookback_scan_determinismE0ELb1ENS0_26wrapped_scan_by_key_configINS_14default_configEi12hip_bfloat16EEPiN6hipcub22TransformInputIteratorIS5_NS8_6CastOpIS5_EEPS5_lEESC_S5_NS8_8EqualityENS8_3SumENS0_19lookback_scan_stateINS_5tupleIJS5_bEEELb1ELb1EEES5_EEvT2_T3_T4_T5_T6_T7_T8_mmmPKNSH_IJT9_bEEE,@function
_ZN7rocprim6detail25device_scan_by_key_kernelILNS0_25lookback_scan_determinismE0ELb1ENS0_26wrapped_scan_by_key_configINS_14default_configEi12hip_bfloat16EEPiN6hipcub22TransformInputIteratorIS5_NS8_6CastOpIS5_EEPS5_lEESC_S5_NS8_8EqualityENS8_3SumENS0_19lookback_scan_stateINS_5tupleIJS5_bEEELb1ELb1EEES5_EEvT2_T3_T4_T5_T6_T7_T8_mmmPKNSH_IJT9_bEEE: ; @_ZN7rocprim6detail25device_scan_by_key_kernelILNS0_25lookback_scan_determinismE0ELb1ENS0_26wrapped_scan_by_key_configINS_14default_configEi12hip_bfloat16EEPiN6hipcub22TransformInputIteratorIS5_NS8_6CastOpIS5_EEPS5_lEESC_S5_NS8_8EqualityENS8_3SumENS0_19lookback_scan_stateINS_5tupleIJS5_bEEELb1ELb1EEES5_EEvT2_T3_T4_T5_T6_T7_T8_mmmPKNSH_IJT9_bEEE
; %bb.0:
	s_endpgm
	.section	.rodata,"a",@progbits
	.p2align	6, 0x0
	.amdhsa_kernel _ZN7rocprim6detail25device_scan_by_key_kernelILNS0_25lookback_scan_determinismE0ELb1ENS0_26wrapped_scan_by_key_configINS_14default_configEi12hip_bfloat16EEPiN6hipcub22TransformInputIteratorIS5_NS8_6CastOpIS5_EEPS5_lEESC_S5_NS8_8EqualityENS8_3SumENS0_19lookback_scan_stateINS_5tupleIJS5_bEEELb1ELb1EEES5_EEvT2_T3_T4_T5_T6_T7_T8_mmmPKNSH_IJT9_bEEE
		.amdhsa_group_segment_fixed_size 0
		.amdhsa_private_segment_fixed_size 0
		.amdhsa_kernarg_size 80
		.amdhsa_user_sgpr_count 6
		.amdhsa_user_sgpr_private_segment_buffer 1
		.amdhsa_user_sgpr_dispatch_ptr 0
		.amdhsa_user_sgpr_queue_ptr 0
		.amdhsa_user_sgpr_kernarg_segment_ptr 1
		.amdhsa_user_sgpr_dispatch_id 0
		.amdhsa_user_sgpr_flat_scratch_init 0
		.amdhsa_user_sgpr_private_segment_size 0
		.amdhsa_uses_dynamic_stack 0
		.amdhsa_system_sgpr_private_segment_wavefront_offset 0
		.amdhsa_system_sgpr_workgroup_id_x 1
		.amdhsa_system_sgpr_workgroup_id_y 0
		.amdhsa_system_sgpr_workgroup_id_z 0
		.amdhsa_system_sgpr_workgroup_info 0
		.amdhsa_system_vgpr_workitem_id 0
		.amdhsa_next_free_vgpr 1
		.amdhsa_next_free_sgpr 0
		.amdhsa_reserve_vcc 0
		.amdhsa_reserve_flat_scratch 0
		.amdhsa_float_round_mode_32 0
		.amdhsa_float_round_mode_16_64 0
		.amdhsa_float_denorm_mode_32 3
		.amdhsa_float_denorm_mode_16_64 3
		.amdhsa_dx10_clamp 1
		.amdhsa_ieee_mode 1
		.amdhsa_fp16_overflow 0
		.amdhsa_exception_fp_ieee_invalid_op 0
		.amdhsa_exception_fp_denorm_src 0
		.amdhsa_exception_fp_ieee_div_zero 0
		.amdhsa_exception_fp_ieee_overflow 0
		.amdhsa_exception_fp_ieee_underflow 0
		.amdhsa_exception_fp_ieee_inexact 0
		.amdhsa_exception_int_div_zero 0
	.end_amdhsa_kernel
	.section	.text._ZN7rocprim6detail25device_scan_by_key_kernelILNS0_25lookback_scan_determinismE0ELb1ENS0_26wrapped_scan_by_key_configINS_14default_configEi12hip_bfloat16EEPiN6hipcub22TransformInputIteratorIS5_NS8_6CastOpIS5_EEPS5_lEESC_S5_NS8_8EqualityENS8_3SumENS0_19lookback_scan_stateINS_5tupleIJS5_bEEELb1ELb1EEES5_EEvT2_T3_T4_T5_T6_T7_T8_mmmPKNSH_IJT9_bEEE,"axG",@progbits,_ZN7rocprim6detail25device_scan_by_key_kernelILNS0_25lookback_scan_determinismE0ELb1ENS0_26wrapped_scan_by_key_configINS_14default_configEi12hip_bfloat16EEPiN6hipcub22TransformInputIteratorIS5_NS8_6CastOpIS5_EEPS5_lEESC_S5_NS8_8EqualityENS8_3SumENS0_19lookback_scan_stateINS_5tupleIJS5_bEEELb1ELb1EEES5_EEvT2_T3_T4_T5_T6_T7_T8_mmmPKNSH_IJT9_bEEE,comdat
.Lfunc_end100:
	.size	_ZN7rocprim6detail25device_scan_by_key_kernelILNS0_25lookback_scan_determinismE0ELb1ENS0_26wrapped_scan_by_key_configINS_14default_configEi12hip_bfloat16EEPiN6hipcub22TransformInputIteratorIS5_NS8_6CastOpIS5_EEPS5_lEESC_S5_NS8_8EqualityENS8_3SumENS0_19lookback_scan_stateINS_5tupleIJS5_bEEELb1ELb1EEES5_EEvT2_T3_T4_T5_T6_T7_T8_mmmPKNSH_IJT9_bEEE, .Lfunc_end100-_ZN7rocprim6detail25device_scan_by_key_kernelILNS0_25lookback_scan_determinismE0ELb1ENS0_26wrapped_scan_by_key_configINS_14default_configEi12hip_bfloat16EEPiN6hipcub22TransformInputIteratorIS5_NS8_6CastOpIS5_EEPS5_lEESC_S5_NS8_8EqualityENS8_3SumENS0_19lookback_scan_stateINS_5tupleIJS5_bEEELb1ELb1EEES5_EEvT2_T3_T4_T5_T6_T7_T8_mmmPKNSH_IJT9_bEEE
                                        ; -- End function
	.set _ZN7rocprim6detail25device_scan_by_key_kernelILNS0_25lookback_scan_determinismE0ELb1ENS0_26wrapped_scan_by_key_configINS_14default_configEi12hip_bfloat16EEPiN6hipcub22TransformInputIteratorIS5_NS8_6CastOpIS5_EEPS5_lEESC_S5_NS8_8EqualityENS8_3SumENS0_19lookback_scan_stateINS_5tupleIJS5_bEEELb1ELb1EEES5_EEvT2_T3_T4_T5_T6_T7_T8_mmmPKNSH_IJT9_bEEE.num_vgpr, 0
	.set _ZN7rocprim6detail25device_scan_by_key_kernelILNS0_25lookback_scan_determinismE0ELb1ENS0_26wrapped_scan_by_key_configINS_14default_configEi12hip_bfloat16EEPiN6hipcub22TransformInputIteratorIS5_NS8_6CastOpIS5_EEPS5_lEESC_S5_NS8_8EqualityENS8_3SumENS0_19lookback_scan_stateINS_5tupleIJS5_bEEELb1ELb1EEES5_EEvT2_T3_T4_T5_T6_T7_T8_mmmPKNSH_IJT9_bEEE.num_agpr, 0
	.set _ZN7rocprim6detail25device_scan_by_key_kernelILNS0_25lookback_scan_determinismE0ELb1ENS0_26wrapped_scan_by_key_configINS_14default_configEi12hip_bfloat16EEPiN6hipcub22TransformInputIteratorIS5_NS8_6CastOpIS5_EEPS5_lEESC_S5_NS8_8EqualityENS8_3SumENS0_19lookback_scan_stateINS_5tupleIJS5_bEEELb1ELb1EEES5_EEvT2_T3_T4_T5_T6_T7_T8_mmmPKNSH_IJT9_bEEE.numbered_sgpr, 0
	.set _ZN7rocprim6detail25device_scan_by_key_kernelILNS0_25lookback_scan_determinismE0ELb1ENS0_26wrapped_scan_by_key_configINS_14default_configEi12hip_bfloat16EEPiN6hipcub22TransformInputIteratorIS5_NS8_6CastOpIS5_EEPS5_lEESC_S5_NS8_8EqualityENS8_3SumENS0_19lookback_scan_stateINS_5tupleIJS5_bEEELb1ELb1EEES5_EEvT2_T3_T4_T5_T6_T7_T8_mmmPKNSH_IJT9_bEEE.num_named_barrier, 0
	.set _ZN7rocprim6detail25device_scan_by_key_kernelILNS0_25lookback_scan_determinismE0ELb1ENS0_26wrapped_scan_by_key_configINS_14default_configEi12hip_bfloat16EEPiN6hipcub22TransformInputIteratorIS5_NS8_6CastOpIS5_EEPS5_lEESC_S5_NS8_8EqualityENS8_3SumENS0_19lookback_scan_stateINS_5tupleIJS5_bEEELb1ELb1EEES5_EEvT2_T3_T4_T5_T6_T7_T8_mmmPKNSH_IJT9_bEEE.private_seg_size, 0
	.set _ZN7rocprim6detail25device_scan_by_key_kernelILNS0_25lookback_scan_determinismE0ELb1ENS0_26wrapped_scan_by_key_configINS_14default_configEi12hip_bfloat16EEPiN6hipcub22TransformInputIteratorIS5_NS8_6CastOpIS5_EEPS5_lEESC_S5_NS8_8EqualityENS8_3SumENS0_19lookback_scan_stateINS_5tupleIJS5_bEEELb1ELb1EEES5_EEvT2_T3_T4_T5_T6_T7_T8_mmmPKNSH_IJT9_bEEE.uses_vcc, 0
	.set _ZN7rocprim6detail25device_scan_by_key_kernelILNS0_25lookback_scan_determinismE0ELb1ENS0_26wrapped_scan_by_key_configINS_14default_configEi12hip_bfloat16EEPiN6hipcub22TransformInputIteratorIS5_NS8_6CastOpIS5_EEPS5_lEESC_S5_NS8_8EqualityENS8_3SumENS0_19lookback_scan_stateINS_5tupleIJS5_bEEELb1ELb1EEES5_EEvT2_T3_T4_T5_T6_T7_T8_mmmPKNSH_IJT9_bEEE.uses_flat_scratch, 0
	.set _ZN7rocprim6detail25device_scan_by_key_kernelILNS0_25lookback_scan_determinismE0ELb1ENS0_26wrapped_scan_by_key_configINS_14default_configEi12hip_bfloat16EEPiN6hipcub22TransformInputIteratorIS5_NS8_6CastOpIS5_EEPS5_lEESC_S5_NS8_8EqualityENS8_3SumENS0_19lookback_scan_stateINS_5tupleIJS5_bEEELb1ELb1EEES5_EEvT2_T3_T4_T5_T6_T7_T8_mmmPKNSH_IJT9_bEEE.has_dyn_sized_stack, 0
	.set _ZN7rocprim6detail25device_scan_by_key_kernelILNS0_25lookback_scan_determinismE0ELb1ENS0_26wrapped_scan_by_key_configINS_14default_configEi12hip_bfloat16EEPiN6hipcub22TransformInputIteratorIS5_NS8_6CastOpIS5_EEPS5_lEESC_S5_NS8_8EqualityENS8_3SumENS0_19lookback_scan_stateINS_5tupleIJS5_bEEELb1ELb1EEES5_EEvT2_T3_T4_T5_T6_T7_T8_mmmPKNSH_IJT9_bEEE.has_recursion, 0
	.set _ZN7rocprim6detail25device_scan_by_key_kernelILNS0_25lookback_scan_determinismE0ELb1ENS0_26wrapped_scan_by_key_configINS_14default_configEi12hip_bfloat16EEPiN6hipcub22TransformInputIteratorIS5_NS8_6CastOpIS5_EEPS5_lEESC_S5_NS8_8EqualityENS8_3SumENS0_19lookback_scan_stateINS_5tupleIJS5_bEEELb1ELb1EEES5_EEvT2_T3_T4_T5_T6_T7_T8_mmmPKNSH_IJT9_bEEE.has_indirect_call, 0
	.section	.AMDGPU.csdata,"",@progbits
; Kernel info:
; codeLenInByte = 4
; TotalNumSgprs: 4
; NumVgprs: 0
; ScratchSize: 0
; MemoryBound: 0
; FloatMode: 240
; IeeeMode: 1
; LDSByteSize: 0 bytes/workgroup (compile time only)
; SGPRBlocks: 0
; VGPRBlocks: 0
; NumSGPRsForWavesPerEU: 4
; NumVGPRsForWavesPerEU: 1
; Occupancy: 10
; WaveLimiterHint : 0
; COMPUTE_PGM_RSRC2:SCRATCH_EN: 0
; COMPUTE_PGM_RSRC2:USER_SGPR: 6
; COMPUTE_PGM_RSRC2:TRAP_HANDLER: 0
; COMPUTE_PGM_RSRC2:TGID_X_EN: 1
; COMPUTE_PGM_RSRC2:TGID_Y_EN: 0
; COMPUTE_PGM_RSRC2:TGID_Z_EN: 0
; COMPUTE_PGM_RSRC2:TIDIG_COMP_CNT: 0
	.section	.text._ZN7rocprim6detail25device_scan_by_key_kernelILNS0_25lookback_scan_determinismE0ELb1ENS0_26wrapped_scan_by_key_configINS_14default_configEi12hip_bfloat16EEPiN6hipcub22TransformInputIteratorIS5_NS8_6CastOpIS5_EEPS5_lEESC_S5_NS8_8EqualityENS8_3SumENS0_19lookback_scan_stateINS_5tupleIJS5_bEEELb0ELb1EEES5_EEvT2_T3_T4_T5_T6_T7_T8_mmmPKNSH_IJT9_bEEE,"axG",@progbits,_ZN7rocprim6detail25device_scan_by_key_kernelILNS0_25lookback_scan_determinismE0ELb1ENS0_26wrapped_scan_by_key_configINS_14default_configEi12hip_bfloat16EEPiN6hipcub22TransformInputIteratorIS5_NS8_6CastOpIS5_EEPS5_lEESC_S5_NS8_8EqualityENS8_3SumENS0_19lookback_scan_stateINS_5tupleIJS5_bEEELb0ELb1EEES5_EEvT2_T3_T4_T5_T6_T7_T8_mmmPKNSH_IJT9_bEEE,comdat
	.protected	_ZN7rocprim6detail25device_scan_by_key_kernelILNS0_25lookback_scan_determinismE0ELb1ENS0_26wrapped_scan_by_key_configINS_14default_configEi12hip_bfloat16EEPiN6hipcub22TransformInputIteratorIS5_NS8_6CastOpIS5_EEPS5_lEESC_S5_NS8_8EqualityENS8_3SumENS0_19lookback_scan_stateINS_5tupleIJS5_bEEELb0ELb1EEES5_EEvT2_T3_T4_T5_T6_T7_T8_mmmPKNSH_IJT9_bEEE ; -- Begin function _ZN7rocprim6detail25device_scan_by_key_kernelILNS0_25lookback_scan_determinismE0ELb1ENS0_26wrapped_scan_by_key_configINS_14default_configEi12hip_bfloat16EEPiN6hipcub22TransformInputIteratorIS5_NS8_6CastOpIS5_EEPS5_lEESC_S5_NS8_8EqualityENS8_3SumENS0_19lookback_scan_stateINS_5tupleIJS5_bEEELb0ELb1EEES5_EEvT2_T3_T4_T5_T6_T7_T8_mmmPKNSH_IJT9_bEEE
	.globl	_ZN7rocprim6detail25device_scan_by_key_kernelILNS0_25lookback_scan_determinismE0ELb1ENS0_26wrapped_scan_by_key_configINS_14default_configEi12hip_bfloat16EEPiN6hipcub22TransformInputIteratorIS5_NS8_6CastOpIS5_EEPS5_lEESC_S5_NS8_8EqualityENS8_3SumENS0_19lookback_scan_stateINS_5tupleIJS5_bEEELb0ELb1EEES5_EEvT2_T3_T4_T5_T6_T7_T8_mmmPKNSH_IJT9_bEEE
	.p2align	8
	.type	_ZN7rocprim6detail25device_scan_by_key_kernelILNS0_25lookback_scan_determinismE0ELb1ENS0_26wrapped_scan_by_key_configINS_14default_configEi12hip_bfloat16EEPiN6hipcub22TransformInputIteratorIS5_NS8_6CastOpIS5_EEPS5_lEESC_S5_NS8_8EqualityENS8_3SumENS0_19lookback_scan_stateINS_5tupleIJS5_bEEELb0ELb1EEES5_EEvT2_T3_T4_T5_T6_T7_T8_mmmPKNSH_IJT9_bEEE,@function
_ZN7rocprim6detail25device_scan_by_key_kernelILNS0_25lookback_scan_determinismE0ELb1ENS0_26wrapped_scan_by_key_configINS_14default_configEi12hip_bfloat16EEPiN6hipcub22TransformInputIteratorIS5_NS8_6CastOpIS5_EEPS5_lEESC_S5_NS8_8EqualityENS8_3SumENS0_19lookback_scan_stateINS_5tupleIJS5_bEEELb0ELb1EEES5_EEvT2_T3_T4_T5_T6_T7_T8_mmmPKNSH_IJT9_bEEE: ; @_ZN7rocprim6detail25device_scan_by_key_kernelILNS0_25lookback_scan_determinismE0ELb1ENS0_26wrapped_scan_by_key_configINS_14default_configEi12hip_bfloat16EEPiN6hipcub22TransformInputIteratorIS5_NS8_6CastOpIS5_EEPS5_lEESC_S5_NS8_8EqualityENS8_3SumENS0_19lookback_scan_stateINS_5tupleIJS5_bEEELb0ELb1EEES5_EEvT2_T3_T4_T5_T6_T7_T8_mmmPKNSH_IJT9_bEEE
; %bb.0:
	s_load_dwordx4 s[0:3], s[4:5], 0x0
	s_load_dword s54, s[4:5], 0x20
	s_load_dwordx8 s[36:43], s[4:5], 0x28
	s_load_dwordx2 s[46:47], s[4:5], 0x48
	s_mul_i32 s8, s6, 0xe00
	s_mov_b32 s9, 0
	s_lshl_b64 s[10:11], s[8:9], 2
	s_waitcnt lgkmcnt(0)
	s_add_u32 s50, s0, s10
	s_addc_u32 s51, s1, s11
	s_lshl_b64 s[44:45], s[8:9], 1
	s_add_u32 s48, s2, s44
	s_addc_u32 s49, s3, s45
	s_add_u32 s0, s40, s6
	s_addc_u32 s1, s41, 0
	s_add_u32 s8, s42, -1
	s_addc_u32 s9, s43, -1
	v_mov_b32_e32 v1, s8
	v_mov_b32_e32 v2, s9
	v_cmp_ge_u64_e64 s[0:1], s[0:1], v[1:2]
	s_mov_b64 s[2:3], -1
	s_and_b64 vcc, exec, s[0:1]
	s_mul_i32 s33, s8, 0xfffff200
	s_cbranch_vccz .LBB101_76
; %bb.1:
	s_load_dword s39, s[50:51], 0x0
	v_lshlrev_b32_e32 v3, 2, v0
	s_add_i32 s7, s33, s38
	v_mov_b32_e32 v2, s51
	v_add_co_u32_e32 v1, vcc, s50, v3
	v_addc_co_u32_e32 v2, vcc, 0, v2, vcc
	v_cmp_gt_u32_e64 s[2:3], s7, v0
	s_waitcnt lgkmcnt(0)
	v_mov_b32_e32 v4, s39
	s_and_saveexec_b64 s[8:9], s[2:3]
	s_cbranch_execz .LBB101_3
; %bb.2:
	global_load_dword v4, v[1:2], off
.LBB101_3:
	s_or_b64 exec, exec, s[8:9]
	v_or_b32_e32 v5, 0x100, v0
	v_cmp_gt_u32_e64 s[34:35], s7, v5
	v_mov_b32_e32 v5, s39
	s_and_saveexec_b64 s[8:9], s[34:35]
	s_cbranch_execz .LBB101_5
; %bb.4:
	global_load_dword v5, v[1:2], off offset:1024
.LBB101_5:
	s_or_b64 exec, exec, s[8:9]
	v_or_b32_e32 v6, 0x200, v0
	v_cmp_gt_u32_e64 s[8:9], s7, v6
	v_mov_b32_e32 v6, s39
	s_and_saveexec_b64 s[10:11], s[8:9]
	s_cbranch_execz .LBB101_7
; %bb.6:
	global_load_dword v6, v[1:2], off offset:2048
.LBB101_7:
	;; [unrolled: 9-line block ×3, first 2 shown]
	s_or_b64 exec, exec, s[12:13]
	v_or_b32_e32 v8, 0x400, v0
	v_cmp_gt_u32_e64 s[12:13], s7, v8
	v_mov_b32_e32 v8, s39
	s_and_saveexec_b64 s[14:15], s[12:13]
	s_cbranch_execz .LBB101_11
; %bb.10:
	v_add_co_u32_e32 v8, vcc, 0x1000, v1
	v_addc_co_u32_e32 v9, vcc, 0, v2, vcc
	global_load_dword v8, v[8:9], off
.LBB101_11:
	s_or_b64 exec, exec, s[14:15]
	v_or_b32_e32 v9, 0x500, v0
	v_cmp_gt_u32_e64 s[14:15], s7, v9
	v_mov_b32_e32 v9, s39
	s_and_saveexec_b64 s[16:17], s[14:15]
	s_cbranch_execz .LBB101_13
; %bb.12:
	v_add_co_u32_e32 v9, vcc, 0x1000, v1
	v_addc_co_u32_e32 v10, vcc, 0, v2, vcc
	global_load_dword v9, v[9:10], off offset:1024
.LBB101_13:
	s_or_b64 exec, exec, s[16:17]
	v_or_b32_e32 v10, 0x600, v0
	v_cmp_gt_u32_e64 s[16:17], s7, v10
	v_mov_b32_e32 v10, s39
	s_and_saveexec_b64 s[18:19], s[16:17]
	s_cbranch_execz .LBB101_15
; %bb.14:
	v_add_co_u32_e32 v10, vcc, 0x1000, v1
	v_addc_co_u32_e32 v11, vcc, 0, v2, vcc
	global_load_dword v10, v[10:11], off offset:2048
.LBB101_15:
	;; [unrolled: 11-line block ×3, first 2 shown]
	s_or_b64 exec, exec, s[20:21]
	v_or_b32_e32 v12, 0x800, v0
	v_cmp_gt_u32_e64 s[20:21], s7, v12
	v_mov_b32_e32 v12, s39
	s_and_saveexec_b64 s[22:23], s[20:21]
	s_cbranch_execz .LBB101_19
; %bb.18:
	v_add_co_u32_e32 v12, vcc, 0x2000, v1
	v_addc_co_u32_e32 v13, vcc, 0, v2, vcc
	global_load_dword v12, v[12:13], off
.LBB101_19:
	s_or_b64 exec, exec, s[22:23]
	v_or_b32_e32 v13, 0x900, v0
	v_cmp_gt_u32_e64 s[22:23], s7, v13
	v_mov_b32_e32 v13, s39
	s_and_saveexec_b64 s[24:25], s[22:23]
	s_cbranch_execz .LBB101_21
; %bb.20:
	v_add_co_u32_e32 v13, vcc, 0x2000, v1
	v_addc_co_u32_e32 v14, vcc, 0, v2, vcc
	global_load_dword v13, v[13:14], off offset:1024
.LBB101_21:
	s_or_b64 exec, exec, s[24:25]
	v_or_b32_e32 v14, 0xa00, v0
	v_cmp_gt_u32_e64 s[24:25], s7, v14
	v_mov_b32_e32 v14, s39
	s_and_saveexec_b64 s[26:27], s[24:25]
	s_cbranch_execz .LBB101_23
; %bb.22:
	v_add_co_u32_e32 v14, vcc, 0x2000, v1
	v_addc_co_u32_e32 v15, vcc, 0, v2, vcc
	global_load_dword v14, v[14:15], off offset:2048
.LBB101_23:
	;; [unrolled: 11-line block ×3, first 2 shown]
	s_or_b64 exec, exec, s[28:29]
	v_or_b32_e32 v16, 0xc00, v0
	v_cmp_gt_u32_e64 s[28:29], s7, v16
	v_mov_b32_e32 v16, s39
	s_and_saveexec_b64 s[30:31], s[28:29]
	s_cbranch_execz .LBB101_27
; %bb.26:
	v_add_co_u32_e32 v16, vcc, 0x3000, v1
	v_addc_co_u32_e32 v17, vcc, 0, v2, vcc
	global_load_dword v16, v[16:17], off
.LBB101_27:
	s_or_b64 exec, exec, s[30:31]
	v_or_b32_e32 v17, 0xd00, v0
	v_cmp_gt_u32_e64 s[30:31], s7, v17
	v_mov_b32_e32 v17, s39
	s_and_saveexec_b64 s[40:41], s[30:31]
	s_cbranch_execz .LBB101_29
; %bb.28:
	v_add_co_u32_e32 v1, vcc, 0x3000, v1
	v_addc_co_u32_e32 v2, vcc, 0, v2, vcc
	global_load_dword v17, v[1:2], off offset:1024
.LBB101_29:
	s_or_b64 exec, exec, s[40:41]
	s_waitcnt vmcnt(0)
	ds_write2st64_b32 v3, v4, v5 offset1:4
	ds_write2st64_b32 v3, v6, v7 offset0:8 offset1:12
	ds_write2st64_b32 v3, v8, v9 offset0:16 offset1:20
	;; [unrolled: 1-line block ×6, first 2 shown]
	v_mad_u32_u24 v13, v0, 52, v3
	s_waitcnt lgkmcnt(0)
	s_barrier
	ds_read2_b64 v[9:12], v13 offset1:1
	ds_read2_b64 v[5:8], v13 offset0:2 offset1:3
	ds_read2_b64 v[1:4], v13 offset0:4 offset1:5
	ds_read_b64 v[18:19], v13 offset:48
	s_load_dword s39, s[50:51], 0x0
	s_movk_i32 s40, 0xffcc
	v_mad_i32_i24 v15, v0, s40, v13
	s_movk_i32 s40, 0xff
	v_cmp_ne_u32_e32 vcc, s40, v0
	s_waitcnt lgkmcnt(0)
	v_mov_b32_e32 v40, s39
	ds_write_b32 v15, v9 offset:15360
	s_waitcnt lgkmcnt(0)
	s_barrier
	s_and_saveexec_b64 s[40:41], vcc
; %bb.30:
	ds_read_b32 v40, v15 offset:15364
; %bb.31:
	s_or_b64 exec, exec, s[40:41]
	v_lshlrev_b32_e32 v16, 1, v0
	v_mov_b32_e32 v14, s49
	v_add_co_u32_e32 v13, vcc, s48, v16
	v_addc_co_u32_e32 v14, vcc, 0, v14, vcc
	s_waitcnt lgkmcnt(0)
	s_barrier
                                        ; implicit-def: $vgpr17
	s_and_saveexec_b64 s[40:41], s[2:3]
	s_cbranch_execz .LBB101_350
; %bb.32:
	global_load_ushort v17, v[13:14], off
	s_or_b64 exec, exec, s[40:41]
                                        ; implicit-def: $vgpr20
	s_and_saveexec_b64 s[2:3], s[34:35]
	s_cbranch_execnz .LBB101_351
.LBB101_33:
	s_or_b64 exec, exec, s[2:3]
                                        ; implicit-def: $vgpr21
	s_and_saveexec_b64 s[2:3], s[8:9]
	s_cbranch_execz .LBB101_352
.LBB101_34:
	global_load_ushort v21, v[13:14], off offset:1024
	s_or_b64 exec, exec, s[2:3]
                                        ; implicit-def: $vgpr22
	s_and_saveexec_b64 s[2:3], s[10:11]
	s_cbranch_execnz .LBB101_353
.LBB101_35:
	s_or_b64 exec, exec, s[2:3]
                                        ; implicit-def: $vgpr23
	s_and_saveexec_b64 s[2:3], s[12:13]
	s_cbranch_execz .LBB101_354
.LBB101_36:
	global_load_ushort v23, v[13:14], off offset:2048
	s_or_b64 exec, exec, s[2:3]
                                        ; implicit-def: $vgpr24
	s_and_saveexec_b64 s[2:3], s[14:15]
	s_cbranch_execnz .LBB101_355
.LBB101_37:
	s_or_b64 exec, exec, s[2:3]
                                        ; implicit-def: $vgpr25
	s_and_saveexec_b64 s[2:3], s[16:17]
	s_cbranch_execz .LBB101_356
.LBB101_38:
	global_load_ushort v25, v[13:14], off offset:3072
	s_or_b64 exec, exec, s[2:3]
                                        ; implicit-def: $vgpr26
	s_and_saveexec_b64 s[2:3], s[18:19]
	s_cbranch_execnz .LBB101_357
.LBB101_39:
	s_or_b64 exec, exec, s[2:3]
                                        ; implicit-def: $vgpr27
	s_and_saveexec_b64 s[2:3], s[20:21]
	s_cbranch_execz .LBB101_358
.LBB101_40:
	v_add_co_u32_e32 v27, vcc, 0x1000, v13
	v_addc_co_u32_e32 v28, vcc, 0, v14, vcc
	global_load_ushort v27, v[27:28], off
	s_or_b64 exec, exec, s[2:3]
                                        ; implicit-def: $vgpr28
	s_and_saveexec_b64 s[2:3], s[22:23]
	s_cbranch_execnz .LBB101_359
.LBB101_41:
	s_or_b64 exec, exec, s[2:3]
                                        ; implicit-def: $vgpr29
	s_and_saveexec_b64 s[2:3], s[24:25]
	s_cbranch_execz .LBB101_360
.LBB101_42:
	v_add_co_u32_e32 v29, vcc, 0x1000, v13
	v_addc_co_u32_e32 v30, vcc, 0, v14, vcc
	global_load_ushort v29, v[29:30], off offset:1024
	s_or_b64 exec, exec, s[2:3]
                                        ; implicit-def: $vgpr30
	s_and_saveexec_b64 s[2:3], s[26:27]
	s_cbranch_execnz .LBB101_361
.LBB101_43:
	s_or_b64 exec, exec, s[2:3]
                                        ; implicit-def: $vgpr31
	s_and_saveexec_b64 s[2:3], s[28:29]
	s_cbranch_execz .LBB101_45
.LBB101_44:
	v_add_co_u32_e32 v31, vcc, 0x1000, v13
	v_addc_co_u32_e32 v32, vcc, 0, v14, vcc
	global_load_ushort v31, v[31:32], off offset:2048
.LBB101_45:
	s_or_b64 exec, exec, s[2:3]
	v_mul_u32_u24_e32 v44, 14, v0
                                        ; implicit-def: $vgpr32
	s_and_saveexec_b64 s[2:3], s[30:31]
	s_cbranch_execz .LBB101_47
; %bb.46:
	v_add_co_u32_e32 v13, vcc, 0x1000, v13
	v_addc_co_u32_e32 v14, vcc, 0, v14, vcc
	global_load_ushort v32, v[13:14], off offset:2560
.LBB101_47:
	s_or_b64 exec, exec, s[2:3]
	v_sub_u32_e32 v15, v15, v16
	s_waitcnt vmcnt(0)
	ds_write_b16 v15, v17
	ds_write_b16 v15, v20 offset:512
	ds_write_b16 v15, v21 offset:1024
	;; [unrolled: 1-line block ×13, first 2 shown]
	v_cmp_gt_u32_e32 vcc, s7, v44
	s_mov_b64 s[2:3], 0
	v_mov_b32_e32 v17, 0
	s_mov_b64 s[12:13], 0
	v_mov_b32_e32 v37, 0
	v_mov_b32_e32 v43, 0
	;; [unrolled: 1-line block ×24, first 2 shown]
	s_waitcnt lgkmcnt(0)
	s_barrier
                                        ; implicit-def: $sgpr8_sgpr9
                                        ; implicit-def: $vgpr32
	s_and_saveexec_b64 s[10:11], vcc
	s_cbranch_execz .LBB101_75
; %bb.48:
	v_mad_u32_u24 v13, v0, 26, v15
	ds_read_u16 v13, v13
	v_mov_b32_e32 v14, s54
	v_cmp_eq_u32_e32 vcc, v9, v10
	v_mov_b32_e32 v46, 0x10000
	v_mov_b32_e32 v37, 0
	s_waitcnt lgkmcnt(0)
	v_cndmask_b32_e32 v9, v14, v13, vcc
	v_or_b32_e32 v13, 1, v44
	v_cndmask_b32_e64 v17, v46, 0, vcc
	v_cmp_gt_u32_e32 vcc, s7, v13
	s_mov_b64 s[14:15], 0
	v_mov_b32_e32 v43, 0
	v_mov_b32_e32 v42, 0
	;; [unrolled: 1-line block ×22, first 2 shown]
                                        ; implicit-def: $sgpr8_sgpr9
                                        ; implicit-def: $vgpr32
	s_and_saveexec_b64 s[12:13], vcc
	s_cbranch_execz .LBB101_74
; %bb.49:
	v_mul_u32_u24_e32 v13, 26, v0
	v_add_u32_e32 v45, v15, v13
	ds_read_b128 v[13:16], v45 offset:2
	v_mov_b32_e32 v20, s54
	v_cmp_eq_u32_e32 vcc, v10, v11
	v_mov_b32_e32 v43, 0
	v_cndmask_b32_e64 v37, v46, 0, vcc
	s_waitcnt lgkmcnt(0)
	v_cndmask_b32_e32 v10, v20, v13, vcc
	v_add_u32_e32 v20, 2, v44
	v_cmp_gt_u32_e32 vcc, s7, v20
	s_mov_b64 s[16:17], 0
	v_mov_b32_e32 v42, 0
	v_mov_b32_e32 v41, 0
	;; [unrolled: 1-line block ×20, first 2 shown]
                                        ; implicit-def: $sgpr8_sgpr9
                                        ; implicit-def: $vgpr32
	s_and_saveexec_b64 s[14:15], vcc
	s_cbranch_execz .LBB101_73
; %bb.50:
	v_mov_b32_e32 v20, s54
	v_cmp_eq_u32_e32 vcc, v11, v12
	v_mov_b32_e32 v29, 0x10000
	v_cndmask_b32_sdwa v13, v20, v13, vcc dst_sel:DWORD dst_unused:UNUSED_PAD src0_sel:DWORD src1_sel:WORD_1
	v_add_u32_e32 v20, 3, v44
	v_cndmask_b32_e64 v11, v29, 0, vcc
	v_mov_b32_e32 v42, 0
	v_cmp_gt_u32_e32 vcc, s7, v20
	s_mov_b64 s[18:19], 0
	v_mov_b32_e32 v41, 0
	v_mov_b32_e32 v39, 0
	;; [unrolled: 1-line block ×18, first 2 shown]
                                        ; implicit-def: $sgpr8_sgpr9
                                        ; implicit-def: $vgpr32
	s_and_saveexec_b64 s[16:17], vcc
	s_cbranch_execz .LBB101_72
; %bb.51:
	v_mov_b32_e32 v20, s54
	v_cmp_eq_u32_e32 vcc, v12, v5
	v_cndmask_b32_e32 v12, v20, v14, vcc
	v_add_u32_e32 v20, 4, v44
	v_mov_b32_e32 v41, 0
	v_cndmask_b32_e64 v28, v29, 0, vcc
	v_cmp_gt_u32_e32 vcc, s7, v20
	s_mov_b64 s[20:21], 0
	v_mov_b32_e32 v39, 0
	v_mov_b32_e32 v38, 0
	;; [unrolled: 1-line block ×16, first 2 shown]
                                        ; implicit-def: $sgpr8_sgpr9
                                        ; implicit-def: $vgpr32
	s_and_saveexec_b64 s[18:19], vcc
	s_cbranch_execz .LBB101_71
; %bb.52:
	v_mov_b32_e32 v20, s54
	v_mov_b32_e32 v29, 0x10000
	v_cmp_eq_u32_e32 vcc, v5, v6
	v_add_u32_e32 v5, 5, v44
	v_cndmask_b32_e64 v27, v29, 0, vcc
	v_cndmask_b32_sdwa v14, v20, v14, vcc dst_sel:DWORD dst_unused:UNUSED_PAD src0_sel:DWORD src1_sel:WORD_1
	v_mov_b32_e32 v39, 0
	v_cmp_gt_u32_e32 vcc, s7, v5
	s_mov_b64 s[22:23], 0
	v_mov_b32_e32 v38, 0
	v_mov_b32_e32 v36, 0
	;; [unrolled: 1-line block ×14, first 2 shown]
                                        ; implicit-def: $sgpr8_sgpr9
                                        ; implicit-def: $vgpr32
	s_and_saveexec_b64 s[20:21], vcc
	s_cbranch_execz .LBB101_70
; %bb.53:
	v_mov_b32_e32 v5, s54
	v_cmp_eq_u32_e32 vcc, v6, v7
	v_cndmask_b32_e32 v26, v5, v15, vcc
	v_add_u32_e32 v5, 6, v44
	v_mov_b32_e32 v38, 0
	v_cndmask_b32_e64 v29, v29, 0, vcc
	v_cmp_gt_u32_e32 vcc, s7, v5
	s_mov_b64 s[24:25], 0
	v_mov_b32_e32 v36, 0
	v_mov_b32_e32 v35, 0
	;; [unrolled: 1-line block ×12, first 2 shown]
                                        ; implicit-def: $sgpr8_sgpr9
                                        ; implicit-def: $vgpr32
	s_and_saveexec_b64 s[22:23], vcc
	s_cbranch_execz .LBB101_69
; %bb.54:
	v_mov_b32_e32 v6, s54
	v_cmp_eq_u32_e32 vcc, v7, v8
	v_mov_b32_e32 v5, 0x10000
	v_cndmask_b32_sdwa v15, v6, v15, vcc dst_sel:DWORD dst_unused:UNUSED_PAD src0_sel:DWORD src1_sel:WORD_1
	v_add_u32_e32 v6, 7, v44
	v_cndmask_b32_e64 v7, v5, 0, vcc
	v_mov_b32_e32 v36, 0
	v_cmp_gt_u32_e32 vcc, s7, v6
	s_mov_b64 s[26:27], 0
	v_mov_b32_e32 v35, 0
	v_mov_b32_e32 v34, 0
	;; [unrolled: 1-line block ×10, first 2 shown]
                                        ; implicit-def: $sgpr8_sgpr9
                                        ; implicit-def: $vgpr32
	s_and_saveexec_b64 s[24:25], vcc
	s_cbranch_execz .LBB101_68
; %bb.55:
	v_cmp_eq_u32_e32 vcc, v8, v1
	v_mov_b32_e32 v6, s54
	v_cndmask_b32_e64 v24, v5, 0, vcc
	v_add_u32_e32 v5, 8, v44
	v_cndmask_b32_e32 v8, v6, v16, vcc
	v_mov_b32_e32 v35, 0
	v_cmp_gt_u32_e32 vcc, s7, v5
	s_mov_b64 s[28:29], 0
	v_mov_b32_e32 v34, 0
	v_mov_b32_e32 v33, 0
	;; [unrolled: 1-line block ×8, first 2 shown]
                                        ; implicit-def: $sgpr8_sgpr9
                                        ; implicit-def: $vgpr32
	s_and_saveexec_b64 s[26:27], vcc
	s_cbranch_execz .LBB101_67
; %bb.56:
	v_mov_b32_e32 v5, s54
	v_cmp_eq_u32_e32 vcc, v1, v2
	v_mov_b32_e32 v23, 0x10000
	v_cndmask_b32_sdwa v16, v5, v16, vcc dst_sel:DWORD dst_unused:UNUSED_PAD src0_sel:DWORD src1_sel:WORD_1
	v_add_u32_e32 v5, 9, v44
	v_cndmask_b32_e64 v1, v23, 0, vcc
	v_mov_b32_e32 v34, 0
	v_cmp_gt_u32_e32 vcc, s7, v5
	s_mov_b64 s[30:31], 0
	v_mov_b32_e32 v33, 0
	v_mov_b32_e32 v31, 0
	;; [unrolled: 1-line block ×6, first 2 shown]
                                        ; implicit-def: $sgpr8_sgpr9
                                        ; implicit-def: $vgpr32
	s_and_saveexec_b64 s[28:29], vcc
	s_cbranch_execz .LBB101_66
; %bb.57:
	ds_read_b64 v[5:6], v45 offset:18
	v_mov_b32_e32 v20, s54
	v_cmp_eq_u32_e32 vcc, v2, v3
	v_mov_b32_e32 v33, 0
	v_cndmask_b32_e64 v22, v23, 0, vcc
	s_waitcnt lgkmcnt(0)
	v_cndmask_b32_e32 v2, v20, v5, vcc
	v_add_u32_e32 v20, 10, v44
	v_cmp_gt_u32_e32 vcc, s7, v20
	s_mov_b64 s[34:35], 0
	v_mov_b32_e32 v31, 0
	v_mov_b32_e32 v30, 0
	;; [unrolled: 1-line block ×4, first 2 shown]
                                        ; implicit-def: $sgpr8_sgpr9
                                        ; implicit-def: $vgpr32
	s_and_saveexec_b64 s[30:31], vcc
	s_cbranch_execz .LBB101_65
; %bb.58:
	v_mov_b32_e32 v20, s54
	v_cmp_eq_u32_e32 vcc, v3, v4
	v_mov_b32_e32 v21, 0x10000
	v_cndmask_b32_sdwa v5, v20, v5, vcc dst_sel:DWORD dst_unused:UNUSED_PAD src0_sel:DWORD src1_sel:WORD_1
	v_add_u32_e32 v20, 11, v44
	v_cndmask_b32_e64 v3, v21, 0, vcc
	v_mov_b32_e32 v31, 0
	v_cmp_gt_u32_e32 vcc, s7, v20
	s_mov_b64 s[40:41], 0
	v_mov_b32_e32 v30, 0
	v_mov_b32_e32 v20, 0
                                        ; implicit-def: $sgpr8_sgpr9
                                        ; implicit-def: $vgpr32
	s_and_saveexec_b64 s[34:35], vcc
	s_cbranch_execz .LBB101_64
; %bb.59:
	v_mov_b32_e32 v20, s54
	v_cmp_eq_u32_e32 vcc, v4, v18
	v_cndmask_b32_e32 v4, v20, v6, vcc
	v_cndmask_b32_e64 v20, v21, 0, vcc
	v_add_u32_e32 v21, 12, v44
	v_mov_b32_e32 v30, 0
	v_cmp_gt_u32_e32 vcc, s7, v21
	s_mov_b64 s[42:43], 0
                                        ; implicit-def: $sgpr8_sgpr9
                                        ; implicit-def: $vgpr32
	s_and_saveexec_b64 s[40:41], vcc
	s_cbranch_execz .LBB101_63
; %bb.60:
	v_mov_b32_e32 v21, s54
	v_cmp_eq_u32_e32 vcc, v18, v19
	v_mov_b32_e32 v23, 0x10000
	v_cndmask_b32_sdwa v6, v21, v6, vcc dst_sel:DWORD dst_unused:UNUSED_PAD src0_sel:DWORD src1_sel:WORD_1
	v_add_u32_e32 v21, 13, v44
	v_cndmask_b32_e64 v18, v23, 0, vcc
	v_cmp_gt_u32_e32 vcc, s7, v21
                                        ; implicit-def: $sgpr8_sgpr9
                                        ; implicit-def: $vgpr32
	s_and_saveexec_b64 s[52:53], vcc
	s_xor_b64 s[52:53], exec, s[52:53]
	s_cbranch_execz .LBB101_62
; %bb.61:
	ds_read_u16 v21, v45 offset:26
	v_mov_b32_e32 v23, s54
	v_cmp_ne_u32_e64 s[8:9], v19, v40
	s_mov_b64 s[42:43], exec
	s_waitcnt lgkmcnt(0)
	v_cndmask_b32_e64 v32, v21, v23, s[8:9]
.LBB101_62:
	s_or_b64 exec, exec, s[52:53]
	v_or_b32_sdwa v30, v18, v6 dst_sel:DWORD dst_unused:UNUSED_PAD src0_sel:DWORD src1_sel:WORD_0
	s_and_b64 s[42:43], s[42:43], exec
.LBB101_63:
	s_or_b64 exec, exec, s[40:41]
	v_or_b32_sdwa v31, v20, v4 dst_sel:DWORD dst_unused:UNUSED_PAD src0_sel:DWORD src1_sel:WORD_0
	s_and_b64 s[40:41], s[42:43], exec
	v_mov_b32_e32 v20, v30
.LBB101_64:
	s_or_b64 exec, exec, s[34:35]
	v_or_b32_sdwa v33, v3, v5 dst_sel:DWORD dst_unused:UNUSED_PAD src0_sel:DWORD src1_sel:WORD_0
	s_and_b64 s[34:35], s[40:41], exec
	v_mov_b32_e32 v21, v31
.LBB101_65:
	s_or_b64 exec, exec, s[30:31]
	v_or_b32_sdwa v34, v22, v2 dst_sel:DWORD dst_unused:UNUSED_PAD src0_sel:DWORD src1_sel:WORD_0
	s_and_b64 s[30:31], s[34:35], exec
	v_mov_b32_e32 v22, v33
.LBB101_66:
	s_or_b64 exec, exec, s[28:29]
	v_or_b32_sdwa v35, v1, v16 dst_sel:DWORD dst_unused:UNUSED_PAD src0_sel:DWORD src1_sel:WORD_0
	s_and_b64 s[28:29], s[30:31], exec
	v_mov_b32_e32 v23, v34
.LBB101_67:
	s_or_b64 exec, exec, s[26:27]
	v_or_b32_sdwa v36, v24, v8 dst_sel:DWORD dst_unused:UNUSED_PAD src0_sel:DWORD src1_sel:WORD_0
	s_and_b64 s[26:27], s[28:29], exec
	v_mov_b32_e32 v24, v35
.LBB101_68:
	s_or_b64 exec, exec, s[24:25]
	v_or_b32_sdwa v38, v7, v15 dst_sel:DWORD dst_unused:UNUSED_PAD src0_sel:DWORD src1_sel:WORD_0
	s_and_b64 s[24:25], s[26:27], exec
	v_mov_b32_e32 v25, v36
.LBB101_69:
	s_or_b64 exec, exec, s[22:23]
	v_or_b32_sdwa v39, v29, v26 dst_sel:DWORD dst_unused:UNUSED_PAD src0_sel:DWORD src1_sel:WORD_0
	s_and_b64 s[22:23], s[24:25], exec
	v_mov_b32_e32 v26, v38
.LBB101_70:
	s_or_b64 exec, exec, s[20:21]
	v_or_b32_sdwa v41, v27, v14 dst_sel:DWORD dst_unused:UNUSED_PAD src0_sel:DWORD src1_sel:WORD_0
	s_and_b64 s[20:21], s[22:23], exec
	v_mov_b32_e32 v27, v39
.LBB101_71:
	s_or_b64 exec, exec, s[18:19]
	v_or_b32_sdwa v42, v28, v12 dst_sel:DWORD dst_unused:UNUSED_PAD src0_sel:DWORD src1_sel:WORD_0
	s_and_b64 s[18:19], s[20:21], exec
	v_mov_b32_e32 v28, v41
.LBB101_72:
	s_or_b64 exec, exec, s[16:17]
	v_or_b32_sdwa v43, v11, v13 dst_sel:DWORD dst_unused:UNUSED_PAD src0_sel:DWORD src1_sel:WORD_0
	s_and_b64 s[16:17], s[18:19], exec
	v_mov_b32_e32 v29, v42
.LBB101_73:
	s_or_b64 exec, exec, s[14:15]
	v_or_b32_sdwa v37, v37, v10 dst_sel:DWORD dst_unused:UNUSED_PAD src0_sel:DWORD src1_sel:WORD_0
	s_and_b64 s[14:15], s[16:17], exec
	v_mov_b32_e32 v13, v43
.LBB101_74:
	s_or_b64 exec, exec, s[12:13]
	v_or_b32_sdwa v17, v17, v9 dst_sel:DWORD dst_unused:UNUSED_PAD src0_sel:DWORD src1_sel:WORD_0
	s_and_b64 s[12:13], s[14:15], exec
	v_mov_b32_e32 v14, v37
.LBB101_75:
	s_or_b64 exec, exec, s[10:11]
	s_and_b64 vcc, exec, s[2:3]
	s_cbranch_vccnz .LBB101_77
	s_branch .LBB101_82
.LBB101_76:
	s_mov_b64 s[12:13], 0
                                        ; implicit-def: $sgpr8_sgpr9
                                        ; implicit-def: $vgpr17
                                        ; implicit-def: $vgpr37
                                        ; implicit-def: $vgpr43
                                        ; implicit-def: $vgpr42
                                        ; implicit-def: $vgpr41
                                        ; implicit-def: $vgpr39
                                        ; implicit-def: $vgpr38
                                        ; implicit-def: $vgpr36
                                        ; implicit-def: $vgpr35
                                        ; implicit-def: $vgpr34
                                        ; implicit-def: $vgpr33
                                        ; implicit-def: $vgpr31
                                        ; implicit-def: $vgpr30
                                        ; implicit-def: $vgpr32
                                        ; implicit-def: $vgpr14
                                        ; implicit-def: $vgpr13
                                        ; implicit-def: $vgpr29
                                        ; implicit-def: $vgpr28
                                        ; implicit-def: $vgpr27
                                        ; implicit-def: $vgpr26
                                        ; implicit-def: $vgpr25
                                        ; implicit-def: $vgpr24
                                        ; implicit-def: $vgpr23
                                        ; implicit-def: $vgpr22
                                        ; implicit-def: $vgpr21
                                        ; implicit-def: $vgpr20
	s_and_b64 vcc, exec, s[2:3]
	s_cbranch_vccz .LBB101_82
.LBB101_77:
	v_lshlrev_b32_e32 v5, 2, v0
	v_mov_b32_e32 v1, s51
	v_add_co_u32_e32 v3, vcc, s50, v5
	v_addc_co_u32_e32 v4, vcc, 0, v1, vcc
	v_add_co_u32_e32 v1, vcc, 0x1000, v3
	v_addc_co_u32_e32 v2, vcc, 0, v4, vcc
	global_load_dword v6, v5, s[50:51]
	global_load_dword v7, v5, s[50:51] offset:1024
	global_load_dword v8, v5, s[50:51] offset:2048
	;; [unrolled: 1-line block ×3, first 2 shown]
	global_load_dword v10, v[1:2], off
	global_load_dword v11, v[1:2], off offset:1024
	global_load_dword v12, v[1:2], off offset:2048
	;; [unrolled: 1-line block ×3, first 2 shown]
	v_add_co_u32_e32 v1, vcc, 0x2000, v3
	v_addc_co_u32_e32 v2, vcc, 0, v4, vcc
	v_add_co_u32_e32 v3, vcc, 0x3000, v3
	v_addc_co_u32_e32 v4, vcc, 0, v4, vcc
	global_load_dword v15, v[1:2], off
	global_load_dword v16, v[1:2], off offset:1024
	global_load_dword v17, v[1:2], off offset:2048
	;; [unrolled: 1-line block ×3, first 2 shown]
	global_load_dword v19, v[3:4], off
	global_load_dword v20, v[3:4], off offset:1024
	s_movk_i32 s2, 0xffcc
	v_mad_u32_u24 v21, v0, 52, v5
	v_mad_i32_i24 v13, v0, s2, v21
	s_movk_i32 s3, 0xff
	s_movk_i32 s7, 0x1000
	v_cmp_ne_u32_e32 vcc, s3, v0
	s_waitcnt vmcnt(12)
	ds_write2st64_b32 v5, v6, v7 offset1:4
	s_waitcnt vmcnt(10)
	ds_write2st64_b32 v5, v8, v9 offset0:8 offset1:12
	s_waitcnt vmcnt(8)
	ds_write2st64_b32 v5, v10, v11 offset0:16 offset1:20
	s_waitcnt vmcnt(6)
	ds_write2st64_b32 v5, v12, v14 offset0:24 offset1:28
	s_waitcnt vmcnt(4)
	ds_write2st64_b32 v5, v15, v16 offset0:32 offset1:36
	s_waitcnt vmcnt(2)
	ds_write2st64_b32 v5, v17, v18 offset0:40 offset1:44
	s_waitcnt vmcnt(0)
	ds_write2st64_b32 v5, v19, v20 offset0:48 offset1:52
	s_waitcnt lgkmcnt(0)
	s_barrier
	ds_read2_b64 v[9:12], v21 offset1:1
	ds_read2_b64 v[5:8], v21 offset0:2 offset1:3
	ds_read2_b64 v[1:4], v21 offset0:4 offset1:5
	ds_read_b64 v[18:19], v21 offset:48
	s_load_dword s2, s[50:51], 0x3800
	s_waitcnt lgkmcnt(0)
	ds_write_b32 v13, v9 offset:15360
	s_waitcnt lgkmcnt(0)
	s_barrier
	v_mov_b32_e32 v22, s2
	s_and_saveexec_b64 s[2:3], vcc
; %bb.78:
	ds_read_b32 v22, v13 offset:15364
; %bb.79:
	s_or_b64 exec, exec, s[2:3]
	v_lshlrev_b32_e32 v16, 1, v0
	v_mov_b32_e32 v14, s49
	v_add_co_u32_e32 v15, vcc, s48, v16
	v_addc_co_u32_e32 v17, vcc, 0, v14, vcc
	v_add_co_u32_e32 v14, vcc, s7, v15
	v_addc_co_u32_e32 v15, vcc, 0, v17, vcc
	s_waitcnt lgkmcnt(0)
	s_barrier
	global_load_ushort v20, v16, s[48:49]
	global_load_ushort v21, v16, s[48:49] offset:512
	global_load_ushort v23, v16, s[48:49] offset:1024
	;; [unrolled: 1-line block ×7, first 2 shown]
	global_load_ushort v29, v[14:15], off
	global_load_ushort v30, v[14:15], off offset:512
	global_load_ushort v31, v[14:15], off offset:1024
	;; [unrolled: 1-line block ×5, first 2 shown]
	v_sub_u32_e32 v17, v13, v16
	v_mad_u32_u24 v35, v0, 26, v17
	v_cmp_eq_u32_e32 vcc, v9, v10
	v_mov_b32_e32 v9, 0x10000
	s_waitcnt vmcnt(13)
	ds_write_b16 v17, v20
	s_waitcnt vmcnt(12)
	ds_write_b16 v17, v21 offset:512
	s_waitcnt vmcnt(11)
	ds_write_b16 v17, v23 offset:1024
	;; [unrolled: 2-line block ×13, first 2 shown]
	s_waitcnt lgkmcnt(0)
	s_barrier
	ds_read_b128 v[13:16], v35 offset:2
	ds_read_b64 v[20:21], v35 offset:18
	ds_read_u16 v23, v35 offset:26
	v_mov_b32_e32 v24, s54
	v_mov_b32_e32 v25, 0x10000
	s_and_saveexec_b64 s[2:3], vcc
; %bb.80:
	v_mul_u32_u24_e32 v24, 26, v0
	v_add_u32_e32 v17, v17, v24
	ds_read_u16 v24, v17
	v_mov_b32_e32 v25, 0
; %bb.81:
	s_or_b64 exec, exec, s[2:3]
	s_waitcnt lgkmcnt(0)
	v_or_b32_sdwa v17, v25, v24 dst_sel:DWORD dst_unused:UNUSED_PAD src0_sel:DWORD src1_sel:WORD_0
	v_mov_b32_e32 v24, s54
	v_cmp_eq_u32_e32 vcc, v10, v11
	v_cndmask_b32_e32 v10, v24, v13, vcc
	v_cndmask_b32_e64 v25, v9, 0, vcc
	v_cmp_eq_u32_e32 vcc, v11, v12
	v_or_b32_sdwa v37, v25, v10 dst_sel:DWORD dst_unused:UNUSED_PAD src0_sel:DWORD src1_sel:WORD_0
	v_cndmask_b32_e64 v10, v9, 0, vcc
	v_cndmask_b32_sdwa v11, v24, v13, vcc dst_sel:DWORD dst_unused:UNUSED_PAD src0_sel:DWORD src1_sel:WORD_1
	v_cmp_eq_u32_e32 vcc, v12, v5
	v_or_b32_sdwa v43, v10, v11 dst_sel:DWORD dst_unused:UNUSED_PAD src0_sel:DWORD src1_sel:WORD_0
	v_cndmask_b32_e32 v10, v24, v14, vcc
	v_cndmask_b32_e64 v11, v9, 0, vcc
	v_cmp_eq_u32_e32 vcc, v5, v6
	v_or_b32_sdwa v42, v11, v10 dst_sel:DWORD dst_unused:UNUSED_PAD src0_sel:DWORD src1_sel:WORD_0
	v_cndmask_b32_e64 v5, v9, 0, vcc
	v_cndmask_b32_sdwa v10, v24, v14, vcc dst_sel:DWORD dst_unused:UNUSED_PAD src0_sel:DWORD src1_sel:WORD_1
	v_cmp_eq_u32_e32 vcc, v6, v7
	v_or_b32_sdwa v41, v5, v10 dst_sel:DWORD dst_unused:UNUSED_PAD src0_sel:DWORD src1_sel:WORD_0
	;; [unrolled: 8-line block ×5, first 2 shown]
	v_cndmask_b32_e32 v1, v24, v21, vcc
	v_cndmask_b32_e64 v2, v9, 0, vcc
	v_cmp_eq_u32_e32 vcc, v18, v19
	v_or_b32_sdwa v31, v2, v1 dst_sel:DWORD dst_unused:UNUSED_PAD src0_sel:DWORD src1_sel:WORD_0
	v_cndmask_b32_e64 v1, v9, 0, vcc
	v_cndmask_b32_sdwa v2, v24, v21, vcc dst_sel:DWORD dst_unused:UNUSED_PAD src0_sel:DWORD src1_sel:WORD_1
	v_or_b32_sdwa v30, v1, v2 dst_sel:DWORD dst_unused:UNUSED_PAD src0_sel:DWORD src1_sel:WORD_0
	v_cmp_ne_u32_e64 s[8:9], v19, v22
	v_cndmask_b32_e64 v32, v23, v24, s[8:9]
	s_mov_b64 s[12:13], -1
	v_mov_b32_e32 v14, v37
	v_mov_b32_e32 v13, v43
	;; [unrolled: 1-line block ×12, first 2 shown]
.LBB101_82:
	v_mov_b32_e32 v15, 0
	s_and_saveexec_b64 s[2:3], s[12:13]
	s_cbranch_execz .LBB101_84
; %bb.83:
	v_mov_b32_e32 v1, 0x10000
	v_cndmask_b32_e64 v1, 0, v1, s[8:9]
	v_or_b32_sdwa v15, v1, v32 dst_sel:DWORD dst_unused:UNUSED_PAD src0_sel:DWORD src1_sel:WORD_0
	v_mov_b32_e32 v20, v30
	v_mov_b32_e32 v21, v31
	;; [unrolled: 1-line block ×12, first 2 shown]
.LBB101_84:
	s_or_b64 exec, exec, s[2:3]
	s_cmp_lg_u32 s6, 0
	s_barrier
	s_cbranch_scc0 .LBB101_362
; %bb.85:
	s_mov_b32 s2, 0x10000
	v_cmp_gt_u32_e64 s[2:3], s2, v14
	v_mov_b32_e32 v1, v14
	s_and_saveexec_b64 s[8:9], s[2:3]
	s_cbranch_execz .LBB101_91
; %bb.86:
	v_lshlrev_b32_e32 v1, 16, v17
	v_lshlrev_b32_e32 v2, 16, v14
	v_add_f32_e32 v1, v2, v1
	s_mov_b32 s7, 0x7f800000
	v_and_b32_e32 v2, 0x7f800000, v1
	v_cmp_ne_u32_e32 vcc, s7, v2
                                        ; implicit-def: $vgpr2
	s_and_saveexec_b64 s[10:11], vcc
	s_xor_b64 s[10:11], exec, s[10:11]
; %bb.87:
	v_bfe_u32 v2, v1, 16, 1
	s_movk_i32 s7, 0x7fff
	v_add3_u32 v2, v1, v2, s7
                                        ; implicit-def: $vgpr1
; %bb.88:
	s_andn2_saveexec_b64 s[10:11], s[10:11]
; %bb.89:
	v_mov_b32_e32 v2, 0
	v_or_b32_e32 v3, 0x10000, v1
	v_cmp_eq_u32_sdwa vcc, v1, v2 src0_sel:WORD_0 src1_sel:DWORD
	v_cndmask_b32_e32 v2, v3, v1, vcc
; %bb.90:
	s_or_b64 exec, exec, s[10:11]
	v_lshrrev_b32_e32 v1, 16, v2
.LBB101_91:
	s_or_b64 exec, exec, s[8:9]
	s_mov_b32 s7, 0x10000
	v_cmp_gt_u32_e64 s[30:31], s7, v13
	v_mov_b32_e32 v2, v13
	s_and_saveexec_b64 s[8:9], s[30:31]
	s_cbranch_execz .LBB101_97
; %bb.92:
	v_lshlrev_b32_e32 v1, 16, v1
	v_lshlrev_b32_e32 v2, 16, v13
	v_add_f32_e32 v1, v2, v1
	s_mov_b32 s7, 0x7f800000
	v_and_b32_e32 v2, 0x7f800000, v1
	v_cmp_ne_u32_e32 vcc, s7, v2
                                        ; implicit-def: $vgpr2
	s_and_saveexec_b64 s[10:11], vcc
	s_xor_b64 s[10:11], exec, s[10:11]
; %bb.93:
	v_bfe_u32 v2, v1, 16, 1
	s_movk_i32 s7, 0x7fff
	v_add3_u32 v2, v1, v2, s7
                                        ; implicit-def: $vgpr1
; %bb.94:
	s_andn2_saveexec_b64 s[10:11], s[10:11]
; %bb.95:
	v_mov_b32_e32 v2, 0
	v_or_b32_e32 v3, 0x10000, v1
	v_cmp_eq_u32_sdwa vcc, v1, v2 src0_sel:WORD_0 src1_sel:DWORD
	v_cndmask_b32_e32 v2, v3, v1, vcc
; %bb.96:
	s_or_b64 exec, exec, s[10:11]
	v_lshrrev_b32_e32 v2, 16, v2
.LBB101_97:
	s_or_b64 exec, exec, s[8:9]
	;; [unrolled: 32-line block ×12, first 2 shown]
	s_mov_b32 s7, 0x10000
	v_cmp_gt_u32_e32 vcc, s7, v15
	v_mov_b32_e32 v3, v15
	s_and_saveexec_b64 s[28:29], vcc
	s_cbranch_execz .LBB101_163
; %bb.158:
	v_lshlrev_b32_e32 v1, 16, v2
	v_lshlrev_b32_e32 v2, 16, v15
	v_add_f32_e32 v1, v2, v1
	s_mov_b32 s7, 0x7f800000
	v_and_b32_e32 v2, 0x7f800000, v1
	v_cmp_ne_u32_e32 vcc, s7, v2
                                        ; implicit-def: $vgpr2
	s_and_saveexec_b64 s[34:35], vcc
	s_xor_b64 s[34:35], exec, s[34:35]
; %bb.159:
	v_bfe_u32 v2, v1, 16, 1
	s_movk_i32 s7, 0x7fff
	v_add3_u32 v2, v1, v2, s7
                                        ; implicit-def: $vgpr1
; %bb.160:
	s_andn2_saveexec_b64 s[34:35], s[34:35]
; %bb.161:
	v_mov_b32_e32 v2, 0
	v_or_b32_e32 v3, 0x10000, v1
	v_cmp_eq_u32_sdwa vcc, v1, v2 src0_sel:WORD_0 src1_sel:DWORD
	v_cndmask_b32_e32 v2, v3, v1, vcc
; %bb.162:
	s_or_b64 exec, exec, s[34:35]
	v_lshrrev_b32_e32 v3, 16, v2
.LBB101_163:
	s_or_b64 exec, exec, s[28:29]
	v_or_b32_e32 v2, v25, v24
	v_or3_b32 v2, v2, v26, v27
	v_or_b32_e32 v1, v21, v20
	v_or3_b32 v2, v2, v28, v29
	v_or3_b32 v1, v1, v22, v23
	;; [unrolled: 1-line block ×4, first 2 shown]
	v_and_b32_e32 v1, 0xff0000, v1
	v_and_b32_e32 v4, 0x10000, v17
	v_mov_b32_e32 v2, 0x10000
	v_cmp_eq_u32_e32 vcc, 0, v1
	v_cndmask_b32_e32 v5, v2, v4, vcc
	v_or_b32_sdwa v1, v3, v5 dst_sel:DWORD dst_unused:UNUSED_PAD src0_sel:WORD_0 src1_sel:DWORD
	v_cmp_eq_u32_e32 vcc, 0, v5
	v_mov_b32_e32 v4, v3
	v_mov_b32_dpp v6, v1 row_shr:1 row_mask:0xf bank_mask:0xf
	s_and_saveexec_b64 s[28:29], vcc
	s_xor_b64 s[28:29], exec, s[28:29]
	s_cbranch_execz .LBB101_169
; %bb.164:
	v_mov_b32_e32 v4, 16
	v_lshlrev_b32_e32 v2, 16, v6
	v_lshlrev_b32_sdwa v4, v4, v3 dst_sel:DWORD dst_unused:UNUSED_PAD src0_sel:DWORD src1_sel:WORD_0
	v_add_f32_e32 v2, v4, v2
	s_mov_b32 s7, 0x7f800000
	v_and_b32_e32 v4, 0x7f800000, v2
	v_cmp_ne_u32_e32 vcc, s7, v4
                                        ; implicit-def: $vgpr4
	s_and_saveexec_b64 s[34:35], vcc
	s_xor_b64 s[34:35], exec, s[34:35]
; %bb.165:
	v_bfe_u32 v4, v2, 16, 1
	s_movk_i32 s7, 0x7fff
	v_add3_u32 v4, v2, v4, s7
                                        ; implicit-def: $vgpr2
; %bb.166:
	s_andn2_saveexec_b64 s[34:35], s[34:35]
; %bb.167:
	v_mov_b32_e32 v4, 0
	v_or_b32_e32 v7, 0x10000, v2
	v_cmp_eq_u32_sdwa vcc, v2, v4 src0_sel:WORD_0 src1_sel:DWORD
	v_cndmask_b32_e32 v4, v7, v2, vcc
; %bb.168:
	s_or_b64 exec, exec, s[34:35]
	v_lshrrev_b32_e32 v4, 16, v4
.LBB101_169:
	s_or_b64 exec, exec, s[28:29]
	v_and_b32_e32 v8, 0x10000, v5
	v_mov_b32_e32 v9, 1
	v_mbcnt_lo_u32_b32 v2, -1, 0
	v_and_b32_sdwa v6, v6, v9 dst_sel:DWORD dst_unused:UNUSED_PAD src0_sel:WORD_1 src1_sel:DWORD
	v_cmp_ne_u32_e32 vcc, 0, v8
	v_mbcnt_hi_u32_b32 v2, -1, v2
	v_cndmask_b32_e64 v6, v6, 1, vcc
	v_and_b32_e32 v7, 15, v2
	v_lshlrev_b32_e32 v8, 16, v6
	v_or_b32_sdwa v8, v8, v4 dst_sel:DWORD dst_unused:UNUSED_PAD src0_sel:DWORD src1_sel:WORD_0
	v_cmp_eq_u32_e32 vcc, 0, v7
	v_cndmask_b32_e32 v1, v8, v1, vcc
	s_mov_b32 s7, 0x10000
	v_cmp_gt_u32_e64 s[28:29], s7, v1
	v_mov_b32_dpp v8, v1 row_shr:2 row_mask:0xf bank_mask:0xf
	v_mov_b32_e32 v9, v1
	s_and_saveexec_b64 s[34:35], s[28:29]
	s_cbranch_execz .LBB101_175
; %bb.170:
	v_lshlrev_b32_e32 v9, 16, v8
	v_lshlrev_b32_e32 v10, 16, v1
	v_add_f32_e32 v9, v9, v10
	s_mov_b32 s7, 0x7f800000
	v_and_b32_e32 v10, 0x7f800000, v9
	v_cmp_ne_u32_e64 s[28:29], s7, v10
                                        ; implicit-def: $vgpr10
	s_and_saveexec_b64 s[40:41], s[28:29]
	s_xor_b64 s[28:29], exec, s[40:41]
; %bb.171:
	v_bfe_u32 v10, v9, 16, 1
	s_movk_i32 s7, 0x7fff
	v_add3_u32 v10, v9, v10, s7
                                        ; implicit-def: $vgpr9
; %bb.172:
	s_andn2_saveexec_b64 s[40:41], s[28:29]
; %bb.173:
	v_mov_b32_e32 v10, 0
	v_or_b32_e32 v11, 0x10000, v9
	v_cmp_eq_u32_sdwa s[28:29], v9, v10 src0_sel:WORD_0 src1_sel:DWORD
	v_cndmask_b32_e64 v10, v11, v9, s[28:29]
; %bb.174:
	s_or_b64 exec, exec, s[40:41]
	v_lshrrev_b32_e32 v9, 16, v10
.LBB101_175:
	s_or_b64 exec, exec, s[34:35]
	v_cndmask_b32_e32 v4, v4, v3, vcc
	v_cndmask_b32_sdwa v3, v6, v5, vcc dst_sel:DWORD dst_unused:UNUSED_PAD src0_sel:DWORD src1_sel:WORD_1
	v_lshrrev_b32_e32 v5, 16, v1
	v_cmp_lt_u32_e32 vcc, 1, v7
	v_mov_b32_e32 v6, v1
	s_and_saveexec_b64 s[28:29], vcc
	s_cbranch_execz .LBB101_177
; %bb.176:
	v_and_b32_e32 v1, 0x10000, v1
	v_mov_b32_e32 v3, 1
	v_and_b32_sdwa v3, v8, v3 dst_sel:DWORD dst_unused:UNUSED_PAD src0_sel:WORD_1 src1_sel:DWORD
	v_cmp_ne_u32_e32 vcc, 0, v1
	v_cndmask_b32_e64 v3, v3, 1, vcc
	v_lshlrev_b32_e32 v1, 16, v3
	v_or_b32_sdwa v6, v1, v9 dst_sel:DWORD dst_unused:UNUSED_PAD src0_sel:DWORD src1_sel:WORD_0
	v_mov_b32_e32 v4, v9
	v_mov_b32_e32 v5, v3
	;; [unrolled: 1-line block ×3, first 2 shown]
.LBB101_177:
	s_or_b64 exec, exec, s[28:29]
	v_mov_b32_dpp v8, v6 row_shr:4 row_mask:0xf bank_mask:0xf
	v_cmp_eq_u16_e32 vcc, 0, v5
	v_mov_b32_e32 v9, v1
	s_and_saveexec_b64 s[28:29], vcc
	s_cbranch_execz .LBB101_183
; %bb.178:
	v_lshlrev_b32_e32 v9, 16, v8
	v_lshlrev_b32_e32 v10, 16, v1
	v_add_f32_e32 v9, v10, v9
	s_mov_b32 s7, 0x7f800000
	v_and_b32_e32 v10, 0x7f800000, v9
	v_cmp_ne_u32_e32 vcc, s7, v10
                                        ; implicit-def: $vgpr10
	s_and_saveexec_b64 s[34:35], vcc
	s_xor_b64 s[34:35], exec, s[34:35]
; %bb.179:
	v_bfe_u32 v10, v9, 16, 1
	s_movk_i32 s7, 0x7fff
	v_add3_u32 v10, v9, v10, s7
                                        ; implicit-def: $vgpr9
; %bb.180:
	s_andn2_saveexec_b64 s[34:35], s[34:35]
; %bb.181:
	v_mov_b32_e32 v10, 0
	v_or_b32_e32 v11, 0x10000, v9
	v_cmp_eq_u32_sdwa vcc, v9, v10 src0_sel:WORD_0 src1_sel:DWORD
	v_cndmask_b32_e32 v10, v11, v9, vcc
; %bb.182:
	s_or_b64 exec, exec, s[34:35]
	v_lshrrev_b32_e32 v9, 16, v10
.LBB101_183:
	s_or_b64 exec, exec, s[28:29]
	v_cmp_lt_u32_e32 vcc, 3, v7
	s_and_saveexec_b64 s[28:29], vcc
	s_cbranch_execz .LBB101_185
; %bb.184:
	v_and_b32_e32 v1, 1, v5
	v_mov_b32_e32 v3, 1
	v_and_b32_sdwa v3, v8, v3 dst_sel:DWORD dst_unused:UNUSED_PAD src0_sel:WORD_1 src1_sel:DWORD
	v_cmp_eq_u32_e32 vcc, 1, v1
	v_cndmask_b32_e64 v3, v3, 1, vcc
	v_lshlrev_b32_e32 v1, 16, v3
	v_or_b32_sdwa v6, v1, v9 dst_sel:DWORD dst_unused:UNUSED_PAD src0_sel:DWORD src1_sel:WORD_0
	v_mov_b32_e32 v4, v9
	v_mov_b32_e32 v5, v3
	;; [unrolled: 1-line block ×3, first 2 shown]
.LBB101_185:
	s_or_b64 exec, exec, s[28:29]
	v_mov_b32_dpp v8, v6 row_shr:8 row_mask:0xf bank_mask:0xf
	v_cmp_eq_u16_e32 vcc, 0, v5
	v_mov_b32_e32 v9, v1
	s_and_saveexec_b64 s[28:29], vcc
	s_cbranch_execz .LBB101_191
; %bb.186:
	v_lshlrev_b32_e32 v9, 16, v8
	v_lshlrev_b32_e32 v10, 16, v1
	v_add_f32_e32 v9, v10, v9
	s_mov_b32 s7, 0x7f800000
	v_and_b32_e32 v10, 0x7f800000, v9
	v_cmp_ne_u32_e32 vcc, s7, v10
                                        ; implicit-def: $vgpr10
	s_and_saveexec_b64 s[34:35], vcc
	s_xor_b64 s[34:35], exec, s[34:35]
; %bb.187:
	v_bfe_u32 v10, v9, 16, 1
	s_movk_i32 s7, 0x7fff
	v_add3_u32 v10, v9, v10, s7
                                        ; implicit-def: $vgpr9
; %bb.188:
	s_andn2_saveexec_b64 s[34:35], s[34:35]
; %bb.189:
	v_mov_b32_e32 v10, 0
	v_or_b32_e32 v11, 0x10000, v9
	v_cmp_eq_u32_sdwa vcc, v9, v10 src0_sel:WORD_0 src1_sel:DWORD
	v_cndmask_b32_e32 v10, v11, v9, vcc
; %bb.190:
	s_or_b64 exec, exec, s[34:35]
	v_lshrrev_b32_e32 v9, 16, v10
.LBB101_191:
	s_or_b64 exec, exec, s[28:29]
	v_cmp_lt_u32_e32 vcc, 7, v7
	s_and_saveexec_b64 s[28:29], vcc
	s_cbranch_execz .LBB101_193
; %bb.192:
	v_and_b32_e32 v1, 1, v5
	v_mov_b32_e32 v3, 1
	v_and_b32_sdwa v3, v8, v3 dst_sel:DWORD dst_unused:UNUSED_PAD src0_sel:WORD_1 src1_sel:DWORD
	v_cmp_eq_u32_e32 vcc, 1, v1
	v_cndmask_b32_e64 v3, v3, 1, vcc
	v_lshlrev_b32_e32 v1, 16, v3
	v_or_b32_sdwa v6, v1, v9 dst_sel:DWORD dst_unused:UNUSED_PAD src0_sel:DWORD src1_sel:WORD_0
	v_mov_b32_e32 v4, v9
	v_mov_b32_e32 v5, v3
	;; [unrolled: 1-line block ×3, first 2 shown]
.LBB101_193:
	s_or_b64 exec, exec, s[28:29]
	v_mov_b32_dpp v7, v6 row_bcast:15 row_mask:0xf bank_mask:0xf
	v_cmp_eq_u16_e32 vcc, 0, v5
	v_mov_b32_e32 v8, v1
	s_and_saveexec_b64 s[28:29], vcc
	s_cbranch_execz .LBB101_199
; %bb.194:
	v_lshlrev_b32_e32 v8, 16, v7
	v_lshlrev_b32_e32 v9, 16, v1
	v_add_f32_e32 v8, v9, v8
	s_mov_b32 s7, 0x7f800000
	v_and_b32_e32 v9, 0x7f800000, v8
	v_cmp_ne_u32_e32 vcc, s7, v9
                                        ; implicit-def: $vgpr9
	s_and_saveexec_b64 s[34:35], vcc
	s_xor_b64 s[34:35], exec, s[34:35]
; %bb.195:
	v_bfe_u32 v9, v8, 16, 1
	s_movk_i32 s7, 0x7fff
	v_add3_u32 v9, v8, v9, s7
                                        ; implicit-def: $vgpr8
; %bb.196:
	s_andn2_saveexec_b64 s[34:35], s[34:35]
; %bb.197:
	v_mov_b32_e32 v9, 0
	v_or_b32_e32 v10, 0x10000, v8
	v_cmp_eq_u32_sdwa vcc, v8, v9 src0_sel:WORD_0 src1_sel:DWORD
	v_cndmask_b32_e32 v9, v10, v8, vcc
; %bb.198:
	s_or_b64 exec, exec, s[34:35]
	v_lshrrev_b32_e32 v8, 16, v9
.LBB101_199:
	s_or_b64 exec, exec, s[28:29]
	v_and_b32_e32 v9, 16, v2
	v_cmp_ne_u32_e32 vcc, 0, v9
	s_and_saveexec_b64 s[28:29], vcc
	s_cbranch_execz .LBB101_201
; %bb.200:
	v_and_b32_e32 v1, 1, v5
	v_mov_b32_e32 v3, 1
	v_and_b32_sdwa v3, v7, v3 dst_sel:DWORD dst_unused:UNUSED_PAD src0_sel:WORD_1 src1_sel:DWORD
	v_cmp_eq_u32_e32 vcc, 1, v1
	v_cndmask_b32_e64 v3, v3, 1, vcc
	v_lshlrev_b32_e32 v1, 16, v3
	v_or_b32_sdwa v6, v1, v8 dst_sel:DWORD dst_unused:UNUSED_PAD src0_sel:DWORD src1_sel:WORD_0
	v_mov_b32_e32 v4, v8
	v_mov_b32_e32 v5, v3
	;; [unrolled: 1-line block ×3, first 2 shown]
.LBB101_201:
	s_or_b64 exec, exec, s[28:29]
	v_mov_b32_dpp v6, v6 row_bcast:31 row_mask:0xf bank_mask:0xf
	v_cmp_eq_u16_e32 vcc, 0, v5
	s_and_saveexec_b64 s[28:29], vcc
	s_cbranch_execz .LBB101_207
; %bb.202:
	v_lshlrev_b32_e32 v7, 16, v6
	v_lshlrev_b32_e32 v1, 16, v1
	v_add_f32_e32 v1, v1, v7
	s_mov_b32 s7, 0x7f800000
	v_and_b32_e32 v7, 0x7f800000, v1
	v_cmp_ne_u32_e32 vcc, s7, v7
                                        ; implicit-def: $vgpr7
	s_and_saveexec_b64 s[34:35], vcc
	s_xor_b64 s[34:35], exec, s[34:35]
; %bb.203:
	v_bfe_u32 v7, v1, 16, 1
	s_movk_i32 s7, 0x7fff
	v_add3_u32 v7, v1, v7, s7
                                        ; implicit-def: $vgpr1
; %bb.204:
	s_andn2_saveexec_b64 s[34:35], s[34:35]
; %bb.205:
	v_mov_b32_e32 v7, 0
	v_or_b32_e32 v8, 0x10000, v1
	v_cmp_eq_u32_sdwa vcc, v1, v7 src0_sel:WORD_0 src1_sel:DWORD
	v_cndmask_b32_e32 v7, v8, v1, vcc
; %bb.206:
	s_or_b64 exec, exec, s[34:35]
	v_lshrrev_b32_e32 v1, 16, v7
.LBB101_207:
	s_or_b64 exec, exec, s[28:29]
	v_and_b32_e32 v5, 1, v5
	v_mov_b32_e32 v7, 1
	v_and_b32_sdwa v6, v6, v7 dst_sel:DWORD dst_unused:UNUSED_PAD src0_sel:WORD_1 src1_sel:DWORD
	v_cmp_eq_u32_e32 vcc, 1, v5
	v_cndmask_b32_e64 v5, v6, 1, vcc
	v_cmp_lt_u32_e32 vcc, 31, v2
	v_cndmask_b32_e32 v4, v4, v1, vcc
	v_cndmask_b32_e32 v1, v3, v5, vcc
	v_lshrrev_b32_e32 v3, 6, v0
	v_or_b32_e32 v5, 63, v0
	v_cmp_eq_u32_e32 vcc, v0, v5
	v_lshlrev_b32_e32 v3, 2, v3
	s_and_saveexec_b64 s[28:29], vcc
	s_cbranch_execz .LBB101_209
; %bb.208:
	ds_write_b16 v3, v4
	ds_write_b8 v3, v1 offset:2
.LBB101_209:
	s_or_b64 exec, exec, s[28:29]
	v_cmp_gt_u32_e32 vcc, 4, v0
	s_waitcnt lgkmcnt(0)
	s_barrier
	s_and_saveexec_b64 s[28:29], vcc
	s_cbranch_execz .LBB101_225
; %bb.210:
	v_lshlrev_b32_e32 v5, 2, v0
	ds_read_b32 v6, v5
	v_mov_b32_e32 v8, 0
	s_waitcnt lgkmcnt(0)
	v_lshrrev_b32_e32 v7, 16, v6
	v_mov_b32_dpp v9, v6 row_shr:1 row_mask:0xf bank_mask:0xf
	v_cmp_eq_u16_sdwa s[40:41], v7, v8 src0_sel:BYTE_0 src1_sel:DWORD
	v_mov_b32_e32 v11, v6
	s_and_saveexec_b64 s[34:35], s[40:41]
	s_cbranch_execz .LBB101_216
; %bb.211:
	v_lshlrev_b32_e32 v8, 16, v9
	v_lshlrev_b32_e32 v10, 16, v6
	v_add_f32_e32 v8, v10, v8
	s_mov_b32 s7, 0x7f800000
	v_and_b32_e32 v10, 0x7f800000, v8
	v_cmp_ne_u32_e32 vcc, s7, v10
                                        ; implicit-def: $vgpr10
	s_and_saveexec_b64 s[40:41], vcc
	s_xor_b64 s[40:41], exec, s[40:41]
; %bb.212:
	v_bfe_u32 v10, v8, 16, 1
	s_movk_i32 s7, 0x7fff
	v_add3_u32 v10, v8, v10, s7
                                        ; implicit-def: $vgpr8
; %bb.213:
	s_andn2_saveexec_b64 s[40:41], s[40:41]
; %bb.214:
	v_mov_b32_e32 v10, 0
	v_or_b32_e32 v11, 0x10000, v8
	v_cmp_eq_u32_sdwa vcc, v8, v10 src0_sel:WORD_0 src1_sel:DWORD
	v_cndmask_b32_e32 v10, v11, v8, vcc
; %bb.215:
	s_or_b64 exec, exec, s[40:41]
	v_lshrrev_b32_e32 v11, 16, v10
.LBB101_216:
	s_or_b64 exec, exec, s[34:35]
	v_and_b32_e32 v8, 3, v2
	v_cmp_ne_u32_e32 vcc, 0, v8
	v_mov_b32_e32 v10, v6
	s_and_saveexec_b64 s[34:35], vcc
	s_cbranch_execz .LBB101_218
; %bb.217:
	v_and_b32_e32 v10, 0xff000000, v6
	v_and_b32_e32 v6, 0x10000, v6
	v_mov_b32_e32 v7, 1
	v_and_b32_sdwa v7, v9, v7 dst_sel:DWORD dst_unused:UNUSED_PAD src0_sel:WORD_1 src1_sel:DWORD
	v_cmp_ne_u32_e32 vcc, 0, v6
	v_cndmask_b32_e64 v7, v7, 1, vcc
	v_lshlrev_b32_e32 v6, 16, v7
	v_and_b32_e32 v9, 0xffff, v11
	v_or3_b32 v10, v6, v10, v9
	v_mov_b32_e32 v6, v11
.LBB101_218:
	s_or_b64 exec, exec, s[34:35]
	v_and_b32_e32 v11, 0xff0000, v10
	v_mov_b32_dpp v9, v10 row_shr:2 row_mask:0xf bank_mask:0xf
	v_cmp_eq_u32_e32 vcc, 0, v11
	v_mov_b32_e32 v11, v10
	s_and_saveexec_b64 s[34:35], vcc
	s_cbranch_execz .LBB101_224
; %bb.219:
	v_lshlrev_b32_e32 v11, 16, v9
	v_lshlrev_b32_e32 v12, 16, v10
	v_add_f32_e32 v11, v12, v11
	s_mov_b32 s7, 0x7f800000
	v_and_b32_e32 v12, 0x7f800000, v11
	v_cmp_ne_u32_e32 vcc, s7, v12
                                        ; implicit-def: $vgpr12
	s_and_saveexec_b64 s[40:41], vcc
	s_xor_b64 s[40:41], exec, s[40:41]
; %bb.220:
	v_bfe_u32 v12, v11, 16, 1
	s_movk_i32 s7, 0x7fff
	v_add3_u32 v12, v11, v12, s7
                                        ; implicit-def: $vgpr11
; %bb.221:
	s_andn2_saveexec_b64 s[40:41], s[40:41]
; %bb.222:
	v_mov_b32_e32 v12, 0
	v_or_b32_e32 v16, 0x10000, v11
	v_cmp_eq_u32_sdwa vcc, v11, v12 src0_sel:WORD_0 src1_sel:DWORD
	v_cndmask_b32_e32 v12, v16, v11, vcc
; %bb.223:
	s_or_b64 exec, exec, s[40:41]
	v_lshrrev_b32_e32 v11, 16, v12
.LBB101_224:
	s_or_b64 exec, exec, s[34:35]
	v_and_b32_e32 v10, 0x10000, v10
	v_mov_b32_e32 v12, 1
	v_and_b32_sdwa v9, v9, v12 dst_sel:DWORD dst_unused:UNUSED_PAD src0_sel:WORD_1 src1_sel:DWORD
	v_cmp_eq_u32_e32 vcc, 0, v10
	v_cndmask_b32_e32 v9, 1, v9, vcc
	v_cmp_lt_u32_e32 vcc, 1, v8
	v_cndmask_b32_e32 v6, v6, v11, vcc
	v_cndmask_b32_e32 v7, v7, v9, vcc
	ds_write_b16 v5, v6
	ds_write_b8 v5, v7 offset:2
.LBB101_225:
	s_or_b64 exec, exec, s[28:29]
	v_cmp_gt_u32_e32 vcc, 64, v0
	v_cmp_lt_u32_e64 s[28:29], 63, v0
	v_mov_b32_e32 v11, 0
	v_mov_b32_e32 v12, 0
	s_waitcnt lgkmcnt(0)
	s_barrier
	s_and_saveexec_b64 s[34:35], s[28:29]
	s_cbranch_execz .LBB101_233
; %bb.226:
	v_add_u32_e32 v5, -4, v3
	v_add_u32_e32 v3, -2, v3
	ds_read_u16 v12, v5
	ds_read_u8 v11, v3
	v_cmp_eq_u16_e64 s[28:29], 0, v1
	s_and_saveexec_b64 s[40:41], s[28:29]
	s_cbranch_execz .LBB101_232
; %bb.227:
	s_waitcnt lgkmcnt(1)
	v_lshlrev_b32_e32 v3, 16, v12
	v_lshlrev_b32_e32 v4, 16, v4
	v_add_f32_e32 v3, v4, v3
	s_mov_b32 s7, 0x7f800000
	v_and_b32_e32 v4, 0x7f800000, v3
	v_cmp_ne_u32_e64 s[28:29], s7, v4
                                        ; implicit-def: $vgpr4
	s_and_saveexec_b64 s[42:43], s[28:29]
	s_xor_b64 s[28:29], exec, s[42:43]
; %bb.228:
	v_bfe_u32 v4, v3, 16, 1
	s_movk_i32 s7, 0x7fff
	v_add3_u32 v4, v3, v4, s7
                                        ; implicit-def: $vgpr3
; %bb.229:
	s_andn2_saveexec_b64 s[42:43], s[28:29]
; %bb.230:
	v_mov_b32_e32 v4, 0
	v_or_b32_e32 v5, 0x10000, v3
	v_cmp_eq_u32_sdwa s[28:29], v3, v4 src0_sel:WORD_0 src1_sel:DWORD
	v_cndmask_b32_e64 v4, v5, v3, s[28:29]
; %bb.231:
	s_or_b64 exec, exec, s[42:43]
	v_lshrrev_b32_e32 v4, 16, v4
.LBB101_232:
	s_or_b64 exec, exec, s[40:41]
	v_and_b32_e32 v1, 1, v1
	v_cmp_eq_u32_e64 s[28:29], 1, v1
	s_waitcnt lgkmcnt(0)
	v_cndmask_b32_e64 v1, v11, 1, s[28:29]
.LBB101_233:
	s_or_b64 exec, exec, s[34:35]
	v_and_b32_e32 v1, 0xff, v1
	v_and_b32_e32 v3, 0xffff, v4
	v_lshl_or_b32 v1, v1, 16, v3
	v_subrev_co_u32_e64 v3, s[28:29], 1, v2
	v_and_b32_e32 v4, 64, v2
	v_cmp_lt_i32_e64 s[34:35], v3, v4
	v_cndmask_b32_e64 v3, v3, v2, s[34:35]
	v_lshlrev_b32_e32 v3, 2, v3
	ds_bpermute_b32 v18, v3, v1
	s_and_saveexec_b64 s[34:35], vcc
	s_cbranch_execz .LBB101_373
; %bb.234:
	v_mov_b32_e32 v5, 0
	ds_read_b32 v1, v5 offset:12
	s_waitcnt lgkmcnt(0)
	v_readfirstlane_b32 s7, v1
	s_and_saveexec_b64 s[40:41], s[28:29]
	s_cbranch_execz .LBB101_236
; %bb.235:
	s_add_i32 s42, s6, 64
	s_mov_b32 s43, 0
	s_lshl_b64 s[42:43], s[42:43], 3
	s_add_u32 s42, s36, s42
	v_mov_b32_e32 v3, s7
	v_mov_b32_e32 v4, 1
	s_addc_u32 s43, s37, s43
	global_store_dwordx2 v5, v[3:4], s[42:43]
.LBB101_236:
	s_or_b64 exec, exec, s[40:41]
	v_xad_u32 v1, v2, -1, s6
	v_add_u32_e32 v4, 64, v1
	v_lshlrev_b64 v[3:4], 3, v[4:5]
	v_mov_b32_e32 v6, s37
	v_add_co_u32_e32 v9, vcc, s36, v3
	v_addc_co_u32_e32 v10, vcc, v6, v4, vcc
	global_load_dwordx2 v[3:4], v[9:10], off glc
	s_waitcnt vmcnt(0)
	v_mov_b32_e32 v8, v4
	v_cmp_eq_u16_sdwa s[42:43], v4, v5 src0_sel:BYTE_0 src1_sel:DWORD
	v_mov_b32_e32 v7, v3
	s_and_saveexec_b64 s[40:41], s[42:43]
	s_cbranch_execz .LBB101_240
; %bb.237:
	s_mov_b64 s[42:43], 0
	v_mov_b32_e32 v5, 0
.LBB101_238:                            ; =>This Inner Loop Header: Depth=1
	global_load_dwordx2 v[3:4], v[9:10], off glc
	s_waitcnt vmcnt(0)
	v_cmp_ne_u16_sdwa s[48:49], v4, v5 src0_sel:BYTE_0 src1_sel:DWORD
	s_or_b64 s[42:43], s[48:49], s[42:43]
	s_andn2_b64 exec, exec, s[42:43]
	s_cbranch_execnz .LBB101_238
; %bb.239:
	s_or_b64 exec, exec, s[42:43]
	v_mov_b32_e32 v8, v4
	v_mov_b32_e32 v7, v3
.LBB101_240:
	s_or_b64 exec, exec, s[40:41]
	v_mov_b32_e32 v3, 2
	v_lshlrev_b64 v[5:6], v2, -1
	v_cmp_eq_u16_sdwa s[40:41], v4, v3 src0_sel:BYTE_0 src1_sel:DWORD
	v_and_b32_e32 v3, s41, v6
	v_or_b32_e32 v3, 0x80000000, v3
	v_and_b32_e32 v8, s40, v5
	v_ffbl_b32_e32 v3, v3
	v_and_b32_e32 v34, 63, v2
	v_add_u32_e32 v3, 32, v3
	v_ffbl_b32_e32 v8, v8
	v_cmp_ne_u32_e32 vcc, 63, v34
	v_min_u32_e32 v3, v8, v3
	v_addc_co_u32_e32 v8, vcc, 0, v2, vcc
	v_and_b32_e32 v36, 0xffffff, v7
	v_lshlrev_b32_e32 v9, 2, v8
	ds_bpermute_b32 v16, v9, v36
	v_add_u32_e32 v10, 1, v2
	v_lshrrev_b32_e32 v42, 16, v7
	v_cmp_le_u32_e32 vcc, v10, v3
	v_bfe_u32 v8, v7, 16, 8
	s_and_saveexec_b64 s[40:41], vcc
	s_cbranch_execz .LBB101_248
; %bb.241:
	v_and_b32_e32 v8, 0xff0000, v7
	v_cmp_eq_u32_e32 vcc, 0, v8
	s_and_saveexec_b64 s[42:43], vcc
	s_cbranch_execz .LBB101_247
; %bb.242:
	s_waitcnt lgkmcnt(0)
	v_lshlrev_b32_e32 v19, 16, v16
	v_lshlrev_b32_e32 v7, 16, v7
	v_add_f32_e32 v7, v7, v19
	s_mov_b32 s39, 0x7f800000
	v_and_b32_e32 v19, 0x7f800000, v7
	v_cmp_ne_u32_e32 vcc, s39, v19
                                        ; implicit-def: $vgpr19
	s_and_saveexec_b64 s[48:49], vcc
	s_xor_b64 s[48:49], exec, s[48:49]
; %bb.243:
	v_bfe_u32 v19, v7, 16, 1
	s_movk_i32 s39, 0x7fff
	v_add3_u32 v19, v7, v19, s39
                                        ; implicit-def: $vgpr7
; %bb.244:
	s_andn2_saveexec_b64 s[48:49], s[48:49]
; %bb.245:
	v_mov_b32_e32 v19, 0
	v_or_b32_e32 v30, 0x10000, v7
	v_cmp_eq_u32_sdwa vcc, v7, v19 src0_sel:WORD_0 src1_sel:DWORD
	v_cndmask_b32_e32 v19, v30, v7, vcc
; %bb.246:
	s_or_b64 exec, exec, s[48:49]
	v_lshrrev_b32_e32 v7, 16, v19
.LBB101_247:
	s_or_b64 exec, exec, s[42:43]
	v_and_b32_e32 v8, 0x10000, v8
	v_mov_b32_e32 v19, 1
	s_waitcnt lgkmcnt(0)
	v_and_b32_sdwa v16, v16, v19 dst_sel:DWORD dst_unused:UNUSED_PAD src0_sel:WORD_1 src1_sel:DWORD
	v_cmp_ne_u32_e32 vcc, 0, v8
	v_cndmask_b32_e64 v8, v16, 1, vcc
	v_lshlrev_b32_e32 v16, 16, v8
	v_or_b32_sdwa v36, v16, v7 dst_sel:DWORD dst_unused:UNUSED_PAD src0_sel:DWORD src1_sel:WORD_0
	v_mov_b32_e32 v42, v8
.LBB101_248:
	s_or_b64 exec, exec, s[40:41]
	v_cmp_gt_u32_e32 vcc, 62, v34
	s_waitcnt lgkmcnt(0)
	v_cndmask_b32_e64 v16, 0, 2, vcc
	v_add_lshl_u32 v16, v16, v2, 2
	ds_bpermute_b32 v30, v16, v36
	v_add_u32_e32 v19, 2, v2
	v_cmp_le_u32_e32 vcc, v19, v3
	s_and_saveexec_b64 s[40:41], vcc
	s_cbranch_execz .LBB101_256
; %bb.249:
	v_cmp_eq_u16_e32 vcc, 0, v8
	s_and_saveexec_b64 s[42:43], vcc
	s_cbranch_execz .LBB101_255
; %bb.250:
	s_waitcnt lgkmcnt(0)
	v_lshlrev_b32_e32 v31, 16, v30
	v_lshlrev_b32_e32 v7, 16, v7
	v_add_f32_e32 v7, v7, v31
	s_mov_b32 s39, 0x7f800000
	v_and_b32_e32 v31, 0x7f800000, v7
	v_cmp_ne_u32_e32 vcc, s39, v31
                                        ; implicit-def: $vgpr31
	s_and_saveexec_b64 s[48:49], vcc
	s_xor_b64 s[48:49], exec, s[48:49]
; %bb.251:
	v_bfe_u32 v31, v7, 16, 1
	s_movk_i32 s39, 0x7fff
	v_add3_u32 v31, v7, v31, s39
                                        ; implicit-def: $vgpr7
; %bb.252:
	s_andn2_saveexec_b64 s[48:49], s[48:49]
; %bb.253:
	v_mov_b32_e32 v31, 0
	v_or_b32_e32 v32, 0x10000, v7
	v_cmp_eq_u32_sdwa vcc, v7, v31 src0_sel:WORD_0 src1_sel:DWORD
	v_cndmask_b32_e32 v31, v32, v7, vcc
; %bb.254:
	s_or_b64 exec, exec, s[48:49]
	v_lshrrev_b32_e32 v7, 16, v31
.LBB101_255:
	s_or_b64 exec, exec, s[42:43]
	v_and_b32_e32 v8, 1, v8
	v_mov_b32_e32 v31, 1
	s_waitcnt lgkmcnt(0)
	v_and_b32_sdwa v30, v30, v31 dst_sel:DWORD dst_unused:UNUSED_PAD src0_sel:WORD_1 src1_sel:DWORD
	v_cmp_eq_u32_e32 vcc, 1, v8
	v_cndmask_b32_e64 v8, v30, 1, vcc
	v_lshlrev_b32_e32 v30, 16, v8
	v_or_b32_sdwa v36, v30, v7 dst_sel:DWORD dst_unused:UNUSED_PAD src0_sel:DWORD src1_sel:WORD_0
	v_mov_b32_e32 v42, v8
.LBB101_256:
	s_or_b64 exec, exec, s[40:41]
	v_cmp_gt_u32_e32 vcc, 60, v34
	s_waitcnt lgkmcnt(0)
	v_cndmask_b32_e64 v30, 0, 4, vcc
	v_add_lshl_u32 v30, v30, v2, 2
	ds_bpermute_b32 v32, v30, v36
	v_add_u32_e32 v31, 4, v2
	v_cmp_le_u32_e32 vcc, v31, v3
	s_and_saveexec_b64 s[40:41], vcc
	s_cbranch_execz .LBB101_264
; %bb.257:
	v_cmp_eq_u16_e32 vcc, 0, v8
	s_and_saveexec_b64 s[42:43], vcc
	s_cbranch_execz .LBB101_263
; %bb.258:
	s_waitcnt lgkmcnt(0)
	v_lshlrev_b32_e32 v33, 16, v32
	v_lshlrev_b32_e32 v7, 16, v7
	v_add_f32_e32 v7, v7, v33
	s_mov_b32 s39, 0x7f800000
	v_and_b32_e32 v33, 0x7f800000, v7
	v_cmp_ne_u32_e32 vcc, s39, v33
                                        ; implicit-def: $vgpr33
	s_and_saveexec_b64 s[48:49], vcc
	s_xor_b64 s[48:49], exec, s[48:49]
; %bb.259:
	v_bfe_u32 v33, v7, 16, 1
	s_movk_i32 s39, 0x7fff
	v_add3_u32 v33, v7, v33, s39
                                        ; implicit-def: $vgpr7
; %bb.260:
	s_andn2_saveexec_b64 s[48:49], s[48:49]
; %bb.261:
	v_mov_b32_e32 v33, 0
	v_or_b32_e32 v35, 0x10000, v7
	v_cmp_eq_u32_sdwa vcc, v7, v33 src0_sel:WORD_0 src1_sel:DWORD
	v_cndmask_b32_e32 v33, v35, v7, vcc
; %bb.262:
	s_or_b64 exec, exec, s[48:49]
	v_lshrrev_b32_e32 v7, 16, v33
.LBB101_263:
	s_or_b64 exec, exec, s[42:43]
	v_and_b32_e32 v8, 1, v8
	v_mov_b32_e32 v33, 1
	s_waitcnt lgkmcnt(0)
	v_and_b32_sdwa v32, v32, v33 dst_sel:DWORD dst_unused:UNUSED_PAD src0_sel:WORD_1 src1_sel:DWORD
	v_cmp_eq_u32_e32 vcc, 1, v8
	v_cndmask_b32_e64 v8, v32, 1, vcc
	v_lshlrev_b32_e32 v32, 16, v8
	v_or_b32_sdwa v36, v32, v7 dst_sel:DWORD dst_unused:UNUSED_PAD src0_sel:DWORD src1_sel:WORD_0
	v_mov_b32_e32 v42, v8
.LBB101_264:
	s_or_b64 exec, exec, s[40:41]
	v_cmp_gt_u32_e32 vcc, 56, v34
	s_waitcnt lgkmcnt(0)
	v_cndmask_b32_e64 v32, 0, 8, vcc
	v_add_lshl_u32 v32, v32, v2, 2
	ds_bpermute_b32 v35, v32, v36
	v_add_u32_e32 v33, 8, v2
	v_cmp_le_u32_e32 vcc, v33, v3
	s_and_saveexec_b64 s[40:41], vcc
	s_cbranch_execz .LBB101_272
; %bb.265:
	v_cmp_eq_u16_e32 vcc, 0, v8
	s_and_saveexec_b64 s[42:43], vcc
	s_cbranch_execz .LBB101_271
; %bb.266:
	s_waitcnt lgkmcnt(0)
	v_lshlrev_b32_e32 v36, 16, v35
	v_lshlrev_b32_e32 v7, 16, v7
	v_add_f32_e32 v7, v7, v36
	s_mov_b32 s39, 0x7f800000
	v_and_b32_e32 v36, 0x7f800000, v7
	v_cmp_ne_u32_e32 vcc, s39, v36
                                        ; implicit-def: $vgpr36
	s_and_saveexec_b64 s[48:49], vcc
	s_xor_b64 s[48:49], exec, s[48:49]
; %bb.267:
	v_bfe_u32 v36, v7, 16, 1
	s_movk_i32 s39, 0x7fff
	v_add3_u32 v36, v7, v36, s39
                                        ; implicit-def: $vgpr7
; %bb.268:
	s_andn2_saveexec_b64 s[48:49], s[48:49]
; %bb.269:
	v_mov_b32_e32 v36, 0
	v_or_b32_e32 v37, 0x10000, v7
	v_cmp_eq_u32_sdwa vcc, v7, v36 src0_sel:WORD_0 src1_sel:DWORD
	v_cndmask_b32_e32 v36, v37, v7, vcc
; %bb.270:
	s_or_b64 exec, exec, s[48:49]
	v_lshrrev_b32_e32 v7, 16, v36
.LBB101_271:
	s_or_b64 exec, exec, s[42:43]
	v_and_b32_e32 v8, 1, v8
	v_mov_b32_e32 v36, 1
	s_waitcnt lgkmcnt(0)
	v_and_b32_sdwa v35, v35, v36 dst_sel:DWORD dst_unused:UNUSED_PAD src0_sel:WORD_1 src1_sel:DWORD
	v_cmp_eq_u32_e32 vcc, 1, v8
	v_cndmask_b32_e64 v8, v35, 1, vcc
	v_lshlrev_b32_e32 v35, 16, v8
	v_or_b32_sdwa v36, v35, v7 dst_sel:DWORD dst_unused:UNUSED_PAD src0_sel:DWORD src1_sel:WORD_0
	v_mov_b32_e32 v42, v8
.LBB101_272:
	s_or_b64 exec, exec, s[40:41]
	v_cmp_gt_u32_e32 vcc, 48, v34
	v_cndmask_b32_e64 v34, 0, 16, vcc
	v_add_lshl_u32 v34, v34, v2, 2
	ds_bpermute_b32 v37, v34, v36
	s_waitcnt lgkmcnt(1)
	v_add_u32_e32 v35, 16, v2
	v_cmp_le_u32_e32 vcc, v35, v3
	s_and_saveexec_b64 s[40:41], vcc
	s_cbranch_execz .LBB101_280
; %bb.273:
	v_cmp_eq_u16_e32 vcc, 0, v8
	s_and_saveexec_b64 s[42:43], vcc
	s_cbranch_execz .LBB101_279
; %bb.274:
	s_waitcnt lgkmcnt(0)
	v_lshlrev_b32_e32 v36, 16, v37
	v_lshlrev_b32_e32 v7, 16, v7
	v_add_f32_e32 v7, v7, v36
	s_mov_b32 s39, 0x7f800000
	v_and_b32_e32 v36, 0x7f800000, v7
	v_cmp_ne_u32_e32 vcc, s39, v36
                                        ; implicit-def: $vgpr36
	s_and_saveexec_b64 s[48:49], vcc
	s_xor_b64 s[48:49], exec, s[48:49]
; %bb.275:
	v_bfe_u32 v36, v7, 16, 1
	s_movk_i32 s39, 0x7fff
	v_add3_u32 v36, v7, v36, s39
                                        ; implicit-def: $vgpr7
; %bb.276:
	s_andn2_saveexec_b64 s[48:49], s[48:49]
; %bb.277:
	v_mov_b32_e32 v36, 0
	v_or_b32_e32 v38, 0x10000, v7
	v_cmp_eq_u32_sdwa vcc, v7, v36 src0_sel:WORD_0 src1_sel:DWORD
	v_cndmask_b32_e32 v36, v38, v7, vcc
; %bb.278:
	s_or_b64 exec, exec, s[48:49]
	v_lshrrev_b32_e32 v7, 16, v36
.LBB101_279:
	s_or_b64 exec, exec, s[42:43]
	v_and_b32_e32 v8, 1, v8
	v_mov_b32_e32 v36, 1
	s_waitcnt lgkmcnt(0)
	v_and_b32_sdwa v36, v37, v36 dst_sel:DWORD dst_unused:UNUSED_PAD src0_sel:WORD_1 src1_sel:DWORD
	v_cmp_eq_u32_e32 vcc, 1, v8
	v_cndmask_b32_e64 v8, v36, 1, vcc
	v_lshlrev_b32_e32 v36, 16, v8
	v_or_b32_sdwa v36, v36, v7 dst_sel:DWORD dst_unused:UNUSED_PAD src0_sel:DWORD src1_sel:WORD_0
	v_mov_b32_e32 v42, v8
.LBB101_280:
	s_or_b64 exec, exec, s[40:41]
	s_waitcnt lgkmcnt(0)
	v_mov_b32_e32 v37, 0x80
	v_lshl_or_b32 v38, v2, 2, v37
	ds_bpermute_b32 v36, v38, v36
	v_add_u32_e32 v39, 32, v2
	v_cmp_le_u32_e32 vcc, v39, v3
	s_and_saveexec_b64 s[40:41], vcc
	s_cbranch_execz .LBB101_288
; %bb.281:
	v_cmp_eq_u16_e32 vcc, 0, v8
	s_and_saveexec_b64 s[42:43], vcc
	s_cbranch_execz .LBB101_287
; %bb.282:
	s_waitcnt lgkmcnt(0)
	v_lshlrev_b32_e32 v2, 16, v36
	v_lshlrev_b32_e32 v3, 16, v7
	v_add_f32_e32 v2, v3, v2
	s_mov_b32 s39, 0x7f800000
	v_and_b32_e32 v3, 0x7f800000, v2
	v_cmp_ne_u32_e32 vcc, s39, v3
                                        ; implicit-def: $vgpr3
	s_and_saveexec_b64 s[48:49], vcc
	s_xor_b64 s[48:49], exec, s[48:49]
; %bb.283:
	v_bfe_u32 v3, v2, 16, 1
	s_movk_i32 s39, 0x7fff
	v_add3_u32 v3, v2, v3, s39
                                        ; implicit-def: $vgpr2
; %bb.284:
	s_andn2_saveexec_b64 s[48:49], s[48:49]
; %bb.285:
	v_mov_b32_e32 v3, 0
	v_or_b32_e32 v7, 0x10000, v2
	v_cmp_eq_u32_sdwa vcc, v2, v3 src0_sel:WORD_0 src1_sel:DWORD
	v_cndmask_b32_e32 v3, v7, v2, vcc
; %bb.286:
	s_or_b64 exec, exec, s[48:49]
	v_lshrrev_b32_e32 v7, 16, v3
.LBB101_287:
	s_or_b64 exec, exec, s[42:43]
	v_and_b32_e32 v2, 1, v8
	v_mov_b32_e32 v3, 1
	s_waitcnt lgkmcnt(0)
	v_and_b32_sdwa v3, v36, v3 dst_sel:DWORD dst_unused:UNUSED_PAD src0_sel:WORD_1 src1_sel:DWORD
	v_cmp_eq_u32_e32 vcc, 1, v2
	v_cndmask_b32_e64 v42, v3, 1, vcc
.LBB101_288:
	s_or_b64 exec, exec, s[40:41]
	v_mov_b32_e32 v2, 0
	s_mov_b32 s39, 0x7f800000
	s_movk_i32 s50, 0x7fff
	v_mov_b32_e32 v40, 2
	v_mov_b32_e32 v41, 1
	s_branch .LBB101_292
.LBB101_289:                            ;   in Loop: Header=BB101_292 Depth=1
	s_or_b64 exec, exec, s[42:43]
	v_lshrrev_b32_e32 v7, 16, v7
.LBB101_290:                            ;   in Loop: Header=BB101_292 Depth=1
	s_or_b64 exec, exec, s[40:41]
	v_and_b32_e32 v3, 1, v36
	v_and_b32_e32 v8, 1, v42
	v_cmp_eq_u32_e32 vcc, 1, v3
	v_subrev_u32_e32 v1, 64, v1
	v_cndmask_b32_e64 v42, v8, 1, vcc
	s_mov_b64 s[40:41], 0
.LBB101_291:                            ;   in Loop: Header=BB101_292 Depth=1
	s_and_b64 vcc, exec, s[40:41]
	s_cbranch_vccnz .LBB101_363
.LBB101_292:                            ; =>This Loop Header: Depth=1
                                        ;     Child Loop BB101_295 Depth 2
	v_cmp_ne_u16_sdwa s[40:41], v4, v40 src0_sel:BYTE_0 src1_sel:DWORD
	s_waitcnt lgkmcnt(0)
	v_mov_b32_e32 v36, v42
	v_mov_b32_e32 v37, v7
	s_cmp_lg_u64 s[40:41], exec
	s_mov_b64 s[40:41], -1
                                        ; implicit-def: $vgpr42
                                        ; implicit-def: $vgpr7
                                        ; implicit-def: $vgpr4
	s_cbranch_scc1 .LBB101_291
; %bb.293:                              ;   in Loop: Header=BB101_292 Depth=1
	v_lshlrev_b64 v[3:4], 3, v[1:2]
	v_mov_b32_e32 v8, s37
	v_add_co_u32_e32 v7, vcc, s36, v3
	v_addc_co_u32_e32 v8, vcc, v8, v4, vcc
	global_load_dwordx2 v[3:4], v[7:8], off glc
	s_waitcnt vmcnt(0)
	v_cmp_eq_u16_sdwa s[42:43], v4, v2 src0_sel:BYTE_0 src1_sel:DWORD
	s_and_saveexec_b64 s[40:41], s[42:43]
	s_cbranch_execz .LBB101_297
; %bb.294:                              ;   in Loop: Header=BB101_292 Depth=1
	s_mov_b64 s[42:43], 0
.LBB101_295:                            ;   Parent Loop BB101_292 Depth=1
                                        ; =>  This Inner Loop Header: Depth=2
	global_load_dwordx2 v[3:4], v[7:8], off glc
	s_waitcnt vmcnt(0)
	v_cmp_ne_u16_sdwa s[48:49], v4, v2 src0_sel:BYTE_0 src1_sel:DWORD
	s_or_b64 s[42:43], s[48:49], s[42:43]
	s_andn2_b64 exec, exec, s[42:43]
	s_cbranch_execnz .LBB101_295
; %bb.296:                              ;   in Loop: Header=BB101_292 Depth=1
	s_or_b64 exec, exec, s[42:43]
.LBB101_297:                            ;   in Loop: Header=BB101_292 Depth=1
	s_or_b64 exec, exec, s[40:41]
	v_cmp_eq_u16_sdwa s[40:41], v4, v40 src0_sel:BYTE_0 src1_sel:DWORD
	v_and_b32_e32 v7, s41, v6
	v_and_b32_e32 v43, 0xffffff, v3
	v_or_b32_e32 v7, 0x80000000, v7
	ds_bpermute_b32 v44, v9, v43
	v_and_b32_e32 v8, s40, v5
	v_ffbl_b32_e32 v7, v7
	v_add_u32_e32 v7, 32, v7
	v_ffbl_b32_e32 v8, v8
	v_min_u32_e32 v7, v8, v7
	v_lshrrev_b32_e32 v42, 16, v3
	v_cmp_le_u32_e32 vcc, v10, v7
	v_bfe_u32 v8, v3, 16, 8
	s_and_saveexec_b64 s[40:41], vcc
	s_cbranch_execz .LBB101_305
; %bb.298:                              ;   in Loop: Header=BB101_292 Depth=1
	v_and_b32_e32 v8, 0xff0000, v3
	v_cmp_eq_u32_e32 vcc, 0, v8
	s_and_saveexec_b64 s[42:43], vcc
	s_cbranch_execz .LBB101_304
; %bb.299:                              ;   in Loop: Header=BB101_292 Depth=1
	s_waitcnt lgkmcnt(0)
	v_lshlrev_b32_e32 v42, 16, v44
	v_lshlrev_b32_e32 v3, 16, v3
	v_add_f32_e32 v3, v3, v42
	v_and_b32_e32 v42, 0x7f800000, v3
	v_cmp_ne_u32_e32 vcc, s39, v42
                                        ; implicit-def: $vgpr42
	s_and_saveexec_b64 s[48:49], vcc
	s_xor_b64 s[48:49], exec, s[48:49]
; %bb.300:                              ;   in Loop: Header=BB101_292 Depth=1
	v_bfe_u32 v42, v3, 16, 1
	v_add3_u32 v42, v3, v42, s50
                                        ; implicit-def: $vgpr3
; %bb.301:                              ;   in Loop: Header=BB101_292 Depth=1
	s_andn2_saveexec_b64 s[48:49], s[48:49]
; %bb.302:                              ;   in Loop: Header=BB101_292 Depth=1
	v_or_b32_e32 v42, 0x10000, v3
	v_cmp_eq_u32_sdwa vcc, v3, v2 src0_sel:WORD_0 src1_sel:DWORD
	v_cndmask_b32_e32 v42, v42, v3, vcc
; %bb.303:                              ;   in Loop: Header=BB101_292 Depth=1
	s_or_b64 exec, exec, s[48:49]
	v_lshrrev_b32_e32 v3, 16, v42
.LBB101_304:                            ;   in Loop: Header=BB101_292 Depth=1
	s_or_b64 exec, exec, s[42:43]
	v_and_b32_e32 v8, 0x10000, v8
	s_waitcnt lgkmcnt(0)
	v_and_b32_sdwa v42, v44, v41 dst_sel:DWORD dst_unused:UNUSED_PAD src0_sel:WORD_1 src1_sel:DWORD
	v_cmp_ne_u32_e32 vcc, 0, v8
	v_cndmask_b32_e64 v8, v42, 1, vcc
	v_lshlrev_b32_e32 v42, 16, v8
	v_or_b32_sdwa v43, v42, v3 dst_sel:DWORD dst_unused:UNUSED_PAD src0_sel:DWORD src1_sel:WORD_0
	v_mov_b32_e32 v42, v8
.LBB101_305:                            ;   in Loop: Header=BB101_292 Depth=1
	s_or_b64 exec, exec, s[40:41]
	s_waitcnt lgkmcnt(0)
	ds_bpermute_b32 v44, v16, v43
	v_cmp_le_u32_e32 vcc, v19, v7
	s_and_saveexec_b64 s[40:41], vcc
	s_cbranch_execz .LBB101_313
; %bb.306:                              ;   in Loop: Header=BB101_292 Depth=1
	v_cmp_eq_u16_e32 vcc, 0, v8
	s_and_saveexec_b64 s[42:43], vcc
	s_cbranch_execz .LBB101_312
; %bb.307:                              ;   in Loop: Header=BB101_292 Depth=1
	s_waitcnt lgkmcnt(0)
	v_lshlrev_b32_e32 v42, 16, v44
	v_lshlrev_b32_e32 v3, 16, v3
	v_add_f32_e32 v3, v3, v42
	v_and_b32_e32 v42, 0x7f800000, v3
	v_cmp_ne_u32_e32 vcc, s39, v42
                                        ; implicit-def: $vgpr42
	s_and_saveexec_b64 s[48:49], vcc
	s_xor_b64 s[48:49], exec, s[48:49]
; %bb.308:                              ;   in Loop: Header=BB101_292 Depth=1
	v_bfe_u32 v42, v3, 16, 1
	v_add3_u32 v42, v3, v42, s50
                                        ; implicit-def: $vgpr3
; %bb.309:                              ;   in Loop: Header=BB101_292 Depth=1
	s_andn2_saveexec_b64 s[48:49], s[48:49]
; %bb.310:                              ;   in Loop: Header=BB101_292 Depth=1
	v_or_b32_e32 v42, 0x10000, v3
	v_cmp_eq_u32_sdwa vcc, v3, v2 src0_sel:WORD_0 src1_sel:DWORD
	v_cndmask_b32_e32 v42, v42, v3, vcc
; %bb.311:                              ;   in Loop: Header=BB101_292 Depth=1
	s_or_b64 exec, exec, s[48:49]
	v_lshrrev_b32_e32 v3, 16, v42
.LBB101_312:                            ;   in Loop: Header=BB101_292 Depth=1
	s_or_b64 exec, exec, s[42:43]
	v_and_b32_e32 v8, 1, v8
	s_waitcnt lgkmcnt(0)
	v_and_b32_sdwa v42, v44, v41 dst_sel:DWORD dst_unused:UNUSED_PAD src0_sel:WORD_1 src1_sel:DWORD
	v_cmp_eq_u32_e32 vcc, 1, v8
	v_cndmask_b32_e64 v8, v42, 1, vcc
	v_lshlrev_b32_e32 v42, 16, v8
	v_or_b32_sdwa v43, v42, v3 dst_sel:DWORD dst_unused:UNUSED_PAD src0_sel:DWORD src1_sel:WORD_0
	v_mov_b32_e32 v42, v8
.LBB101_313:                            ;   in Loop: Header=BB101_292 Depth=1
	s_or_b64 exec, exec, s[40:41]
	s_waitcnt lgkmcnt(0)
	ds_bpermute_b32 v44, v30, v43
	v_cmp_le_u32_e32 vcc, v31, v7
	s_and_saveexec_b64 s[40:41], vcc
	s_cbranch_execz .LBB101_321
; %bb.314:                              ;   in Loop: Header=BB101_292 Depth=1
	v_cmp_eq_u16_e32 vcc, 0, v8
	s_and_saveexec_b64 s[42:43], vcc
	s_cbranch_execz .LBB101_320
; %bb.315:                              ;   in Loop: Header=BB101_292 Depth=1
	s_waitcnt lgkmcnt(0)
	v_lshlrev_b32_e32 v42, 16, v44
	v_lshlrev_b32_e32 v3, 16, v3
	v_add_f32_e32 v3, v3, v42
	v_and_b32_e32 v42, 0x7f800000, v3
	v_cmp_ne_u32_e32 vcc, s39, v42
                                        ; implicit-def: $vgpr42
	s_and_saveexec_b64 s[48:49], vcc
	s_xor_b64 s[48:49], exec, s[48:49]
; %bb.316:                              ;   in Loop: Header=BB101_292 Depth=1
	v_bfe_u32 v42, v3, 16, 1
	v_add3_u32 v42, v3, v42, s50
                                        ; implicit-def: $vgpr3
; %bb.317:                              ;   in Loop: Header=BB101_292 Depth=1
	s_andn2_saveexec_b64 s[48:49], s[48:49]
; %bb.318:                              ;   in Loop: Header=BB101_292 Depth=1
	v_or_b32_e32 v42, 0x10000, v3
	v_cmp_eq_u32_sdwa vcc, v3, v2 src0_sel:WORD_0 src1_sel:DWORD
	v_cndmask_b32_e32 v42, v42, v3, vcc
; %bb.319:                              ;   in Loop: Header=BB101_292 Depth=1
	s_or_b64 exec, exec, s[48:49]
	v_lshrrev_b32_e32 v3, 16, v42
.LBB101_320:                            ;   in Loop: Header=BB101_292 Depth=1
	s_or_b64 exec, exec, s[42:43]
	v_and_b32_e32 v8, 1, v8
	s_waitcnt lgkmcnt(0)
	v_and_b32_sdwa v42, v44, v41 dst_sel:DWORD dst_unused:UNUSED_PAD src0_sel:WORD_1 src1_sel:DWORD
	v_cmp_eq_u32_e32 vcc, 1, v8
	v_cndmask_b32_e64 v8, v42, 1, vcc
	v_lshlrev_b32_e32 v42, 16, v8
	v_or_b32_sdwa v43, v42, v3 dst_sel:DWORD dst_unused:UNUSED_PAD src0_sel:DWORD src1_sel:WORD_0
	v_mov_b32_e32 v42, v8
.LBB101_321:                            ;   in Loop: Header=BB101_292 Depth=1
	;; [unrolled: 44-line block ×4, first 2 shown]
	s_or_b64 exec, exec, s[40:41]
	ds_bpermute_b32 v43, v38, v43
	v_cmp_le_u32_e32 vcc, v39, v7
	s_and_saveexec_b64 s[40:41], vcc
	s_cbranch_execz .LBB101_345
; %bb.338:                              ;   in Loop: Header=BB101_292 Depth=1
	v_cmp_eq_u16_e32 vcc, 0, v8
	s_and_saveexec_b64 s[42:43], vcc
	s_cbranch_execz .LBB101_344
; %bb.339:                              ;   in Loop: Header=BB101_292 Depth=1
	s_waitcnt lgkmcnt(0)
	v_lshlrev_b32_e32 v7, 16, v43
	v_lshlrev_b32_e32 v3, 16, v3
	v_add_f32_e32 v3, v3, v7
	v_and_b32_e32 v7, 0x7f800000, v3
	v_cmp_ne_u32_e32 vcc, s39, v7
                                        ; implicit-def: $vgpr7
	s_and_saveexec_b64 s[48:49], vcc
	s_xor_b64 s[48:49], exec, s[48:49]
; %bb.340:                              ;   in Loop: Header=BB101_292 Depth=1
	v_bfe_u32 v7, v3, 16, 1
	v_add3_u32 v7, v3, v7, s50
                                        ; implicit-def: $vgpr3
; %bb.341:                              ;   in Loop: Header=BB101_292 Depth=1
	s_andn2_saveexec_b64 s[48:49], s[48:49]
; %bb.342:                              ;   in Loop: Header=BB101_292 Depth=1
	v_or_b32_e32 v7, 0x10000, v3
	v_cmp_eq_u32_sdwa vcc, v3, v2 src0_sel:WORD_0 src1_sel:DWORD
	v_cndmask_b32_e32 v7, v7, v3, vcc
; %bb.343:                              ;   in Loop: Header=BB101_292 Depth=1
	s_or_b64 exec, exec, s[48:49]
	v_lshrrev_b32_e32 v3, 16, v7
.LBB101_344:                            ;   in Loop: Header=BB101_292 Depth=1
	s_or_b64 exec, exec, s[42:43]
	v_and_b32_e32 v7, 1, v8
	s_waitcnt lgkmcnt(0)
	v_lshrrev_b32_e32 v8, 16, v43
	v_cmp_eq_u32_e32 vcc, 1, v7
	v_cndmask_b32_e64 v42, v8, 1, vcc
.LBB101_345:                            ;   in Loop: Header=BB101_292 Depth=1
	s_or_b64 exec, exec, s[40:41]
	v_cmp_eq_u16_sdwa s[42:43], v36, v2 src0_sel:BYTE_0 src1_sel:DWORD
	v_mov_b32_e32 v7, v37
	s_and_saveexec_b64 s[40:41], s[42:43]
	s_cbranch_execz .LBB101_290
; %bb.346:                              ;   in Loop: Header=BB101_292 Depth=1
	v_lshlrev_b32_e32 v3, 16, v3
	v_lshlrev_b32_e32 v7, 16, v37
	v_add_f32_e32 v3, v7, v3
	v_and_b32_e32 v7, 0x7f800000, v3
	v_cmp_ne_u32_e32 vcc, s39, v7
                                        ; implicit-def: $vgpr7
	s_and_saveexec_b64 s[42:43], vcc
	s_xor_b64 s[42:43], exec, s[42:43]
; %bb.347:                              ;   in Loop: Header=BB101_292 Depth=1
	v_bfe_u32 v7, v3, 16, 1
	v_add3_u32 v7, v3, v7, s50
                                        ; implicit-def: $vgpr3
; %bb.348:                              ;   in Loop: Header=BB101_292 Depth=1
	s_andn2_saveexec_b64 s[42:43], s[42:43]
	s_cbranch_execz .LBB101_289
; %bb.349:                              ;   in Loop: Header=BB101_292 Depth=1
	v_or_b32_e32 v7, 0x10000, v3
	v_cmp_eq_u32_sdwa vcc, v3, v2 src0_sel:WORD_0 src1_sel:DWORD
	v_cndmask_b32_e32 v7, v7, v3, vcc
	s_branch .LBB101_289
.LBB101_350:
	s_or_b64 exec, exec, s[40:41]
                                        ; implicit-def: $vgpr20
	s_and_saveexec_b64 s[2:3], s[34:35]
	s_cbranch_execz .LBB101_33
.LBB101_351:
	global_load_ushort v20, v[13:14], off offset:512
	s_or_b64 exec, exec, s[2:3]
                                        ; implicit-def: $vgpr21
	s_and_saveexec_b64 s[2:3], s[8:9]
	s_cbranch_execnz .LBB101_34
.LBB101_352:
	s_or_b64 exec, exec, s[2:3]
                                        ; implicit-def: $vgpr22
	s_and_saveexec_b64 s[2:3], s[10:11]
	s_cbranch_execz .LBB101_35
.LBB101_353:
	global_load_ushort v22, v[13:14], off offset:1536
	s_or_b64 exec, exec, s[2:3]
                                        ; implicit-def: $vgpr23
	s_and_saveexec_b64 s[2:3], s[12:13]
	s_cbranch_execnz .LBB101_36
.LBB101_354:
	s_or_b64 exec, exec, s[2:3]
                                        ; implicit-def: $vgpr24
	s_and_saveexec_b64 s[2:3], s[14:15]
	s_cbranch_execz .LBB101_37
.LBB101_355:
	global_load_ushort v24, v[13:14], off offset:2560
	s_or_b64 exec, exec, s[2:3]
                                        ; implicit-def: $vgpr25
	s_and_saveexec_b64 s[2:3], s[16:17]
	s_cbranch_execnz .LBB101_38
.LBB101_356:
	s_or_b64 exec, exec, s[2:3]
                                        ; implicit-def: $vgpr26
	s_and_saveexec_b64 s[2:3], s[18:19]
	s_cbranch_execz .LBB101_39
.LBB101_357:
	global_load_ushort v26, v[13:14], off offset:3584
	s_or_b64 exec, exec, s[2:3]
                                        ; implicit-def: $vgpr27
	s_and_saveexec_b64 s[2:3], s[20:21]
	s_cbranch_execnz .LBB101_40
.LBB101_358:
	s_or_b64 exec, exec, s[2:3]
                                        ; implicit-def: $vgpr28
	s_and_saveexec_b64 s[2:3], s[22:23]
	s_cbranch_execz .LBB101_41
.LBB101_359:
	v_add_co_u32_e32 v28, vcc, 0x1000, v13
	v_addc_co_u32_e32 v29, vcc, 0, v14, vcc
	global_load_ushort v28, v[28:29], off offset:512
	s_or_b64 exec, exec, s[2:3]
                                        ; implicit-def: $vgpr29
	s_and_saveexec_b64 s[2:3], s[24:25]
	s_cbranch_execnz .LBB101_42
.LBB101_360:
	s_or_b64 exec, exec, s[2:3]
                                        ; implicit-def: $vgpr30
	s_and_saveexec_b64 s[2:3], s[26:27]
	s_cbranch_execz .LBB101_43
.LBB101_361:
	v_add_co_u32_e32 v30, vcc, 0x1000, v13
	v_addc_co_u32_e32 v31, vcc, 0, v14, vcc
	global_load_ushort v30, v[30:31], off offset:1536
	s_or_b64 exec, exec, s[2:3]
                                        ; implicit-def: $vgpr31
	s_and_saveexec_b64 s[2:3], s[28:29]
	s_cbranch_execz .LBB101_45
	s_branch .LBB101_44
.LBB101_362:
                                        ; implicit-def: $vgpr16
                                        ; implicit-def: $vgpr19
                                        ; implicit-def: $vgpr11_vgpr12
                                        ; implicit-def: $vgpr9_vgpr10
                                        ; implicit-def: $vgpr5_vgpr6
                                        ; implicit-def: $vgpr3_vgpr4
                                        ; implicit-def: $vgpr1_vgpr2
                                        ; implicit-def: $vgpr7_vgpr8
	s_cbranch_execnz .LBB101_460
	s_branch .LBB101_698
.LBB101_363:
	s_and_saveexec_b64 s[40:41], s[28:29]
	s_cbranch_execz .LBB101_371
; %bb.364:
	s_and_b32 s39, s7, 0xff0000
	s_cmp_lg_u32 s39, 0
	v_mov_b32_e32 v1, s7
	s_cbranch_scc1 .LBB101_370
; %bb.365:
	v_lshlrev_b32_e32 v1, 16, v37
	s_lshl_b32 s39, s7, 16
	v_add_f32_e32 v1, s39, v1
	s_mov_b32 s39, 0x7f800000
	v_and_b32_e32 v2, 0x7f800000, v1
	v_cmp_ne_u32_e32 vcc, s39, v2
                                        ; implicit-def: $vgpr2
	s_and_saveexec_b64 s[42:43], vcc
	s_xor_b64 s[42:43], exec, s[42:43]
; %bb.366:
	v_bfe_u32 v2, v1, 16, 1
	s_movk_i32 s39, 0x7fff
	v_add3_u32 v2, v1, v2, s39
                                        ; implicit-def: $vgpr1
; %bb.367:
	s_andn2_saveexec_b64 s[42:43], s[42:43]
; %bb.368:
	v_mov_b32_e32 v2, 0
	v_or_b32_e32 v3, 0x10000, v1
	v_cmp_eq_u32_sdwa vcc, v1, v2 src0_sel:WORD_0 src1_sel:DWORD
	v_cndmask_b32_e32 v2, v3, v1, vcc
; %bb.369:
	s_or_b64 exec, exec, s[42:43]
	v_lshrrev_b32_e32 v1, 16, v2
.LBB101_370:
	s_bitcmp0_b32 s7, 16
	s_mov_b32 s7, 0
	v_mov_b32_e32 v2, 1
	s_cselect_b64 vcc, -1, 0
	s_add_i32 s6, s6, 64
	v_and_b32_sdwa v2, v36, v2 dst_sel:WORD_1 dst_unused:UNUSED_PAD src0_sel:DWORD src1_sel:DWORD
	v_mov_b32_e32 v3, 0x10000
	s_lshl_b64 s[6:7], s[6:7], 3
	v_cndmask_b32_e32 v2, v3, v2, vcc
	s_mov_b32 s39, 0xffff
	s_add_u32 s6, s36, s6
	v_and_or_b32 v1, v1, s39, v2
	s_addc_u32 s7, s37, s7
	v_mov_b32_e32 v3, 0
	v_mov_b32_e32 v2, 2
	global_store_dwordx2 v3, v[1:2], s[6:7]
.LBB101_371:
	s_or_b64 exec, exec, s[40:41]
	v_cmp_eq_u32_e32 vcc, 0, v0
	s_and_b64 exec, exec, vcc
	s_cbranch_execz .LBB101_373
; %bb.372:
	v_mov_b32_e32 v1, 0
	ds_write_b16 v1, v37 offset:12
	ds_write_b8 v1, v36 offset:14
.LBB101_373:
	s_or_b64 exec, exec, s[34:35]
	v_mov_b32_e32 v2, 0
	s_waitcnt vmcnt(0) lgkmcnt(0)
	s_barrier
	ds_read_b32 v16, v2 offset:12
	v_cmp_ne_u32_e32 vcc, 0, v0
	s_and_saveexec_b64 s[6:7], vcc
	s_cbranch_execz .LBB101_381
; %bb.374:
	s_mov_b64 vcc, s[28:29]
	v_cndmask_b32_sdwa v3, v18, v11, vcc dst_sel:DWORD dst_unused:UNUSED_PAD src0_sel:WORD_1 src1_sel:DWORD
	v_cndmask_b32_e64 v1, v18, v12, s[28:29]
	v_cmp_eq_u16_sdwa s[34:35], v3, v2 src0_sel:BYTE_0 src1_sel:DWORD
	s_and_saveexec_b64 s[28:29], s[34:35]
	s_cbranch_execz .LBB101_380
; %bb.375:
	s_waitcnt lgkmcnt(0)
	v_lshlrev_b32_e32 v2, 16, v16
	v_lshlrev_b32_e32 v1, 16, v1
	v_add_f32_e32 v1, v1, v2
	s_mov_b32 s34, 0x7f800000
	v_and_b32_e32 v2, 0x7f800000, v1
	v_cmp_ne_u32_e32 vcc, s34, v2
                                        ; implicit-def: $vgpr2
	s_and_saveexec_b64 s[34:35], vcc
	s_xor_b64 s[34:35], exec, s[34:35]
; %bb.376:
	v_bfe_u32 v2, v1, 16, 1
	s_movk_i32 s39, 0x7fff
	v_add3_u32 v2, v1, v2, s39
                                        ; implicit-def: $vgpr1
; %bb.377:
	s_andn2_saveexec_b64 s[34:35], s[34:35]
; %bb.378:
	v_mov_b32_e32 v2, 0
	v_or_b32_e32 v3, 0x10000, v1
	v_cmp_eq_u32_sdwa vcc, v1, v2 src0_sel:WORD_0 src1_sel:DWORD
	v_cndmask_b32_e32 v2, v3, v1, vcc
; %bb.379:
	s_or_b64 exec, exec, s[34:35]
	v_lshrrev_b32_e32 v1, 16, v2
.LBB101_380:
	s_or_b64 exec, exec, s[28:29]
	s_waitcnt lgkmcnt(0)
	v_mov_b32_e32 v16, v1
.LBB101_381:
	s_or_b64 exec, exec, s[6:7]
	v_and_b32_e32 v1, 0xff0000, v17
	v_cmp_eq_u32_e32 vcc, 0, v1
	v_mov_b32_e32 v7, v17
	s_and_saveexec_b64 s[6:7], vcc
	s_cbranch_execz .LBB101_387
; %bb.382:
	s_waitcnt lgkmcnt(0)
	v_lshlrev_b32_e32 v1, 16, v16
	v_lshlrev_b32_e32 v2, 16, v17
	v_add_f32_e32 v1, v2, v1
	s_mov_b32 s28, 0x7f800000
	v_and_b32_e32 v2, 0x7f800000, v1
	v_cmp_ne_u32_e32 vcc, s28, v2
                                        ; implicit-def: $vgpr2
	s_and_saveexec_b64 s[28:29], vcc
	s_xor_b64 s[28:29], exec, s[28:29]
; %bb.383:
	v_bfe_u32 v2, v1, 16, 1
	s_movk_i32 s34, 0x7fff
	v_add3_u32 v2, v1, v2, s34
                                        ; implicit-def: $vgpr1
; %bb.384:
	s_andn2_saveexec_b64 s[28:29], s[28:29]
; %bb.385:
	v_mov_b32_e32 v2, 0
	v_or_b32_e32 v3, 0x10000, v1
	v_cmp_eq_u32_sdwa vcc, v1, v2 src0_sel:WORD_0 src1_sel:DWORD
	v_cndmask_b32_e32 v2, v3, v1, vcc
; %bb.386:
	s_or_b64 exec, exec, s[28:29]
	v_lshrrev_b32_e32 v7, 16, v2
.LBB101_387:
	s_or_b64 exec, exec, s[6:7]
	v_mov_b32_e32 v1, v14
	s_and_saveexec_b64 s[6:7], s[2:3]
	s_cbranch_execz .LBB101_393
; %bb.388:
	v_lshlrev_b32_e32 v1, 16, v7
	v_lshlrev_b32_e32 v2, 16, v14
	v_add_f32_e32 v1, v2, v1
	s_mov_b32 s2, 0x7f800000
	v_and_b32_e32 v2, 0x7f800000, v1
	v_cmp_ne_u32_e32 vcc, s2, v2
                                        ; implicit-def: $vgpr2
	s_and_saveexec_b64 s[2:3], vcc
	s_xor_b64 s[2:3], exec, s[2:3]
; %bb.389:
	v_bfe_u32 v2, v1, 16, 1
	s_movk_i32 s28, 0x7fff
	v_add3_u32 v2, v1, v2, s28
                                        ; implicit-def: $vgpr1
; %bb.390:
	s_andn2_saveexec_b64 s[2:3], s[2:3]
; %bb.391:
	v_mov_b32_e32 v2, 0
	v_or_b32_e32 v3, 0x10000, v1
	v_cmp_eq_u32_sdwa vcc, v1, v2 src0_sel:WORD_0 src1_sel:DWORD
	v_cndmask_b32_e32 v2, v3, v1, vcc
; %bb.392:
	s_or_b64 exec, exec, s[2:3]
	v_lshrrev_b32_e32 v1, 16, v2
.LBB101_393:
	s_or_b64 exec, exec, s[6:7]
	v_and_b32_e32 v8, 0xffff, v1
	v_mov_b32_e32 v1, v13
	s_and_saveexec_b64 s[2:3], s[30:31]
	s_cbranch_execz .LBB101_399
; %bb.394:
	v_lshlrev_b32_e32 v1, 16, v8
	v_lshlrev_b32_e32 v2, 16, v13
	v_add_f32_e32 v1, v2, v1
	s_mov_b32 s6, 0x7f800000
	v_and_b32_e32 v2, 0x7f800000, v1
	v_cmp_ne_u32_e32 vcc, s6, v2
                                        ; implicit-def: $vgpr2
	s_and_saveexec_b64 s[6:7], vcc
	s_xor_b64 s[6:7], exec, s[6:7]
; %bb.395:
	v_bfe_u32 v2, v1, 16, 1
	s_movk_i32 s28, 0x7fff
	v_add3_u32 v2, v1, v2, s28
                                        ; implicit-def: $vgpr1
; %bb.396:
	s_andn2_saveexec_b64 s[6:7], s[6:7]
; %bb.397:
	v_mov_b32_e32 v2, 0
	v_or_b32_e32 v3, 0x10000, v1
	v_cmp_eq_u32_sdwa vcc, v1, v2 src0_sel:WORD_0 src1_sel:DWORD
	v_cndmask_b32_e32 v2, v3, v1, vcc
; %bb.398:
	s_or_b64 exec, exec, s[6:7]
	v_lshrrev_b32_e32 v1, 16, v2
.LBB101_399:
	s_or_b64 exec, exec, s[2:3]
	v_and_b32_e32 v1, 0xffff, v1
	v_mov_b32_e32 v2, v29
	s_and_saveexec_b64 s[2:3], s[8:9]
	s_cbranch_execz .LBB101_405
; %bb.400:
	v_lshlrev_b32_e32 v2, 16, v1
	v_lshlrev_b32_e32 v3, 16, v29
	v_add_f32_e32 v2, v3, v2
	s_mov_b32 s6, 0x7f800000
	v_and_b32_e32 v3, 0x7f800000, v2
	v_cmp_ne_u32_e32 vcc, s6, v3
                                        ; implicit-def: $vgpr3
	s_and_saveexec_b64 s[6:7], vcc
	s_xor_b64 s[6:7], exec, s[6:7]
; %bb.401:
	v_bfe_u32 v3, v2, 16, 1
	s_movk_i32 s8, 0x7fff
	v_add3_u32 v3, v2, v3, s8
                                        ; implicit-def: $vgpr2
; %bb.402:
	s_andn2_saveexec_b64 s[6:7], s[6:7]
; %bb.403:
	v_mov_b32_e32 v3, 0
	v_or_b32_e32 v4, 0x10000, v2
	v_cmp_eq_u32_sdwa vcc, v2, v3 src0_sel:WORD_0 src1_sel:DWORD
	v_cndmask_b32_e32 v3, v4, v2, vcc
; %bb.404:
	s_or_b64 exec, exec, s[6:7]
	v_lshrrev_b32_e32 v2, 16, v3
.LBB101_405:
	s_or_b64 exec, exec, s[2:3]
	v_and_b32_e32 v2, 0xffff, v2
	v_mov_b32_e32 v3, v28
	s_and_saveexec_b64 s[2:3], s[10:11]
	s_cbranch_execz .LBB101_411
; %bb.406:
	v_lshlrev_b32_e32 v3, 16, v2
	v_lshlrev_b32_e32 v4, 16, v28
	v_add_f32_e32 v3, v4, v3
	s_mov_b32 s6, 0x7f800000
	v_and_b32_e32 v4, 0x7f800000, v3
	v_cmp_ne_u32_e32 vcc, s6, v4
                                        ; implicit-def: $vgpr4
	s_and_saveexec_b64 s[6:7], vcc
	s_xor_b64 s[6:7], exec, s[6:7]
; %bb.407:
	v_bfe_u32 v4, v3, 16, 1
	s_movk_i32 s8, 0x7fff
	v_add3_u32 v4, v3, v4, s8
                                        ; implicit-def: $vgpr3
; %bb.408:
	s_andn2_saveexec_b64 s[6:7], s[6:7]
; %bb.409:
	v_mov_b32_e32 v4, 0
	v_or_b32_e32 v5, 0x10000, v3
	v_cmp_eq_u32_sdwa vcc, v3, v4 src0_sel:WORD_0 src1_sel:DWORD
	v_cndmask_b32_e32 v4, v5, v3, vcc
; %bb.410:
	s_or_b64 exec, exec, s[6:7]
	v_lshrrev_b32_e32 v3, 16, v4
.LBB101_411:
	s_or_b64 exec, exec, s[2:3]
	v_and_b32_e32 v3, 0xffff, v3
	v_mov_b32_e32 v4, v27
	s_and_saveexec_b64 s[2:3], s[12:13]
	s_cbranch_execz .LBB101_417
; %bb.412:
	v_lshlrev_b32_e32 v4, 16, v3
	v_lshlrev_b32_e32 v5, 16, v27
	v_add_f32_e32 v4, v5, v4
	s_mov_b32 s6, 0x7f800000
	v_and_b32_e32 v5, 0x7f800000, v4
	v_cmp_ne_u32_e32 vcc, s6, v5
                                        ; implicit-def: $vgpr5
	s_and_saveexec_b64 s[6:7], vcc
	s_xor_b64 s[6:7], exec, s[6:7]
; %bb.413:
	v_bfe_u32 v5, v4, 16, 1
	s_movk_i32 s8, 0x7fff
	v_add3_u32 v5, v4, v5, s8
                                        ; implicit-def: $vgpr4
; %bb.414:
	s_andn2_saveexec_b64 s[6:7], s[6:7]
; %bb.415:
	v_mov_b32_e32 v5, 0
	v_or_b32_e32 v6, 0x10000, v4
	v_cmp_eq_u32_sdwa vcc, v4, v5 src0_sel:WORD_0 src1_sel:DWORD
	v_cndmask_b32_e32 v5, v6, v4, vcc
; %bb.416:
	s_or_b64 exec, exec, s[6:7]
	v_lshrrev_b32_e32 v4, 16, v5
.LBB101_417:
	s_or_b64 exec, exec, s[2:3]
	v_and_b32_e32 v4, 0xffff, v4
	v_mov_b32_e32 v5, v26
	s_and_saveexec_b64 s[2:3], s[14:15]
	s_cbranch_execz .LBB101_423
; %bb.418:
	v_lshlrev_b32_e32 v5, 16, v4
	v_lshlrev_b32_e32 v6, 16, v26
	v_add_f32_e32 v5, v6, v5
	s_mov_b32 s6, 0x7f800000
	v_and_b32_e32 v6, 0x7f800000, v5
	v_cmp_ne_u32_e32 vcc, s6, v6
                                        ; implicit-def: $vgpr6
	s_and_saveexec_b64 s[6:7], vcc
	s_xor_b64 s[6:7], exec, s[6:7]
; %bb.419:
	v_bfe_u32 v6, v5, 16, 1
	s_movk_i32 s8, 0x7fff
	v_add3_u32 v6, v5, v6, s8
                                        ; implicit-def: $vgpr5
; %bb.420:
	s_andn2_saveexec_b64 s[6:7], s[6:7]
; %bb.421:
	v_mov_b32_e32 v6, 0
	v_or_b32_e32 v9, 0x10000, v5
	v_cmp_eq_u32_sdwa vcc, v5, v6 src0_sel:WORD_0 src1_sel:DWORD
	v_cndmask_b32_e32 v6, v9, v5, vcc
; %bb.422:
	s_or_b64 exec, exec, s[6:7]
	v_lshrrev_b32_e32 v5, 16, v6
.LBB101_423:
	s_or_b64 exec, exec, s[2:3]
	v_and_b32_e32 v5, 0xffff, v5
	v_mov_b32_e32 v6, v25
	s_and_saveexec_b64 s[2:3], s[16:17]
	s_cbranch_execz .LBB101_429
; %bb.424:
	v_lshlrev_b32_e32 v6, 16, v5
	v_lshlrev_b32_e32 v9, 16, v25
	v_add_f32_e32 v6, v9, v6
	s_mov_b32 s6, 0x7f800000
	v_and_b32_e32 v9, 0x7f800000, v6
	v_cmp_ne_u32_e32 vcc, s6, v9
                                        ; implicit-def: $vgpr9
	s_and_saveexec_b64 s[6:7], vcc
	s_xor_b64 s[6:7], exec, s[6:7]
; %bb.425:
	v_bfe_u32 v9, v6, 16, 1
	s_movk_i32 s8, 0x7fff
	v_add3_u32 v9, v6, v9, s8
                                        ; implicit-def: $vgpr6
; %bb.426:
	s_andn2_saveexec_b64 s[6:7], s[6:7]
; %bb.427:
	v_mov_b32_e32 v9, 0
	v_or_b32_e32 v10, 0x10000, v6
	v_cmp_eq_u32_sdwa vcc, v6, v9 src0_sel:WORD_0 src1_sel:DWORD
	v_cndmask_b32_e32 v9, v10, v6, vcc
; %bb.428:
	s_or_b64 exec, exec, s[6:7]
	v_lshrrev_b32_e32 v6, 16, v9
.LBB101_429:
	s_or_b64 exec, exec, s[2:3]
	v_and_b32_e32 v6, 0xffff, v6
	v_mov_b32_e32 v9, v24
	s_and_saveexec_b64 s[2:3], s[18:19]
	s_cbranch_execz .LBB101_435
; %bb.430:
	v_lshlrev_b32_e32 v9, 16, v6
	v_lshlrev_b32_e32 v10, 16, v24
	v_add_f32_e32 v9, v10, v9
	s_mov_b32 s6, 0x7f800000
	v_and_b32_e32 v10, 0x7f800000, v9
	v_cmp_ne_u32_e32 vcc, s6, v10
                                        ; implicit-def: $vgpr10
	s_and_saveexec_b64 s[6:7], vcc
	s_xor_b64 s[6:7], exec, s[6:7]
; %bb.431:
	v_bfe_u32 v10, v9, 16, 1
	s_movk_i32 s8, 0x7fff
	v_add3_u32 v10, v9, v10, s8
                                        ; implicit-def: $vgpr9
; %bb.432:
	s_andn2_saveexec_b64 s[6:7], s[6:7]
; %bb.433:
	v_mov_b32_e32 v10, 0
	v_or_b32_e32 v11, 0x10000, v9
	v_cmp_eq_u32_sdwa vcc, v9, v10 src0_sel:WORD_0 src1_sel:DWORD
	v_cndmask_b32_e32 v10, v11, v9, vcc
; %bb.434:
	s_or_b64 exec, exec, s[6:7]
	v_lshrrev_b32_e32 v9, 16, v10
.LBB101_435:
	s_or_b64 exec, exec, s[2:3]
	v_and_b32_e32 v9, 0xffff, v9
	v_mov_b32_e32 v10, v23
	s_and_saveexec_b64 s[2:3], s[20:21]
	s_cbranch_execz .LBB101_441
; %bb.436:
	v_lshlrev_b32_e32 v10, 16, v9
	v_lshlrev_b32_e32 v11, 16, v23
	v_add_f32_e32 v10, v11, v10
	s_mov_b32 s6, 0x7f800000
	v_and_b32_e32 v11, 0x7f800000, v10
	v_cmp_ne_u32_e32 vcc, s6, v11
                                        ; implicit-def: $vgpr11
	s_and_saveexec_b64 s[6:7], vcc
	s_xor_b64 s[6:7], exec, s[6:7]
; %bb.437:
	v_bfe_u32 v11, v10, 16, 1
	s_movk_i32 s8, 0x7fff
	v_add3_u32 v11, v10, v11, s8
                                        ; implicit-def: $vgpr10
; %bb.438:
	s_andn2_saveexec_b64 s[6:7], s[6:7]
; %bb.439:
	v_mov_b32_e32 v11, 0
	v_or_b32_e32 v12, 0x10000, v10
	v_cmp_eq_u32_sdwa vcc, v10, v11 src0_sel:WORD_0 src1_sel:DWORD
	v_cndmask_b32_e32 v11, v12, v10, vcc
; %bb.440:
	s_or_b64 exec, exec, s[6:7]
	v_lshrrev_b32_e32 v10, 16, v11
.LBB101_441:
	s_or_b64 exec, exec, s[2:3]
	v_and_b32_e32 v10, 0xffff, v10
	v_mov_b32_e32 v11, v22
	s_and_saveexec_b64 s[2:3], s[22:23]
	s_cbranch_execz .LBB101_447
; %bb.442:
	v_lshlrev_b32_e32 v11, 16, v10
	v_lshlrev_b32_e32 v12, 16, v22
	v_add_f32_e32 v11, v12, v11
	s_mov_b32 s6, 0x7f800000
	v_and_b32_e32 v12, 0x7f800000, v11
	v_cmp_ne_u32_e32 vcc, s6, v12
                                        ; implicit-def: $vgpr12
	s_and_saveexec_b64 s[6:7], vcc
	s_xor_b64 s[6:7], exec, s[6:7]
; %bb.443:
	v_bfe_u32 v12, v11, 16, 1
	s_movk_i32 s8, 0x7fff
	v_add3_u32 v12, v11, v12, s8
                                        ; implicit-def: $vgpr11
; %bb.444:
	s_andn2_saveexec_b64 s[6:7], s[6:7]
; %bb.445:
	v_mov_b32_e32 v12, 0
	v_or_b32_e32 v18, 0x10000, v11
	v_cmp_eq_u32_sdwa vcc, v11, v12 src0_sel:WORD_0 src1_sel:DWORD
	v_cndmask_b32_e32 v12, v18, v11, vcc
; %bb.446:
	s_or_b64 exec, exec, s[6:7]
	v_lshrrev_b32_e32 v11, 16, v12
.LBB101_447:
	s_or_b64 exec, exec, s[2:3]
	v_and_b32_e32 v11, 0xffff, v11
	v_mov_b32_e32 v12, v21
	s_and_saveexec_b64 s[2:3], s[24:25]
	s_cbranch_execz .LBB101_453
; %bb.448:
	v_lshlrev_b32_e32 v12, 16, v11
	v_lshlrev_b32_e32 v18, 16, v21
	v_add_f32_e32 v12, v18, v12
	s_mov_b32 s6, 0x7f800000
	v_and_b32_e32 v18, 0x7f800000, v12
	v_cmp_ne_u32_e32 vcc, s6, v18
                                        ; implicit-def: $vgpr18
	s_and_saveexec_b64 s[6:7], vcc
	s_xor_b64 s[6:7], exec, s[6:7]
; %bb.449:
	v_bfe_u32 v18, v12, 16, 1
	s_movk_i32 s8, 0x7fff
	v_add3_u32 v18, v12, v18, s8
                                        ; implicit-def: $vgpr12
; %bb.450:
	s_andn2_saveexec_b64 s[6:7], s[6:7]
; %bb.451:
	v_mov_b32_e32 v18, 0
	v_or_b32_e32 v19, 0x10000, v12
	v_cmp_eq_u32_sdwa vcc, v12, v18 src0_sel:WORD_0 src1_sel:DWORD
	v_cndmask_b32_e32 v18, v19, v12, vcc
; %bb.452:
	s_or_b64 exec, exec, s[6:7]
	v_lshrrev_b32_e32 v12, 16, v18
.LBB101_453:
	s_or_b64 exec, exec, s[2:3]
	v_and_b32_e32 v12, 0xffff, v12
	v_mov_b32_e32 v19, v20
	s_and_saveexec_b64 s[2:3], s[26:27]
	s_cbranch_execz .LBB101_459
; %bb.454:
	v_lshlrev_b32_e32 v18, 16, v12
	v_lshlrev_b32_e32 v19, 16, v20
	v_add_f32_e32 v18, v19, v18
	s_mov_b32 s6, 0x7f800000
	v_and_b32_e32 v19, 0x7f800000, v18
	v_cmp_ne_u32_e32 vcc, s6, v19
                                        ; implicit-def: $vgpr19
	s_and_saveexec_b64 s[6:7], vcc
	s_xor_b64 s[6:7], exec, s[6:7]
; %bb.455:
	v_bfe_u32 v19, v18, 16, 1
	s_movk_i32 s8, 0x7fff
	v_add3_u32 v19, v18, v19, s8
                                        ; implicit-def: $vgpr18
; %bb.456:
	s_andn2_saveexec_b64 s[6:7], s[6:7]
; %bb.457:
	v_mov_b32_e32 v19, 0
	v_or_b32_e32 v30, 0x10000, v18
	v_cmp_eq_u32_sdwa vcc, v18, v19 src0_sel:WORD_0 src1_sel:DWORD
	v_cndmask_b32_e32 v19, v30, v18, vcc
; %bb.458:
	s_or_b64 exec, exec, s[6:7]
	v_lshrrev_b32_e32 v19, 16, v19
.LBB101_459:
	s_or_b64 exec, exec, s[2:3]
	s_branch .LBB101_698
.LBB101_460:
	s_cmp_eq_u64 s[46:47], 0
	v_mov_b32_e32 v7, s54
	s_cbranch_scc1 .LBB101_462
; %bb.461:
	v_mov_b32_e32 v1, 0
	global_load_ushort v7, v1, s[46:47]
.LBB101_462:
	s_mov_b32 s2, 0x10000
	v_cmp_gt_u32_e64 s[2:3], s2, v14
	v_lshlrev_b32_e32 v18, 16, v17
	v_lshlrev_b32_e32 v1, 16, v14
	v_mov_b32_e32 v3, v14
	s_and_saveexec_b64 s[6:7], s[2:3]
	s_cbranch_execz .LBB101_468
; %bb.463:
	v_add_f32_e32 v2, v1, v18
	s_mov_b32 s8, 0x7f800000
	v_and_b32_e32 v3, 0x7f800000, v2
	v_cmp_ne_u32_e32 vcc, s8, v3
                                        ; implicit-def: $vgpr3
	s_and_saveexec_b64 s[8:9], vcc
	s_xor_b64 s[8:9], exec, s[8:9]
; %bb.464:
	v_bfe_u32 v3, v2, 16, 1
	s_movk_i32 s10, 0x7fff
	v_add3_u32 v3, v2, v3, s10
                                        ; implicit-def: $vgpr2
; %bb.465:
	s_andn2_saveexec_b64 s[8:9], s[8:9]
; %bb.466:
	v_mov_b32_e32 v3, 0
	v_or_b32_e32 v4, 0x10000, v2
	v_cmp_eq_u32_sdwa vcc, v2, v3 src0_sel:WORD_0 src1_sel:DWORD
	v_cndmask_b32_e32 v3, v4, v2, vcc
; %bb.467:
	s_or_b64 exec, exec, s[8:9]
	v_lshrrev_b32_e32 v3, 16, v3
.LBB101_468:
	s_or_b64 exec, exec, s[6:7]
	s_mov_b32 s6, 0x10000
	v_cmp_gt_u32_e64 s[6:7], s6, v13
	v_lshlrev_b32_e32 v2, 16, v13
	v_mov_b32_e32 v4, v13
	s_and_saveexec_b64 s[8:9], s[6:7]
	s_cbranch_execz .LBB101_474
; %bb.469:
	v_lshlrev_b32_e32 v3, 16, v3
	v_add_f32_e32 v3, v2, v3
	s_mov_b32 s10, 0x7f800000
	v_and_b32_e32 v4, 0x7f800000, v3
	v_cmp_ne_u32_e32 vcc, s10, v4
                                        ; implicit-def: $vgpr4
	s_and_saveexec_b64 s[10:11], vcc
	s_xor_b64 s[10:11], exec, s[10:11]
; %bb.470:
	v_bfe_u32 v4, v3, 16, 1
	s_movk_i32 s12, 0x7fff
	v_add3_u32 v4, v3, v4, s12
                                        ; implicit-def: $vgpr3
; %bb.471:
	s_andn2_saveexec_b64 s[10:11], s[10:11]
; %bb.472:
	v_mov_b32_e32 v4, 0
	v_or_b32_e32 v5, 0x10000, v3
	v_cmp_eq_u32_sdwa vcc, v3, v4 src0_sel:WORD_0 src1_sel:DWORD
	v_cndmask_b32_e32 v4, v5, v3, vcc
; %bb.473:
	s_or_b64 exec, exec, s[10:11]
	v_lshrrev_b32_e32 v4, 16, v4
.LBB101_474:
	s_or_b64 exec, exec, s[8:9]
	s_mov_b32 s8, 0x10000
	v_cmp_gt_u32_e64 s[8:9], s8, v29
	v_lshlrev_b32_e32 v3, 16, v29
	v_mov_b32_e32 v5, v29
	s_and_saveexec_b64 s[10:11], s[8:9]
	s_cbranch_execz .LBB101_480
; %bb.475:
	v_lshlrev_b32_e32 v4, 16, v4
	v_add_f32_e32 v4, v3, v4
	s_mov_b32 s12, 0x7f800000
	v_and_b32_e32 v5, 0x7f800000, v4
	v_cmp_ne_u32_e32 vcc, s12, v5
                                        ; implicit-def: $vgpr5
	s_and_saveexec_b64 s[12:13], vcc
	s_xor_b64 s[12:13], exec, s[12:13]
; %bb.476:
	v_bfe_u32 v5, v4, 16, 1
	s_movk_i32 s14, 0x7fff
	v_add3_u32 v5, v4, v5, s14
                                        ; implicit-def: $vgpr4
; %bb.477:
	s_andn2_saveexec_b64 s[12:13], s[12:13]
; %bb.478:
	v_mov_b32_e32 v5, 0
	v_or_b32_e32 v6, 0x10000, v4
	v_cmp_eq_u32_sdwa vcc, v4, v5 src0_sel:WORD_0 src1_sel:DWORD
	v_cndmask_b32_e32 v5, v6, v4, vcc
; %bb.479:
	s_or_b64 exec, exec, s[12:13]
	v_lshrrev_b32_e32 v5, 16, v5
.LBB101_480:
	s_or_b64 exec, exec, s[10:11]
	s_mov_b32 s10, 0x10000
	v_cmp_gt_u32_e64 s[10:11], s10, v28
	v_lshlrev_b32_e32 v4, 16, v28
	v_mov_b32_e32 v6, v28
	s_and_saveexec_b64 s[12:13], s[10:11]
	s_cbranch_execz .LBB101_486
; %bb.481:
	v_lshlrev_b32_e32 v5, 16, v5
	v_add_f32_e32 v5, v4, v5
	s_mov_b32 s14, 0x7f800000
	v_and_b32_e32 v6, 0x7f800000, v5
	v_cmp_ne_u32_e32 vcc, s14, v6
                                        ; implicit-def: $vgpr6
	s_and_saveexec_b64 s[14:15], vcc
	s_xor_b64 s[14:15], exec, s[14:15]
; %bb.482:
	v_bfe_u32 v6, v5, 16, 1
	s_movk_i32 s16, 0x7fff
	v_add3_u32 v6, v5, v6, s16
                                        ; implicit-def: $vgpr5
; %bb.483:
	s_andn2_saveexec_b64 s[14:15], s[14:15]
; %bb.484:
	v_mov_b32_e32 v6, 0
	v_or_b32_e32 v8, 0x10000, v5
	v_cmp_eq_u32_sdwa vcc, v5, v6 src0_sel:WORD_0 src1_sel:DWORD
	v_cndmask_b32_e32 v6, v8, v5, vcc
; %bb.485:
	s_or_b64 exec, exec, s[14:15]
	v_lshrrev_b32_e32 v6, 16, v6
.LBB101_486:
	s_or_b64 exec, exec, s[12:13]
	s_mov_b32 s12, 0x10000
	v_cmp_gt_u32_e64 s[12:13], s12, v27
	v_lshlrev_b32_e32 v5, 16, v27
	v_mov_b32_e32 v8, v27
	s_and_saveexec_b64 s[14:15], s[12:13]
	s_cbranch_execz .LBB101_492
; %bb.487:
	v_lshlrev_b32_e32 v6, 16, v6
	v_add_f32_e32 v6, v5, v6
	s_mov_b32 s16, 0x7f800000
	v_and_b32_e32 v8, 0x7f800000, v6
	v_cmp_ne_u32_e32 vcc, s16, v8
                                        ; implicit-def: $vgpr8
	s_and_saveexec_b64 s[16:17], vcc
	s_xor_b64 s[16:17], exec, s[16:17]
; %bb.488:
	v_bfe_u32 v8, v6, 16, 1
	s_movk_i32 s18, 0x7fff
	v_add3_u32 v8, v6, v8, s18
                                        ; implicit-def: $vgpr6
; %bb.489:
	s_andn2_saveexec_b64 s[16:17], s[16:17]
; %bb.490:
	v_mov_b32_e32 v8, 0
	v_or_b32_e32 v9, 0x10000, v6
	v_cmp_eq_u32_sdwa vcc, v6, v8 src0_sel:WORD_0 src1_sel:DWORD
	v_cndmask_b32_e32 v8, v9, v6, vcc
; %bb.491:
	s_or_b64 exec, exec, s[16:17]
	v_lshrrev_b32_e32 v8, 16, v8
.LBB101_492:
	s_or_b64 exec, exec, s[14:15]
	s_mov_b32 s14, 0x10000
	v_cmp_gt_u32_e64 s[14:15], s14, v26
	v_lshlrev_b32_e32 v6, 16, v26
	v_mov_b32_e32 v9, v26
	s_and_saveexec_b64 s[16:17], s[14:15]
	s_cbranch_execz .LBB101_498
; %bb.493:
	v_lshlrev_b32_e32 v8, 16, v8
	v_add_f32_e32 v8, v6, v8
	s_mov_b32 s18, 0x7f800000
	v_and_b32_e32 v9, 0x7f800000, v8
	v_cmp_ne_u32_e32 vcc, s18, v9
                                        ; implicit-def: $vgpr9
	s_and_saveexec_b64 s[18:19], vcc
	s_xor_b64 s[18:19], exec, s[18:19]
; %bb.494:
	v_bfe_u32 v9, v8, 16, 1
	s_movk_i32 s20, 0x7fff
	v_add3_u32 v9, v8, v9, s20
                                        ; implicit-def: $vgpr8
; %bb.495:
	s_andn2_saveexec_b64 s[18:19], s[18:19]
; %bb.496:
	v_mov_b32_e32 v9, 0
	v_or_b32_e32 v10, 0x10000, v8
	v_cmp_eq_u32_sdwa vcc, v8, v9 src0_sel:WORD_0 src1_sel:DWORD
	v_cndmask_b32_e32 v9, v10, v8, vcc
; %bb.497:
	s_or_b64 exec, exec, s[18:19]
	v_lshrrev_b32_e32 v9, 16, v9
.LBB101_498:
	s_or_b64 exec, exec, s[16:17]
	s_mov_b32 s16, 0x10000
	v_cmp_gt_u32_e64 s[16:17], s16, v25
	v_lshlrev_b32_e32 v8, 16, v25
	v_mov_b32_e32 v10, v25
	s_and_saveexec_b64 s[18:19], s[16:17]
	s_cbranch_execz .LBB101_504
; %bb.499:
	v_lshlrev_b32_e32 v9, 16, v9
	v_add_f32_e32 v9, v8, v9
	s_mov_b32 s20, 0x7f800000
	v_and_b32_e32 v10, 0x7f800000, v9
	v_cmp_ne_u32_e32 vcc, s20, v10
                                        ; implicit-def: $vgpr10
	s_and_saveexec_b64 s[20:21], vcc
	s_xor_b64 s[20:21], exec, s[20:21]
; %bb.500:
	v_bfe_u32 v10, v9, 16, 1
	s_movk_i32 s22, 0x7fff
	v_add3_u32 v10, v9, v10, s22
                                        ; implicit-def: $vgpr9
; %bb.501:
	s_andn2_saveexec_b64 s[20:21], s[20:21]
; %bb.502:
	v_mov_b32_e32 v10, 0
	v_or_b32_e32 v11, 0x10000, v9
	v_cmp_eq_u32_sdwa vcc, v9, v10 src0_sel:WORD_0 src1_sel:DWORD
	v_cndmask_b32_e32 v10, v11, v9, vcc
; %bb.503:
	s_or_b64 exec, exec, s[20:21]
	v_lshrrev_b32_e32 v10, 16, v10
.LBB101_504:
	s_or_b64 exec, exec, s[18:19]
	s_mov_b32 s18, 0x10000
	v_cmp_gt_u32_e64 s[18:19], s18, v24
	v_lshlrev_b32_e32 v9, 16, v24
	v_mov_b32_e32 v11, v24
	s_and_saveexec_b64 s[20:21], s[18:19]
	s_cbranch_execz .LBB101_510
; %bb.505:
	v_lshlrev_b32_e32 v10, 16, v10
	v_add_f32_e32 v10, v9, v10
	s_mov_b32 s22, 0x7f800000
	v_and_b32_e32 v11, 0x7f800000, v10
	v_cmp_ne_u32_e32 vcc, s22, v11
                                        ; implicit-def: $vgpr11
	s_and_saveexec_b64 s[22:23], vcc
	s_xor_b64 s[22:23], exec, s[22:23]
; %bb.506:
	v_bfe_u32 v11, v10, 16, 1
	s_movk_i32 s24, 0x7fff
	v_add3_u32 v11, v10, v11, s24
                                        ; implicit-def: $vgpr10
; %bb.507:
	s_andn2_saveexec_b64 s[22:23], s[22:23]
; %bb.508:
	v_mov_b32_e32 v11, 0
	v_or_b32_e32 v12, 0x10000, v10
	v_cmp_eq_u32_sdwa vcc, v10, v11 src0_sel:WORD_0 src1_sel:DWORD
	v_cndmask_b32_e32 v11, v12, v10, vcc
; %bb.509:
	s_or_b64 exec, exec, s[22:23]
	v_lshrrev_b32_e32 v11, 16, v11
.LBB101_510:
	s_or_b64 exec, exec, s[20:21]
	s_mov_b32 s20, 0x10000
	v_cmp_gt_u32_e64 s[20:21], s20, v23
	v_lshlrev_b32_e32 v10, 16, v23
	v_mov_b32_e32 v12, v23
	s_and_saveexec_b64 s[22:23], s[20:21]
	s_cbranch_execz .LBB101_516
; %bb.511:
	v_lshlrev_b32_e32 v11, 16, v11
	v_add_f32_e32 v11, v10, v11
	s_mov_b32 s24, 0x7f800000
	v_and_b32_e32 v12, 0x7f800000, v11
	v_cmp_ne_u32_e32 vcc, s24, v12
                                        ; implicit-def: $vgpr12
	s_and_saveexec_b64 s[24:25], vcc
	s_xor_b64 s[24:25], exec, s[24:25]
; %bb.512:
	v_bfe_u32 v12, v11, 16, 1
	s_movk_i32 s26, 0x7fff
	v_add3_u32 v12, v11, v12, s26
                                        ; implicit-def: $vgpr11
; %bb.513:
	s_andn2_saveexec_b64 s[24:25], s[24:25]
	s_cbranch_execz .LBB101_515
; %bb.514:
	v_mov_b32_e32 v12, 0
	s_waitcnt lgkmcnt(0)
	v_or_b32_e32 v16, 0x10000, v11
	v_cmp_eq_u32_sdwa vcc, v11, v12 src0_sel:WORD_0 src1_sel:DWORD
	v_cndmask_b32_e32 v12, v16, v11, vcc
.LBB101_515:
	s_or_b64 exec, exec, s[24:25]
	v_lshrrev_b32_e32 v12, 16, v12
.LBB101_516:
	s_or_b64 exec, exec, s[22:23]
	s_mov_b32 s22, 0x10000
	v_cmp_gt_u32_e64 s[22:23], s22, v22
	v_lshlrev_b32_e32 v11, 16, v22
	s_waitcnt lgkmcnt(0)
	v_mov_b32_e32 v16, v22
	s_and_saveexec_b64 s[24:25], s[22:23]
	s_cbranch_execz .LBB101_522
; %bb.517:
	v_lshlrev_b32_e32 v12, 16, v12
	v_add_f32_e32 v12, v11, v12
	s_mov_b32 s26, 0x7f800000
	v_and_b32_e32 v16, 0x7f800000, v12
	v_cmp_ne_u32_e32 vcc, s26, v16
                                        ; implicit-def: $vgpr16
	s_and_saveexec_b64 s[26:27], vcc
	s_xor_b64 s[26:27], exec, s[26:27]
; %bb.518:
	v_bfe_u32 v16, v12, 16, 1
	s_movk_i32 s28, 0x7fff
	v_add3_u32 v16, v12, v16, s28
                                        ; implicit-def: $vgpr12
; %bb.519:
	s_andn2_saveexec_b64 s[26:27], s[26:27]
; %bb.520:
	v_mov_b32_e32 v16, 0
	v_or_b32_e32 v19, 0x10000, v12
	v_cmp_eq_u32_sdwa vcc, v12, v16 src0_sel:WORD_0 src1_sel:DWORD
	v_cndmask_b32_e32 v16, v19, v12, vcc
; %bb.521:
	s_or_b64 exec, exec, s[26:27]
	v_lshrrev_b32_e32 v16, 16, v16
.LBB101_522:
	s_or_b64 exec, exec, s[24:25]
	s_mov_b32 s24, 0x10000
	v_cmp_gt_u32_e64 s[24:25], s24, v21
	v_lshlrev_b32_e32 v12, 16, v21
	v_mov_b32_e32 v30, v21
	s_and_saveexec_b64 s[26:27], s[24:25]
	s_cbranch_execz .LBB101_528
; %bb.523:
	v_lshlrev_b32_e32 v16, 16, v16
	v_add_f32_e32 v16, v12, v16
	s_mov_b32 s28, 0x7f800000
	v_and_b32_e32 v19, 0x7f800000, v16
	v_cmp_ne_u32_e32 vcc, s28, v19
                                        ; implicit-def: $vgpr19
	s_and_saveexec_b64 s[28:29], vcc
	s_xor_b64 s[28:29], exec, s[28:29]
; %bb.524:
	v_bfe_u32 v19, v16, 16, 1
	s_movk_i32 s30, 0x7fff
	v_add3_u32 v19, v16, v19, s30
                                        ; implicit-def: $vgpr16
; %bb.525:
	s_andn2_saveexec_b64 s[28:29], s[28:29]
; %bb.526:
	v_mov_b32_e32 v19, 0
	v_or_b32_e32 v30, 0x10000, v16
	v_cmp_eq_u32_sdwa vcc, v16, v19 src0_sel:WORD_0 src1_sel:DWORD
	v_cndmask_b32_e32 v19, v30, v16, vcc
; %bb.527:
	s_or_b64 exec, exec, s[28:29]
	v_lshrrev_b32_e32 v30, 16, v19
.LBB101_528:
	s_or_b64 exec, exec, s[26:27]
	s_mov_b32 s26, 0x10000
	v_cmp_gt_u32_e64 s[26:27], s26, v20
	v_lshlrev_b32_e32 v19, 16, v20
	v_mov_b32_e32 v16, v20
	s_and_saveexec_b64 s[28:29], s[26:27]
	s_cbranch_execz .LBB101_534
; %bb.529:
	v_lshlrev_b32_e32 v16, 16, v30
	v_add_f32_e32 v16, v19, v16
	s_mov_b32 s30, 0x7f800000
	v_and_b32_e32 v30, 0x7f800000, v16
	v_cmp_ne_u32_e32 vcc, s30, v30
                                        ; implicit-def: $vgpr30
	s_and_saveexec_b64 s[30:31], vcc
	s_xor_b64 s[30:31], exec, s[30:31]
; %bb.530:
	v_bfe_u32 v30, v16, 16, 1
	s_movk_i32 s34, 0x7fff
	v_add3_u32 v30, v16, v30, s34
                                        ; implicit-def: $vgpr16
; %bb.531:
	s_andn2_saveexec_b64 s[30:31], s[30:31]
; %bb.532:
	v_mov_b32_e32 v30, 0
	v_or_b32_e32 v31, 0x10000, v16
	v_cmp_eq_u32_sdwa vcc, v16, v30 src0_sel:WORD_0 src1_sel:DWORD
	v_cndmask_b32_e32 v30, v31, v16, vcc
; %bb.533:
	s_or_b64 exec, exec, s[30:31]
	v_lshrrev_b32_e32 v16, 16, v30
.LBB101_534:
	s_or_b64 exec, exec, s[28:29]
	s_mov_b32 s28, 0x10000
	v_cmp_gt_u32_e32 vcc, s28, v15
	v_mov_b32_e32 v30, v15
	s_and_saveexec_b64 s[28:29], vcc
	s_cbranch_execz .LBB101_540
; %bb.535:
	v_lshlrev_b32_e32 v16, 16, v16
	v_lshlrev_b32_e32 v30, 16, v15
	v_add_f32_e32 v16, v30, v16
	s_mov_b32 s30, 0x7f800000
	v_and_b32_e32 v30, 0x7f800000, v16
	v_cmp_ne_u32_e32 vcc, s30, v30
                                        ; implicit-def: $vgpr30
	s_and_saveexec_b64 s[30:31], vcc
	s_xor_b64 s[30:31], exec, s[30:31]
; %bb.536:
	v_bfe_u32 v30, v16, 16, 1
	s_movk_i32 s34, 0x7fff
	v_add3_u32 v30, v16, v30, s34
                                        ; implicit-def: $vgpr16
; %bb.537:
	s_andn2_saveexec_b64 s[30:31], s[30:31]
; %bb.538:
	v_mov_b32_e32 v30, 0
	v_or_b32_e32 v31, 0x10000, v16
	v_cmp_eq_u32_sdwa vcc, v16, v30 src0_sel:WORD_0 src1_sel:DWORD
	v_cndmask_b32_e32 v30, v31, v16, vcc
; %bb.539:
	s_or_b64 exec, exec, s[30:31]
	v_lshrrev_b32_e32 v30, 16, v30
.LBB101_540:
	s_or_b64 exec, exec, s[28:29]
	v_or_b32_e32 v31, v25, v24
	v_or3_b32 v31, v31, v26, v27
	v_or_b32_e32 v16, v21, v20
	v_or3_b32 v31, v31, v28, v29
	v_or3_b32 v16, v16, v22, v23
	;; [unrolled: 1-line block ×4, first 2 shown]
	v_and_b32_e32 v15, 0xff0000, v15
	v_and_b32_e32 v32, 0x10000, v17
	v_mov_b32_e32 v16, 0x10000
	v_cmp_eq_u32_e32 vcc, 0, v15
	v_cndmask_b32_e32 v32, v16, v32, vcc
	v_or_b32_sdwa v16, v30, v32 dst_sel:DWORD dst_unused:UNUSED_PAD src0_sel:WORD_0 src1_sel:DWORD
	v_cmp_eq_u32_e32 vcc, 0, v32
	v_mov_b32_e32 v31, v30
	v_mov_b32_dpp v33, v16 row_shr:1 row_mask:0xf bank_mask:0xf
	s_and_saveexec_b64 s[28:29], vcc
	s_xor_b64 s[28:29], exec, s[28:29]
	s_cbranch_execz .LBB101_546
; %bb.541:
	v_mov_b32_e32 v31, 16
	v_lshlrev_b32_e32 v15, 16, v33
	v_lshlrev_b32_sdwa v31, v31, v30 dst_sel:DWORD dst_unused:UNUSED_PAD src0_sel:DWORD src1_sel:WORD_0
	v_add_f32_e32 v15, v31, v15
	s_mov_b32 s30, 0x7f800000
	v_and_b32_e32 v31, 0x7f800000, v15
	v_cmp_ne_u32_e32 vcc, s30, v31
                                        ; implicit-def: $vgpr31
	s_and_saveexec_b64 s[30:31], vcc
	s_xor_b64 s[30:31], exec, s[30:31]
; %bb.542:
	v_bfe_u32 v31, v15, 16, 1
	s_movk_i32 s34, 0x7fff
	v_add3_u32 v31, v15, v31, s34
                                        ; implicit-def: $vgpr15
; %bb.543:
	s_andn2_saveexec_b64 s[30:31], s[30:31]
; %bb.544:
	v_mov_b32_e32 v31, 0
	v_or_b32_e32 v34, 0x10000, v15
	v_cmp_eq_u32_sdwa vcc, v15, v31 src0_sel:WORD_0 src1_sel:DWORD
	v_cndmask_b32_e32 v31, v34, v15, vcc
; %bb.545:
	s_or_b64 exec, exec, s[30:31]
	v_lshrrev_b32_e32 v31, 16, v31
.LBB101_546:
	s_or_b64 exec, exec, s[28:29]
	v_and_b32_e32 v35, 0x10000, v32
	v_mov_b32_e32 v36, 1
	v_mbcnt_lo_u32_b32 v15, -1, 0
	v_and_b32_sdwa v33, v33, v36 dst_sel:DWORD dst_unused:UNUSED_PAD src0_sel:WORD_1 src1_sel:DWORD
	v_cmp_ne_u32_e32 vcc, 0, v35
	v_mbcnt_hi_u32_b32 v15, -1, v15
	v_cndmask_b32_e64 v33, v33, 1, vcc
	v_and_b32_e32 v34, 15, v15
	v_lshlrev_b32_e32 v35, 16, v33
	v_or_b32_sdwa v35, v35, v31 dst_sel:DWORD dst_unused:UNUSED_PAD src0_sel:DWORD src1_sel:WORD_0
	v_cmp_eq_u32_e32 vcc, 0, v34
	v_cndmask_b32_e32 v16, v35, v16, vcc
	s_mov_b32 s28, 0x10000
	v_cmp_gt_u32_e64 s[28:29], s28, v16
	v_mov_b32_dpp v35, v16 row_shr:2 row_mask:0xf bank_mask:0xf
	v_mov_b32_e32 v36, v16
	s_and_saveexec_b64 s[30:31], s[28:29]
	s_cbranch_execz .LBB101_552
; %bb.547:
	v_lshlrev_b32_e32 v36, 16, v35
	v_lshlrev_b32_e32 v37, 16, v16
	v_add_f32_e32 v36, v36, v37
	s_mov_b32 s28, 0x7f800000
	v_and_b32_e32 v37, 0x7f800000, v36
	v_cmp_ne_u32_e64 s[28:29], s28, v37
                                        ; implicit-def: $vgpr37
	s_and_saveexec_b64 s[34:35], s[28:29]
	s_xor_b64 s[28:29], exec, s[34:35]
; %bb.548:
	v_bfe_u32 v37, v36, 16, 1
	s_movk_i32 s34, 0x7fff
	v_add3_u32 v37, v36, v37, s34
                                        ; implicit-def: $vgpr36
; %bb.549:
	s_andn2_saveexec_b64 s[34:35], s[28:29]
; %bb.550:
	v_mov_b32_e32 v37, 0
	v_or_b32_e32 v38, 0x10000, v36
	v_cmp_eq_u32_sdwa s[28:29], v36, v37 src0_sel:WORD_0 src1_sel:DWORD
	v_cndmask_b32_e64 v37, v38, v36, s[28:29]
; %bb.551:
	s_or_b64 exec, exec, s[34:35]
	v_lshrrev_b32_e32 v36, 16, v37
.LBB101_552:
	s_or_b64 exec, exec, s[30:31]
	v_cndmask_b32_e32 v31, v31, v30, vcc
	v_cndmask_b32_sdwa v30, v33, v32, vcc dst_sel:DWORD dst_unused:UNUSED_PAD src0_sel:DWORD src1_sel:WORD_1
	v_lshrrev_b32_e32 v32, 16, v16
	v_cmp_lt_u32_e32 vcc, 1, v34
	v_mov_b32_e32 v33, v16
	s_and_saveexec_b64 s[28:29], vcc
	s_cbranch_execz .LBB101_554
; %bb.553:
	v_and_b32_e32 v16, 0x10000, v16
	v_mov_b32_e32 v30, 1
	v_and_b32_sdwa v30, v35, v30 dst_sel:DWORD dst_unused:UNUSED_PAD src0_sel:WORD_1 src1_sel:DWORD
	v_cmp_ne_u32_e32 vcc, 0, v16
	v_cndmask_b32_e64 v30, v30, 1, vcc
	v_lshlrev_b32_e32 v16, 16, v30
	v_or_b32_sdwa v33, v16, v36 dst_sel:DWORD dst_unused:UNUSED_PAD src0_sel:DWORD src1_sel:WORD_0
	v_mov_b32_e32 v31, v36
	v_mov_b32_e32 v32, v30
	v_mov_b32_e32 v16, v36
.LBB101_554:
	s_or_b64 exec, exec, s[28:29]
	v_mov_b32_dpp v35, v33 row_shr:4 row_mask:0xf bank_mask:0xf
	v_cmp_eq_u16_e32 vcc, 0, v32
	v_mov_b32_e32 v36, v16
	s_and_saveexec_b64 s[28:29], vcc
	s_cbranch_execz .LBB101_560
; %bb.555:
	v_lshlrev_b32_e32 v36, 16, v35
	v_lshlrev_b32_e32 v37, 16, v16
	v_add_f32_e32 v36, v37, v36
	s_mov_b32 s30, 0x7f800000
	v_and_b32_e32 v37, 0x7f800000, v36
	v_cmp_ne_u32_e32 vcc, s30, v37
                                        ; implicit-def: $vgpr37
	s_and_saveexec_b64 s[30:31], vcc
	s_xor_b64 s[30:31], exec, s[30:31]
; %bb.556:
	v_bfe_u32 v37, v36, 16, 1
	s_movk_i32 s34, 0x7fff
	v_add3_u32 v37, v36, v37, s34
                                        ; implicit-def: $vgpr36
; %bb.557:
	s_andn2_saveexec_b64 s[30:31], s[30:31]
; %bb.558:
	v_mov_b32_e32 v37, 0
	v_or_b32_e32 v38, 0x10000, v36
	v_cmp_eq_u32_sdwa vcc, v36, v37 src0_sel:WORD_0 src1_sel:DWORD
	v_cndmask_b32_e32 v37, v38, v36, vcc
; %bb.559:
	s_or_b64 exec, exec, s[30:31]
	v_lshrrev_b32_e32 v36, 16, v37
.LBB101_560:
	s_or_b64 exec, exec, s[28:29]
	v_cmp_lt_u32_e32 vcc, 3, v34
	s_and_saveexec_b64 s[28:29], vcc
	s_cbranch_execz .LBB101_562
; %bb.561:
	v_and_b32_e32 v16, 1, v32
	v_mov_b32_e32 v30, 1
	v_and_b32_sdwa v30, v35, v30 dst_sel:DWORD dst_unused:UNUSED_PAD src0_sel:WORD_1 src1_sel:DWORD
	v_cmp_eq_u32_e32 vcc, 1, v16
	v_cndmask_b32_e64 v30, v30, 1, vcc
	v_lshlrev_b32_e32 v16, 16, v30
	v_or_b32_sdwa v33, v16, v36 dst_sel:DWORD dst_unused:UNUSED_PAD src0_sel:DWORD src1_sel:WORD_0
	v_mov_b32_e32 v31, v36
	v_mov_b32_e32 v32, v30
	;; [unrolled: 1-line block ×3, first 2 shown]
.LBB101_562:
	s_or_b64 exec, exec, s[28:29]
	v_mov_b32_dpp v35, v33 row_shr:8 row_mask:0xf bank_mask:0xf
	v_cmp_eq_u16_e32 vcc, 0, v32
	v_mov_b32_e32 v36, v16
	s_and_saveexec_b64 s[28:29], vcc
	s_cbranch_execz .LBB101_568
; %bb.563:
	v_lshlrev_b32_e32 v36, 16, v35
	v_lshlrev_b32_e32 v37, 16, v16
	v_add_f32_e32 v36, v37, v36
	s_mov_b32 s30, 0x7f800000
	v_and_b32_e32 v37, 0x7f800000, v36
	v_cmp_ne_u32_e32 vcc, s30, v37
                                        ; implicit-def: $vgpr37
	s_and_saveexec_b64 s[30:31], vcc
	s_xor_b64 s[30:31], exec, s[30:31]
; %bb.564:
	v_bfe_u32 v37, v36, 16, 1
	s_movk_i32 s34, 0x7fff
	v_add3_u32 v37, v36, v37, s34
                                        ; implicit-def: $vgpr36
; %bb.565:
	s_andn2_saveexec_b64 s[30:31], s[30:31]
; %bb.566:
	v_mov_b32_e32 v37, 0
	v_or_b32_e32 v38, 0x10000, v36
	v_cmp_eq_u32_sdwa vcc, v36, v37 src0_sel:WORD_0 src1_sel:DWORD
	v_cndmask_b32_e32 v37, v38, v36, vcc
; %bb.567:
	s_or_b64 exec, exec, s[30:31]
	v_lshrrev_b32_e32 v36, 16, v37
.LBB101_568:
	s_or_b64 exec, exec, s[28:29]
	v_cmp_lt_u32_e32 vcc, 7, v34
	s_and_saveexec_b64 s[28:29], vcc
	s_cbranch_execz .LBB101_570
; %bb.569:
	v_and_b32_e32 v16, 1, v32
	v_mov_b32_e32 v30, 1
	v_and_b32_sdwa v30, v35, v30 dst_sel:DWORD dst_unused:UNUSED_PAD src0_sel:WORD_1 src1_sel:DWORD
	v_cmp_eq_u32_e32 vcc, 1, v16
	v_cndmask_b32_e64 v30, v30, 1, vcc
	v_lshlrev_b32_e32 v16, 16, v30
	v_or_b32_sdwa v33, v16, v36 dst_sel:DWORD dst_unused:UNUSED_PAD src0_sel:DWORD src1_sel:WORD_0
	v_mov_b32_e32 v31, v36
	v_mov_b32_e32 v32, v30
	;; [unrolled: 1-line block ×3, first 2 shown]
.LBB101_570:
	s_or_b64 exec, exec, s[28:29]
	v_mov_b32_dpp v34, v33 row_bcast:15 row_mask:0xf bank_mask:0xf
	v_cmp_eq_u16_e32 vcc, 0, v32
	v_mov_b32_e32 v35, v16
	s_and_saveexec_b64 s[28:29], vcc
	s_cbranch_execz .LBB101_576
; %bb.571:
	v_lshlrev_b32_e32 v35, 16, v34
	v_lshlrev_b32_e32 v36, 16, v16
	v_add_f32_e32 v35, v36, v35
	s_mov_b32 s30, 0x7f800000
	v_and_b32_e32 v36, 0x7f800000, v35
	v_cmp_ne_u32_e32 vcc, s30, v36
                                        ; implicit-def: $vgpr36
	s_and_saveexec_b64 s[30:31], vcc
	s_xor_b64 s[30:31], exec, s[30:31]
; %bb.572:
	v_bfe_u32 v36, v35, 16, 1
	s_movk_i32 s34, 0x7fff
	v_add3_u32 v36, v35, v36, s34
                                        ; implicit-def: $vgpr35
; %bb.573:
	s_andn2_saveexec_b64 s[30:31], s[30:31]
; %bb.574:
	v_mov_b32_e32 v36, 0
	v_or_b32_e32 v37, 0x10000, v35
	v_cmp_eq_u32_sdwa vcc, v35, v36 src0_sel:WORD_0 src1_sel:DWORD
	v_cndmask_b32_e32 v36, v37, v35, vcc
; %bb.575:
	s_or_b64 exec, exec, s[30:31]
	v_lshrrev_b32_e32 v35, 16, v36
.LBB101_576:
	s_or_b64 exec, exec, s[28:29]
	v_and_b32_e32 v36, 16, v15
	v_cmp_ne_u32_e32 vcc, 0, v36
	s_and_saveexec_b64 s[28:29], vcc
	s_cbranch_execz .LBB101_578
; %bb.577:
	v_and_b32_e32 v16, 1, v32
	v_mov_b32_e32 v30, 1
	v_and_b32_sdwa v30, v34, v30 dst_sel:DWORD dst_unused:UNUSED_PAD src0_sel:WORD_1 src1_sel:DWORD
	v_cmp_eq_u32_e32 vcc, 1, v16
	v_cndmask_b32_e64 v30, v30, 1, vcc
	v_lshlrev_b32_e32 v16, 16, v30
	v_or_b32_sdwa v33, v16, v35 dst_sel:DWORD dst_unused:UNUSED_PAD src0_sel:DWORD src1_sel:WORD_0
	v_mov_b32_e32 v31, v35
	v_mov_b32_e32 v32, v30
	v_mov_b32_e32 v16, v35
.LBB101_578:
	s_or_b64 exec, exec, s[28:29]
	v_mov_b32_dpp v33, v33 row_bcast:31 row_mask:0xf bank_mask:0xf
	v_cmp_eq_u16_e32 vcc, 0, v32
	s_and_saveexec_b64 s[28:29], vcc
	s_cbranch_execz .LBB101_584
; %bb.579:
	v_lshlrev_b32_e32 v34, 16, v33
	v_lshlrev_b32_e32 v16, 16, v16
	v_add_f32_e32 v16, v16, v34
	s_mov_b32 s30, 0x7f800000
	v_and_b32_e32 v34, 0x7f800000, v16
	v_cmp_ne_u32_e32 vcc, s30, v34
                                        ; implicit-def: $vgpr34
	s_and_saveexec_b64 s[30:31], vcc
	s_xor_b64 s[30:31], exec, s[30:31]
; %bb.580:
	v_bfe_u32 v34, v16, 16, 1
	s_movk_i32 s34, 0x7fff
	v_add3_u32 v34, v16, v34, s34
                                        ; implicit-def: $vgpr16
; %bb.581:
	s_andn2_saveexec_b64 s[30:31], s[30:31]
; %bb.582:
	v_mov_b32_e32 v34, 0
	v_or_b32_e32 v35, 0x10000, v16
	v_cmp_eq_u32_sdwa vcc, v16, v34 src0_sel:WORD_0 src1_sel:DWORD
	v_cndmask_b32_e32 v34, v35, v16, vcc
; %bb.583:
	s_or_b64 exec, exec, s[30:31]
	v_lshrrev_b32_e32 v16, 16, v34
.LBB101_584:
	s_or_b64 exec, exec, s[28:29]
	v_and_b32_e32 v32, 1, v32
	v_mov_b32_e32 v34, 1
	v_and_b32_sdwa v33, v33, v34 dst_sel:DWORD dst_unused:UNUSED_PAD src0_sel:WORD_1 src1_sel:DWORD
	v_cmp_eq_u32_e32 vcc, 1, v32
	v_cndmask_b32_e64 v32, v33, 1, vcc
	v_cmp_lt_u32_e32 vcc, 31, v15
	v_cndmask_b32_e32 v31, v31, v16, vcc
	v_cndmask_b32_e32 v16, v30, v32, vcc
	v_lshrrev_b32_e32 v30, 6, v0
	v_or_b32_e32 v32, 63, v0
	v_cmp_eq_u32_e32 vcc, v0, v32
	v_lshlrev_b32_e32 v30, 2, v30
	s_and_saveexec_b64 s[28:29], vcc
	s_cbranch_execz .LBB101_586
; %bb.585:
	ds_write_b16 v30, v31
	ds_write_b8 v30, v16 offset:2
.LBB101_586:
	s_or_b64 exec, exec, s[28:29]
	v_cmp_gt_u32_e32 vcc, 4, v0
	s_waitcnt vmcnt(0) lgkmcnt(0)
	s_barrier
	s_and_saveexec_b64 s[28:29], vcc
	s_cbranch_execz .LBB101_602
; %bb.587:
	v_lshlrev_b32_e32 v32, 2, v0
	ds_read_b32 v33, v32
	v_mov_b32_e32 v35, 0
	s_waitcnt lgkmcnt(0)
	v_lshrrev_b32_e32 v34, 16, v33
	v_mov_b32_dpp v36, v33 row_shr:1 row_mask:0xf bank_mask:0xf
	v_cmp_eq_u16_sdwa s[34:35], v34, v35 src0_sel:BYTE_0 src1_sel:DWORD
	v_mov_b32_e32 v38, v33
	s_and_saveexec_b64 s[30:31], s[34:35]
	s_cbranch_execz .LBB101_593
; %bb.588:
	v_lshlrev_b32_e32 v35, 16, v36
	v_lshlrev_b32_e32 v37, 16, v33
	v_add_f32_e32 v35, v37, v35
	s_mov_b32 s34, 0x7f800000
	v_and_b32_e32 v37, 0x7f800000, v35
	v_cmp_ne_u32_e32 vcc, s34, v37
                                        ; implicit-def: $vgpr37
	s_and_saveexec_b64 s[34:35], vcc
	s_xor_b64 s[34:35], exec, s[34:35]
; %bb.589:
	v_bfe_u32 v37, v35, 16, 1
	s_movk_i32 s39, 0x7fff
	v_add3_u32 v37, v35, v37, s39
                                        ; implicit-def: $vgpr35
; %bb.590:
	s_andn2_saveexec_b64 s[34:35], s[34:35]
; %bb.591:
	v_mov_b32_e32 v37, 0
	v_or_b32_e32 v38, 0x10000, v35
	v_cmp_eq_u32_sdwa vcc, v35, v37 src0_sel:WORD_0 src1_sel:DWORD
	v_cndmask_b32_e32 v37, v38, v35, vcc
; %bb.592:
	s_or_b64 exec, exec, s[34:35]
	v_lshrrev_b32_e32 v38, 16, v37
.LBB101_593:
	s_or_b64 exec, exec, s[30:31]
	v_and_b32_e32 v35, 3, v15
	v_cmp_ne_u32_e32 vcc, 0, v35
	v_mov_b32_e32 v37, v33
	s_and_saveexec_b64 s[30:31], vcc
	s_cbranch_execz .LBB101_595
; %bb.594:
	v_and_b32_e32 v37, 0xff000000, v33
	v_and_b32_e32 v33, 0x10000, v33
	v_mov_b32_e32 v34, 1
	v_and_b32_sdwa v34, v36, v34 dst_sel:DWORD dst_unused:UNUSED_PAD src0_sel:WORD_1 src1_sel:DWORD
	v_cmp_ne_u32_e32 vcc, 0, v33
	v_cndmask_b32_e64 v34, v34, 1, vcc
	v_lshlrev_b32_e32 v33, 16, v34
	v_and_b32_e32 v36, 0xffff, v38
	v_or3_b32 v37, v33, v37, v36
	v_mov_b32_e32 v33, v38
.LBB101_595:
	s_or_b64 exec, exec, s[30:31]
	v_and_b32_e32 v38, 0xff0000, v37
	v_mov_b32_dpp v36, v37 row_shr:2 row_mask:0xf bank_mask:0xf
	v_cmp_eq_u32_e32 vcc, 0, v38
	v_mov_b32_e32 v38, v37
	s_and_saveexec_b64 s[30:31], vcc
	s_cbranch_execz .LBB101_601
; %bb.596:
	v_lshlrev_b32_e32 v38, 16, v36
	v_lshlrev_b32_e32 v39, 16, v37
	v_add_f32_e32 v38, v39, v38
	s_mov_b32 s34, 0x7f800000
	v_and_b32_e32 v39, 0x7f800000, v38
	v_cmp_ne_u32_e32 vcc, s34, v39
                                        ; implicit-def: $vgpr39
	s_and_saveexec_b64 s[34:35], vcc
	s_xor_b64 s[34:35], exec, s[34:35]
; %bb.597:
	v_bfe_u32 v39, v38, 16, 1
	s_movk_i32 s39, 0x7fff
	v_add3_u32 v39, v38, v39, s39
                                        ; implicit-def: $vgpr38
; %bb.598:
	s_andn2_saveexec_b64 s[34:35], s[34:35]
; %bb.599:
	v_mov_b32_e32 v39, 0
	v_or_b32_e32 v40, 0x10000, v38
	v_cmp_eq_u32_sdwa vcc, v38, v39 src0_sel:WORD_0 src1_sel:DWORD
	v_cndmask_b32_e32 v39, v40, v38, vcc
; %bb.600:
	s_or_b64 exec, exec, s[34:35]
	v_lshrrev_b32_e32 v38, 16, v39
.LBB101_601:
	s_or_b64 exec, exec, s[30:31]
	v_and_b32_e32 v37, 0x10000, v37
	v_mov_b32_e32 v39, 1
	v_and_b32_sdwa v36, v36, v39 dst_sel:DWORD dst_unused:UNUSED_PAD src0_sel:WORD_1 src1_sel:DWORD
	v_cmp_eq_u32_e32 vcc, 0, v37
	v_cndmask_b32_e32 v36, 1, v36, vcc
	v_cmp_lt_u32_e32 vcc, 1, v35
	v_cndmask_b32_e32 v33, v33, v38, vcc
	v_cndmask_b32_e32 v34, v34, v36, vcc
	ds_write_b16 v32, v33
	ds_write_b8 v32, v34 offset:2
.LBB101_602:
	s_or_b64 exec, exec, s[28:29]
	v_cmp_lt_u32_e32 vcc, 63, v0
	v_mov_b32_e32 v33, 0
	v_mov_b32_e32 v32, v7
	s_waitcnt lgkmcnt(0)
	s_barrier
	s_and_saveexec_b64 s[28:29], vcc
	s_cbranch_execz .LBB101_610
; %bb.603:
	v_add_u32_e32 v32, -2, v30
	ds_read_u8 v33, v32
	v_add_u32_e32 v30, -4, v30
	ds_read_u16 v32, v30
	s_waitcnt lgkmcnt(1)
	v_cmp_eq_u16_e32 vcc, 0, v33
	v_mov_b32_e32 v33, 0x10000
	s_and_saveexec_b64 s[30:31], vcc
	s_cbranch_execz .LBB101_609
; %bb.604:
	v_mov_b32_e32 v30, 16
	v_lshlrev_b32_sdwa v30, v30, v7 dst_sel:DWORD dst_unused:UNUSED_PAD src0_sel:DWORD src1_sel:WORD_0
	s_waitcnt lgkmcnt(0)
	v_lshlrev_b32_e32 v32, 16, v32
	v_add_f32_e32 v30, v30, v32
	s_mov_b32 s34, 0x7f800000
	v_and_b32_e32 v32, 0x7f800000, v30
	v_cmp_ne_u32_e32 vcc, s34, v32
                                        ; implicit-def: $vgpr32
	s_and_saveexec_b64 s[34:35], vcc
	s_xor_b64 s[34:35], exec, s[34:35]
; %bb.605:
	v_bfe_u32 v32, v30, 16, 1
	s_movk_i32 s39, 0x7fff
	v_add3_u32 v32, v30, v32, s39
                                        ; implicit-def: $vgpr30
; %bb.606:
	s_andn2_saveexec_b64 s[34:35], s[34:35]
; %bb.607:
	v_mov_b32_e32 v32, 0
	v_or_b32_e32 v33, 0x10000, v30
	v_cmp_eq_u32_sdwa vcc, v30, v32 src0_sel:WORD_0 src1_sel:DWORD
	v_cndmask_b32_e32 v32, v33, v30, vcc
; %bb.608:
	s_or_b64 exec, exec, s[34:35]
	v_lshrrev_b32_e32 v32, 16, v32
	v_mov_b32_e32 v33, 0
.LBB101_609:
	s_or_b64 exec, exec, s[30:31]
.LBB101_610:
	s_or_b64 exec, exec, s[28:29]
	v_cmp_eq_u16_e32 vcc, 0, v16
	s_and_saveexec_b64 s[28:29], vcc
	s_cbranch_execz .LBB101_616
; %bb.611:
	s_waitcnt lgkmcnt(0)
	v_lshlrev_b32_e32 v30, 16, v32
	v_lshlrev_b32_e32 v31, 16, v31
	v_add_f32_e32 v30, v31, v30
	s_mov_b32 s30, 0x7f800000
	v_and_b32_e32 v31, 0x7f800000, v30
	v_cmp_ne_u32_e32 vcc, s30, v31
                                        ; implicit-def: $vgpr31
	s_and_saveexec_b64 s[30:31], vcc
	s_xor_b64 s[30:31], exec, s[30:31]
; %bb.612:
	v_bfe_u32 v31, v30, 16, 1
	s_movk_i32 s34, 0x7fff
	v_add3_u32 v31, v30, v31, s34
                                        ; implicit-def: $vgpr30
; %bb.613:
	s_andn2_saveexec_b64 s[30:31], s[30:31]
; %bb.614:
	v_mov_b32_e32 v31, 0
	v_or_b32_e32 v34, 0x10000, v30
	v_cmp_eq_u32_sdwa vcc, v30, v31 src0_sel:WORD_0 src1_sel:DWORD
	v_cndmask_b32_e32 v31, v34, v30, vcc
; %bb.615:
	s_or_b64 exec, exec, s[30:31]
	v_lshrrev_b32_e32 v31, 16, v31
.LBB101_616:
	s_or_b64 exec, exec, s[28:29]
	v_and_b32_e32 v16, 1, v16
	v_mov_b32_e32 v30, 0x10000
	v_cmp_eq_u32_e32 vcc, 1, v16
	v_cndmask_b32_e32 v16, v33, v30, vcc
	v_or_b32_sdwa v16, v16, v31 dst_sel:DWORD dst_unused:UNUSED_PAD src0_sel:DWORD src1_sel:WORD_0
	v_subrev_co_u32_e32 v30, vcc, 1, v15
	v_and_b32_e32 v31, 64, v15
	v_cmp_lt_i32_e64 s[28:29], v30, v31
	v_cndmask_b32_e64 v15, v30, v15, s[28:29]
	v_lshlrev_b32_e32 v15, 2, v15
	ds_bpermute_b32 v15, v15, v16
	v_cmp_eq_u32_e64 s[28:29], 0, v0
	s_waitcnt lgkmcnt(0)
	v_cndmask_b32_e32 v16, v15, v32, vcc
	v_and_b32_e32 v15, 0xff0000, v17
	v_cmp_eq_u32_e32 vcc, 0, v15
	s_and_saveexec_b64 s[30:31], vcc
	s_cbranch_execz .LBB101_653
; %bb.617:
	s_mov_b64 vcc, s[28:29]
	v_cndmask_b32_sdwa v15, v16, v7, vcc dst_sel:WORD_1 dst_unused:UNUSED_PAD src0_sel:DWORD src1_sel:DWORD
	v_add_f32_e32 v15, v18, v15
	s_mov_b32 s34, 0x7f800000
	v_and_b32_e32 v17, 0x7f800000, v15
	v_cmp_ne_u32_e32 vcc, s34, v17
                                        ; implicit-def: $vgpr17
	s_and_saveexec_b64 s[34:35], vcc
	s_xor_b64 s[34:35], exec, s[34:35]
; %bb.618:
	v_bfe_u32 v17, v15, 16, 1
	s_movk_i32 s39, 0x7fff
	v_add3_u32 v17, v15, v17, s39
                                        ; implicit-def: $vgpr15
; %bb.619:
	s_andn2_saveexec_b64 s[34:35], s[34:35]
; %bb.620:
	v_mov_b32_e32 v17, 0
	v_or_b32_e32 v18, 0x10000, v15
	v_cmp_eq_u32_sdwa vcc, v15, v17 src0_sel:WORD_0 src1_sel:DWORD
	v_cndmask_b32_e32 v17, v18, v15, vcc
; %bb.621:
	s_or_b64 exec, exec, s[34:35]
	v_lshrrev_b32_e32 v17, 16, v17
	s_or_b64 exec, exec, s[30:31]
	s_and_saveexec_b64 s[30:31], s[2:3]
	s_cbranch_execnz .LBB101_654
.LBB101_622:
	s_or_b64 exec, exec, s[30:31]
	v_and_b32_e32 v18, 0xffff, v14
	s_and_saveexec_b64 s[2:3], s[6:7]
	s_cbranch_execz .LBB101_659
.LBB101_623:
	v_lshlrev_b32_e32 v1, 16, v18
	v_add_f32_e32 v1, v2, v1
	s_mov_b32 s6, 0x7f800000
	v_and_b32_e32 v2, 0x7f800000, v1
	v_cmp_ne_u32_e32 vcc, s6, v2
                                        ; implicit-def: $vgpr2
	s_and_saveexec_b64 s[6:7], vcc
	s_xor_b64 s[6:7], exec, s[6:7]
; %bb.624:
	v_bfe_u32 v2, v1, 16, 1
	s_movk_i32 s30, 0x7fff
	v_add3_u32 v2, v1, v2, s30
                                        ; implicit-def: $vgpr1
; %bb.625:
	s_andn2_saveexec_b64 s[6:7], s[6:7]
; %bb.626:
	v_mov_b32_e32 v2, 0
	v_or_b32_e32 v13, 0x10000, v1
	v_cmp_eq_u32_sdwa vcc, v1, v2 src0_sel:WORD_0 src1_sel:DWORD
	v_cndmask_b32_e32 v2, v13, v1, vcc
; %bb.627:
	s_or_b64 exec, exec, s[6:7]
	v_lshrrev_b32_e32 v13, 16, v2
	s_or_b64 exec, exec, s[2:3]
	v_and_b32_e32 v1, 0xffff, v13
	s_and_saveexec_b64 s[2:3], s[8:9]
	s_cbranch_execnz .LBB101_660
.LBB101_628:
	s_or_b64 exec, exec, s[2:3]
	v_and_b32_e32 v2, 0xffff, v29
	s_and_saveexec_b64 s[2:3], s[10:11]
	s_cbranch_execz .LBB101_665
.LBB101_629:
	v_lshlrev_b32_e32 v3, 16, v2
	v_add_f32_e32 v3, v4, v3
	s_mov_b32 s6, 0x7f800000
	v_and_b32_e32 v4, 0x7f800000, v3
	v_cmp_ne_u32_e32 vcc, s6, v4
                                        ; implicit-def: $vgpr4
	s_and_saveexec_b64 s[6:7], vcc
	s_xor_b64 s[6:7], exec, s[6:7]
; %bb.630:
	v_bfe_u32 v4, v3, 16, 1
	s_movk_i32 s8, 0x7fff
	v_add3_u32 v4, v3, v4, s8
                                        ; implicit-def: $vgpr3
; %bb.631:
	s_andn2_saveexec_b64 s[6:7], s[6:7]
; %bb.632:
	v_mov_b32_e32 v4, 0
	v_or_b32_e32 v13, 0x10000, v3
	v_cmp_eq_u32_sdwa vcc, v3, v4 src0_sel:WORD_0 src1_sel:DWORD
	v_cndmask_b32_e32 v4, v13, v3, vcc
; %bb.633:
	s_or_b64 exec, exec, s[6:7]
	v_lshrrev_b32_e32 v28, 16, v4
	s_or_b64 exec, exec, s[2:3]
	v_and_b32_e32 v3, 0xffff, v28
	s_and_saveexec_b64 s[2:3], s[12:13]
	s_cbranch_execnz .LBB101_666
.LBB101_634:
	s_or_b64 exec, exec, s[2:3]
	v_and_b32_e32 v4, 0xffff, v27
	s_and_saveexec_b64 s[2:3], s[14:15]
	s_cbranch_execz .LBB101_671
.LBB101_635:
	v_lshlrev_b32_e32 v5, 16, v4
	v_add_f32_e32 v5, v6, v5
	s_mov_b32 s6, 0x7f800000
	v_and_b32_e32 v6, 0x7f800000, v5
	v_cmp_ne_u32_e32 vcc, s6, v6
                                        ; implicit-def: $vgpr6
	s_and_saveexec_b64 s[6:7], vcc
	s_xor_b64 s[6:7], exec, s[6:7]
; %bb.636:
	v_bfe_u32 v6, v5, 16, 1
	s_movk_i32 s8, 0x7fff
	v_add3_u32 v6, v5, v6, s8
                                        ; implicit-def: $vgpr5
; %bb.637:
	s_andn2_saveexec_b64 s[6:7], s[6:7]
; %bb.638:
	v_mov_b32_e32 v6, 0
	v_or_b32_e32 v13, 0x10000, v5
	v_cmp_eq_u32_sdwa vcc, v5, v6 src0_sel:WORD_0 src1_sel:DWORD
	v_cndmask_b32_e32 v6, v13, v5, vcc
; %bb.639:
	s_or_b64 exec, exec, s[6:7]
	v_lshrrev_b32_e32 v26, 16, v6
	s_or_b64 exec, exec, s[2:3]
	v_and_b32_e32 v5, 0xffff, v26
	s_and_saveexec_b64 s[2:3], s[16:17]
	s_cbranch_execnz .LBB101_672
.LBB101_640:
	s_or_b64 exec, exec, s[2:3]
	v_and_b32_e32 v6, 0xffff, v25
	s_and_saveexec_b64 s[2:3], s[18:19]
	s_cbranch_execz .LBB101_677
.LBB101_641:
	v_lshlrev_b32_e32 v8, 16, v6
	v_add_f32_e32 v8, v9, v8
	s_mov_b32 s6, 0x7f800000
	v_and_b32_e32 v9, 0x7f800000, v8
	v_cmp_ne_u32_e32 vcc, s6, v9
                                        ; implicit-def: $vgpr9
	s_and_saveexec_b64 s[6:7], vcc
	s_xor_b64 s[6:7], exec, s[6:7]
; %bb.642:
	v_bfe_u32 v9, v8, 16, 1
	s_movk_i32 s8, 0x7fff
	v_add3_u32 v9, v8, v9, s8
                                        ; implicit-def: $vgpr8
; %bb.643:
	s_andn2_saveexec_b64 s[6:7], s[6:7]
; %bb.644:
	v_mov_b32_e32 v9, 0
	v_or_b32_e32 v13, 0x10000, v8
	v_cmp_eq_u32_sdwa vcc, v8, v9 src0_sel:WORD_0 src1_sel:DWORD
	v_cndmask_b32_e32 v9, v13, v8, vcc
; %bb.645:
	s_or_b64 exec, exec, s[6:7]
	v_lshrrev_b32_e32 v24, 16, v9
	s_or_b64 exec, exec, s[2:3]
	v_and_b32_e32 v9, 0xffff, v24
	s_and_saveexec_b64 s[2:3], s[20:21]
	s_cbranch_execnz .LBB101_678
.LBB101_646:
	s_or_b64 exec, exec, s[2:3]
	v_and_b32_e32 v10, 0xffff, v23
	s_and_saveexec_b64 s[2:3], s[22:23]
	s_cbranch_execz .LBB101_683
.LBB101_647:
	v_lshlrev_b32_e32 v8, 16, v10
	v_add_f32_e32 v8, v11, v8
	s_mov_b32 s6, 0x7f800000
	v_and_b32_e32 v11, 0x7f800000, v8
	v_cmp_ne_u32_e32 vcc, s6, v11
                                        ; implicit-def: $vgpr11
	s_and_saveexec_b64 s[6:7], vcc
	s_xor_b64 s[6:7], exec, s[6:7]
; %bb.648:
	v_bfe_u32 v11, v8, 16, 1
	s_movk_i32 s8, 0x7fff
	v_add3_u32 v11, v8, v11, s8
                                        ; implicit-def: $vgpr8
; %bb.649:
	s_andn2_saveexec_b64 s[6:7], s[6:7]
; %bb.650:
	v_mov_b32_e32 v11, 0
	v_or_b32_e32 v13, 0x10000, v8
	v_cmp_eq_u32_sdwa vcc, v8, v11 src0_sel:WORD_0 src1_sel:DWORD
	v_cndmask_b32_e32 v11, v13, v8, vcc
; %bb.651:
	s_or_b64 exec, exec, s[6:7]
	v_lshrrev_b32_e32 v22, 16, v11
	s_or_b64 exec, exec, s[2:3]
	v_and_b32_e32 v11, 0xffff, v22
	s_and_saveexec_b64 s[2:3], s[24:25]
	s_cbranch_execnz .LBB101_684
.LBB101_652:
	s_or_b64 exec, exec, s[2:3]
	v_and_b32_e32 v12, 0xffff, v21
	s_and_saveexec_b64 s[2:3], s[26:27]
	s_cbranch_execnz .LBB101_689
	s_branch .LBB101_694
.LBB101_653:
	s_or_b64 exec, exec, s[30:31]
	s_and_saveexec_b64 s[30:31], s[2:3]
	s_cbranch_execz .LBB101_622
.LBB101_654:
	v_lshlrev_b32_e32 v14, 16, v17
	v_add_f32_e32 v1, v1, v14
	s_mov_b32 s2, 0x7f800000
	v_and_b32_e32 v14, 0x7f800000, v1
	v_cmp_ne_u32_e32 vcc, s2, v14
                                        ; implicit-def: $vgpr14
	s_and_saveexec_b64 s[2:3], vcc
	s_xor_b64 s[2:3], exec, s[2:3]
; %bb.655:
	v_bfe_u32 v14, v1, 16, 1
	s_movk_i32 s34, 0x7fff
	v_add3_u32 v14, v1, v14, s34
                                        ; implicit-def: $vgpr1
; %bb.656:
	s_andn2_saveexec_b64 s[2:3], s[2:3]
; %bb.657:
	v_mov_b32_e32 v14, 0
	v_or_b32_e32 v15, 0x10000, v1
	v_cmp_eq_u32_sdwa vcc, v1, v14 src0_sel:WORD_0 src1_sel:DWORD
	v_cndmask_b32_e32 v14, v15, v1, vcc
; %bb.658:
	s_or_b64 exec, exec, s[2:3]
	v_lshrrev_b32_e32 v14, 16, v14
	s_or_b64 exec, exec, s[30:31]
	v_and_b32_e32 v18, 0xffff, v14
	s_and_saveexec_b64 s[2:3], s[6:7]
	s_cbranch_execnz .LBB101_623
.LBB101_659:
	s_or_b64 exec, exec, s[2:3]
	v_and_b32_e32 v1, 0xffff, v13
	s_and_saveexec_b64 s[2:3], s[8:9]
	s_cbranch_execz .LBB101_628
.LBB101_660:
	v_lshlrev_b32_e32 v2, 16, v1
	v_add_f32_e32 v2, v3, v2
	s_mov_b32 s6, 0x7f800000
	v_and_b32_e32 v3, 0x7f800000, v2
	v_cmp_ne_u32_e32 vcc, s6, v3
                                        ; implicit-def: $vgpr3
	s_and_saveexec_b64 s[6:7], vcc
	s_xor_b64 s[6:7], exec, s[6:7]
; %bb.661:
	v_bfe_u32 v3, v2, 16, 1
	s_movk_i32 s8, 0x7fff
	v_add3_u32 v3, v2, v3, s8
                                        ; implicit-def: $vgpr2
; %bb.662:
	s_andn2_saveexec_b64 s[6:7], s[6:7]
; %bb.663:
	v_mov_b32_e32 v3, 0
	v_or_b32_e32 v13, 0x10000, v2
	v_cmp_eq_u32_sdwa vcc, v2, v3 src0_sel:WORD_0 src1_sel:DWORD
	v_cndmask_b32_e32 v3, v13, v2, vcc
; %bb.664:
	s_or_b64 exec, exec, s[6:7]
	v_lshrrev_b32_e32 v29, 16, v3
	s_or_b64 exec, exec, s[2:3]
	v_and_b32_e32 v2, 0xffff, v29
	s_and_saveexec_b64 s[2:3], s[10:11]
	s_cbranch_execnz .LBB101_629
.LBB101_665:
	s_or_b64 exec, exec, s[2:3]
	v_and_b32_e32 v3, 0xffff, v28
	s_and_saveexec_b64 s[2:3], s[12:13]
	s_cbranch_execz .LBB101_634
.LBB101_666:
	v_lshlrev_b32_e32 v4, 16, v3
	v_add_f32_e32 v4, v5, v4
	s_mov_b32 s6, 0x7f800000
	v_and_b32_e32 v5, 0x7f800000, v4
	v_cmp_ne_u32_e32 vcc, s6, v5
                                        ; implicit-def: $vgpr5
	s_and_saveexec_b64 s[6:7], vcc
	s_xor_b64 s[6:7], exec, s[6:7]
; %bb.667:
	v_bfe_u32 v5, v4, 16, 1
	s_movk_i32 s8, 0x7fff
	v_add3_u32 v5, v4, v5, s8
                                        ; implicit-def: $vgpr4
; %bb.668:
	s_andn2_saveexec_b64 s[6:7], s[6:7]
; %bb.669:
	v_mov_b32_e32 v5, 0
	v_or_b32_e32 v13, 0x10000, v4
	v_cmp_eq_u32_sdwa vcc, v4, v5 src0_sel:WORD_0 src1_sel:DWORD
	v_cndmask_b32_e32 v5, v13, v4, vcc
; %bb.670:
	s_or_b64 exec, exec, s[6:7]
	v_lshrrev_b32_e32 v27, 16, v5
	s_or_b64 exec, exec, s[2:3]
	v_and_b32_e32 v4, 0xffff, v27
	s_and_saveexec_b64 s[2:3], s[14:15]
	s_cbranch_execnz .LBB101_635
.LBB101_671:
	s_or_b64 exec, exec, s[2:3]
	v_and_b32_e32 v5, 0xffff, v26
	s_and_saveexec_b64 s[2:3], s[16:17]
	s_cbranch_execz .LBB101_640
.LBB101_672:
	v_lshlrev_b32_e32 v6, 16, v5
	v_add_f32_e32 v6, v8, v6
	s_mov_b32 s6, 0x7f800000
	v_and_b32_e32 v8, 0x7f800000, v6
	v_cmp_ne_u32_e32 vcc, s6, v8
                                        ; implicit-def: $vgpr8
	s_and_saveexec_b64 s[6:7], vcc
	s_xor_b64 s[6:7], exec, s[6:7]
; %bb.673:
	v_bfe_u32 v8, v6, 16, 1
	s_movk_i32 s8, 0x7fff
	v_add3_u32 v8, v6, v8, s8
                                        ; implicit-def: $vgpr6
; %bb.674:
	s_andn2_saveexec_b64 s[6:7], s[6:7]
; %bb.675:
	v_mov_b32_e32 v8, 0
	v_or_b32_e32 v13, 0x10000, v6
	v_cmp_eq_u32_sdwa vcc, v6, v8 src0_sel:WORD_0 src1_sel:DWORD
	v_cndmask_b32_e32 v8, v13, v6, vcc
; %bb.676:
	s_or_b64 exec, exec, s[6:7]
	v_lshrrev_b32_e32 v25, 16, v8
	s_or_b64 exec, exec, s[2:3]
	v_and_b32_e32 v6, 0xffff, v25
	s_and_saveexec_b64 s[2:3], s[18:19]
	s_cbranch_execnz .LBB101_641
.LBB101_677:
	s_or_b64 exec, exec, s[2:3]
	v_and_b32_e32 v9, 0xffff, v24
	s_and_saveexec_b64 s[2:3], s[20:21]
	s_cbranch_execz .LBB101_646
.LBB101_678:
	v_lshlrev_b32_e32 v8, 16, v9
	v_add_f32_e32 v8, v10, v8
	s_mov_b32 s6, 0x7f800000
	v_and_b32_e32 v10, 0x7f800000, v8
	v_cmp_ne_u32_e32 vcc, s6, v10
                                        ; implicit-def: $vgpr10
	s_and_saveexec_b64 s[6:7], vcc
	s_xor_b64 s[6:7], exec, s[6:7]
; %bb.679:
	v_bfe_u32 v10, v8, 16, 1
	s_movk_i32 s8, 0x7fff
	v_add3_u32 v10, v8, v10, s8
                                        ; implicit-def: $vgpr8
; %bb.680:
	s_andn2_saveexec_b64 s[6:7], s[6:7]
; %bb.681:
	v_mov_b32_e32 v10, 0
	v_or_b32_e32 v13, 0x10000, v8
	v_cmp_eq_u32_sdwa vcc, v8, v10 src0_sel:WORD_0 src1_sel:DWORD
	v_cndmask_b32_e32 v10, v13, v8, vcc
; %bb.682:
	s_or_b64 exec, exec, s[6:7]
	v_lshrrev_b32_e32 v23, 16, v10
	s_or_b64 exec, exec, s[2:3]
	v_and_b32_e32 v10, 0xffff, v23
	s_and_saveexec_b64 s[2:3], s[22:23]
	s_cbranch_execnz .LBB101_647
.LBB101_683:
	s_or_b64 exec, exec, s[2:3]
	v_and_b32_e32 v11, 0xffff, v22
	s_and_saveexec_b64 s[2:3], s[24:25]
	s_cbranch_execz .LBB101_652
.LBB101_684:
	v_lshlrev_b32_e32 v8, 16, v11
	v_add_f32_e32 v8, v12, v8
	s_mov_b32 s6, 0x7f800000
	v_and_b32_e32 v12, 0x7f800000, v8
	v_cmp_ne_u32_e32 vcc, s6, v12
                                        ; implicit-def: $vgpr12
	s_and_saveexec_b64 s[6:7], vcc
	s_xor_b64 s[6:7], exec, s[6:7]
; %bb.685:
	v_bfe_u32 v12, v8, 16, 1
	s_movk_i32 s8, 0x7fff
	v_add3_u32 v12, v8, v12, s8
                                        ; implicit-def: $vgpr8
; %bb.686:
	s_andn2_saveexec_b64 s[6:7], s[6:7]
; %bb.687:
	v_mov_b32_e32 v12, 0
	v_or_b32_e32 v13, 0x10000, v8
	v_cmp_eq_u32_sdwa vcc, v8, v12 src0_sel:WORD_0 src1_sel:DWORD
	v_cndmask_b32_e32 v12, v13, v8, vcc
; %bb.688:
	s_or_b64 exec, exec, s[6:7]
	v_lshrrev_b32_e32 v21, 16, v12
	s_or_b64 exec, exec, s[2:3]
	v_and_b32_e32 v12, 0xffff, v21
	s_and_saveexec_b64 s[2:3], s[26:27]
	s_cbranch_execz .LBB101_694
.LBB101_689:
	v_lshlrev_b32_e32 v8, 16, v12
	v_add_f32_e32 v8, v19, v8
	s_mov_b32 s6, 0x7f800000
	v_and_b32_e32 v13, 0x7f800000, v8
	v_cmp_ne_u32_e32 vcc, s6, v13
                                        ; implicit-def: $vgpr13
	s_and_saveexec_b64 s[6:7], vcc
	s_xor_b64 s[6:7], exec, s[6:7]
; %bb.690:
	v_bfe_u32 v13, v8, 16, 1
	s_movk_i32 s8, 0x7fff
	v_add3_u32 v13, v8, v13, s8
                                        ; implicit-def: $vgpr8
; %bb.691:
	s_andn2_saveexec_b64 s[6:7], s[6:7]
; %bb.692:
	v_mov_b32_e32 v13, 0
	v_or_b32_e32 v14, 0x10000, v8
	v_cmp_eq_u32_sdwa vcc, v8, v13 src0_sel:WORD_0 src1_sel:DWORD
	v_cndmask_b32_e32 v13, v14, v8, vcc
; %bb.693:
	s_or_b64 exec, exec, s[6:7]
	v_lshrrev_b32_e32 v20, 16, v13
.LBB101_694:
	s_or_b64 exec, exec, s[2:3]
	v_mov_b32_e32 v14, 0
	ds_read_u8 v8, v14 offset:14
	ds_read_u16 v13, v14 offset:12
	s_waitcnt lgkmcnt(1)
	v_cmp_ne_u32_sdwa s[2:3], v8, v14 src0_sel:WORD_0 src1_sel:DWORD
	s_and_b64 vcc, exec, s[2:3]
	s_cbranch_vccz .LBB101_753
; %bb.695:
	s_and_saveexec_b64 s[2:3], s[28:29]
	s_cbranch_execz .LBB101_697
.LBB101_696:
	v_lshlrev_b32_e32 v8, 16, v8
	v_mov_b32_e32 v15, 0
	s_waitcnt lgkmcnt(0)
	v_or_b32_sdwa v13, v8, v13 dst_sel:DWORD dst_unused:UNUSED_PAD src0_sel:DWORD src1_sel:WORD_0
	v_mov_b32_e32 v14, 2
	v_mov_b32_e32 v16, v7
	global_store_dwordx2 v15, v[13:14], s[36:37] offset:512
.LBB101_697:
	s_or_b64 exec, exec, s[2:3]
	v_mov_b32_e32 v7, v17
	v_mov_b32_e32 v19, v20
	;; [unrolled: 1-line block ×3, first 2 shown]
.LBB101_698:
	s_load_dwordx2 s[2:3], s[4:5], 0x18
	s_waitcnt lgkmcnt(0)
	s_add_u32 s2, s2, s44
	s_addc_u32 s3, s3, s45
	s_and_b64 vcc, exec, s[0:1]
	s_cbranch_vccz .LBB101_748
; %bb.699:
	s_add_i32 s33, s33, s38
	v_mul_u32_u24_e32 v13, 14, v0
	v_cmp_gt_u32_e32 vcc, s33, v13
	s_and_saveexec_b64 s[0:1], vcc
	s_cbranch_execz .LBB101_721
; %bb.700:
	v_or_b32_e32 v14, 1, v13
	v_cmp_gt_u32_e32 vcc, s33, v14
	s_and_saveexec_b64 s[4:5], vcc
	s_cbranch_execz .LBB101_720
; %bb.701:
	v_add_u32_e32 v14, 2, v13
	v_cmp_gt_u32_e32 vcc, s33, v14
	s_and_saveexec_b64 s[6:7], vcc
	s_cbranch_execz .LBB101_719
; %bb.702:
	v_add_u32_e32 v14, 3, v13
	;; [unrolled: 5-line block ×9, first 2 shown]
	v_cmp_gt_u32_e32 vcc, s33, v14
	s_and_saveexec_b64 s[22:23], vcc
; %bb.710:
	v_add_u32_e32 v14, 11, v13
	v_cmp_gt_u32_e32 vcc, s33, v14
	s_and_saveexec_b64 s[24:25], vcc
	s_or_b64 exec, exec, s[24:25]
; %bb.711:
	s_or_b64 exec, exec, s[22:23]
.LBB101_712:
	s_or_b64 exec, exec, s[20:21]
.LBB101_713:
	s_or_b64 exec, exec, s[18:19]
.LBB101_714:
	s_or_b64 exec, exec, s[16:17]
.LBB101_715:
	s_or_b64 exec, exec, s[14:15]
.LBB101_716:
	s_or_b64 exec, exec, s[12:13]
.LBB101_717:
	s_or_b64 exec, exec, s[10:11]
.LBB101_718:
	s_or_b64 exec, exec, s[8:9]
.LBB101_719:
	s_or_b64 exec, exec, s[6:7]
.LBB101_720:
	s_or_b64 exec, exec, s[4:5]
.LBB101_721:
	s_or_b64 exec, exec, s[0:1]
	s_mov_b32 s0, 0x5040100
	v_lshlrev_b32_e32 v29, 1, v13
	v_perm_b32 v13, v1, v8, s0
	v_perm_b32 v14, v7, v16, s0
	s_waitcnt vmcnt(0)
	s_barrier
	ds_write2_b32 v29, v14, v13 offset1:1
	v_perm_b32 v13, v5, v4, s0
	v_perm_b32 v14, v3, v2, s0
	ds_write2_b32 v29, v14, v13 offset0:2 offset1:3
	v_perm_b32 v13, v11, v10, s0
	v_perm_b32 v14, v9, v6, s0
	ds_write2_b32 v29, v14, v13 offset0:4 offset1:5
	v_perm_b32 v13, v19, v12, s0
	s_movk_i32 s0, 0xffe6
	ds_write_b32 v29, v13 offset:24
	v_mad_i32_i24 v13, v0, s0, v29
	s_waitcnt lgkmcnt(0)
	s_barrier
	ds_read_u16 v30, v13 offset:512
	ds_read_u16 v28, v13 offset:1024
	;; [unrolled: 1-line block ×13, first 2 shown]
	v_lshlrev_b32_e32 v13, 1, v0
	v_mov_b32_e32 v14, s3
	v_add_co_u32_e32 v13, vcc, s2, v13
	v_addc_co_u32_e32 v14, vcc, 0, v14, vcc
	v_cmp_gt_u32_e32 vcc, s33, v0
	s_and_saveexec_b64 s[0:1], vcc
	s_cbranch_execz .LBB101_723
; %bb.722:
	v_mul_i32_i24_e32 v31, 0xffffffe6, v0
	v_add_u32_e32 v29, v29, v31
	ds_read_u16 v29, v29
	s_waitcnt lgkmcnt(0)
	global_store_short v[13:14], v29, off
.LBB101_723:
	s_or_b64 exec, exec, s[0:1]
	v_or_b32_e32 v29, 0x100, v0
	v_cmp_gt_u32_e32 vcc, s33, v29
	s_and_saveexec_b64 s[0:1], vcc
	s_cbranch_execz .LBB101_725
; %bb.724:
	s_waitcnt lgkmcnt(12)
	global_store_short v[13:14], v30, off offset:512
.LBB101_725:
	s_or_b64 exec, exec, s[0:1]
	v_or_b32_e32 v29, 0x200, v0
	v_cmp_gt_u32_e32 vcc, s33, v29
	s_and_saveexec_b64 s[0:1], vcc
	s_cbranch_execz .LBB101_727
; %bb.726:
	s_waitcnt lgkmcnt(11)
	global_store_short v[13:14], v28, off offset:1024
.LBB101_727:
	s_or_b64 exec, exec, s[0:1]
	s_waitcnt lgkmcnt(11)
	v_or_b32_e32 v28, 0x300, v0
	v_cmp_gt_u32_e32 vcc, s33, v28
	s_and_saveexec_b64 s[0:1], vcc
	s_cbranch_execz .LBB101_729
; %bb.728:
	s_waitcnt lgkmcnt(10)
	global_store_short v[13:14], v27, off offset:1536
.LBB101_729:
	s_or_b64 exec, exec, s[0:1]
	s_waitcnt lgkmcnt(10)
	;; [unrolled: 10-line block ×6, first 2 shown]
	v_or_b32_e32 v23, 0x800, v0
	v_cmp_gt_u32_e32 vcc, s33, v23
	s_and_saveexec_b64 s[0:1], vcc
	s_cbranch_execz .LBB101_739
; %bb.738:
	v_add_co_u32_e32 v23, vcc, 0x1000, v13
	v_addc_co_u32_e32 v24, vcc, 0, v14, vcc
	s_waitcnt lgkmcnt(5)
	global_store_short v[23:24], v22, off
.LBB101_739:
	s_or_b64 exec, exec, s[0:1]
	s_waitcnt lgkmcnt(5)
	v_or_b32_e32 v22, 0x900, v0
	v_cmp_gt_u32_e32 vcc, s33, v22
	s_and_saveexec_b64 s[0:1], vcc
	s_cbranch_execz .LBB101_741
; %bb.740:
	v_add_co_u32_e32 v22, vcc, 0x1000, v13
	v_addc_co_u32_e32 v23, vcc, 0, v14, vcc
	s_waitcnt lgkmcnt(4)
	global_store_short v[22:23], v21, off offset:512
.LBB101_741:
	s_or_b64 exec, exec, s[0:1]
	s_waitcnt lgkmcnt(4)
	v_or_b32_e32 v21, 0xa00, v0
	v_cmp_gt_u32_e32 vcc, s33, v21
	s_and_saveexec_b64 s[0:1], vcc
	s_cbranch_execz .LBB101_743
; %bb.742:
	v_add_co_u32_e32 v21, vcc, 0x1000, v13
	v_addc_co_u32_e32 v22, vcc, 0, v14, vcc
	s_waitcnt lgkmcnt(3)
	global_store_short v[21:22], v20, off offset:1024
.LBB101_743:
	;; [unrolled: 12-line block ×4, first 2 shown]
	s_or_b64 exec, exec, s[0:1]
	v_or_b32_e32 v13, 0xd00, v0
	v_cmp_gt_u32_e64 s[0:1], s33, v13
	s_branch .LBB101_750
.LBB101_748:
	s_mov_b64 s[0:1], 0
                                        ; implicit-def: $vgpr15
	s_cbranch_execz .LBB101_750
; %bb.749:
	s_mov_b32 s4, 0x5040100
	v_mul_u32_u24_e32 v13, 28, v0
	v_perm_b32 v5, v6, v5, s4
	v_perm_b32 v4, v4, v3, s4
	;; [unrolled: 1-line block ×4, first 2 shown]
	s_waitcnt vmcnt(0) lgkmcnt(0)
	s_barrier
	ds_write_b128 v13, v[2:5] offset:2
	v_perm_b32 v2, v12, v11, s4
	v_perm_b32 v1, v10, v9, s4
	ds_write_b16 v13, v16
	ds_write_b64 v13, v[1:2] offset:18
	ds_write_b16 v13, v19 offset:26
	v_mul_i32_i24_e32 v1, 0xffffffe6, v0
	v_mad_u32_u24 v1, v0, 28, v1
	s_waitcnt lgkmcnt(0)
	s_barrier
	ds_read_u16 v2, v1
	ds_read_u16 v3, v1 offset:512
	ds_read_u16 v4, v1 offset:1024
	;; [unrolled: 1-line block ×13, first 2 shown]
	v_lshlrev_b32_e32 v1, 1, v0
	v_mov_b32_e32 v16, s3
	v_add_co_u32_e32 v17, vcc, s2, v1
	v_addc_co_u32_e32 v16, vcc, 0, v16, vcc
	s_waitcnt lgkmcnt(13)
	global_store_short v1, v2, s[2:3]
	s_waitcnt lgkmcnt(12)
	global_store_short v1, v3, s[2:3] offset:512
	s_waitcnt lgkmcnt(11)
	global_store_short v1, v4, s[2:3] offset:1024
	;; [unrolled: 2-line block ×7, first 2 shown]
	v_add_co_u32_e32 v1, vcc, 0x1000, v17
	v_addc_co_u32_e32 v2, vcc, 0, v16, vcc
	s_or_b64 s[0:1], s[0:1], exec
	s_waitcnt lgkmcnt(5)
	global_store_short v[1:2], v10, off
	s_waitcnt lgkmcnt(4)
	global_store_short v[1:2], v11, off offset:512
	s_waitcnt lgkmcnt(3)
	global_store_short v[1:2], v12, off offset:1024
	;; [unrolled: 2-line block ×4, first 2 shown]
.LBB101_750:
	s_and_saveexec_b64 s[4:5], s[0:1]
	s_cbranch_execz .LBB101_752
; %bb.751:
	v_lshlrev_b32_e32 v0, 1, v0
	v_mov_b32_e32 v1, s3
	v_add_co_u32_e32 v0, vcc, s2, v0
	v_addc_co_u32_e32 v1, vcc, 0, v1, vcc
	v_add_co_u32_e32 v0, vcc, 0x1000, v0
	v_addc_co_u32_e32 v1, vcc, 0, v1, vcc
	s_waitcnt lgkmcnt(0)
	global_store_short v[0:1], v15, off offset:2560
	s_endpgm
.LBB101_752:
	s_endpgm
.LBB101_753:
	v_mov_b32_e32 v14, 16
	v_lshlrev_b32_sdwa v14, v14, v7 dst_sel:DWORD dst_unused:UNUSED_PAD src0_sel:DWORD src1_sel:WORD_0
	s_waitcnt lgkmcnt(0)
	v_lshlrev_b32_e32 v13, 16, v13
	v_add_f32_e32 v13, v14, v13
	s_mov_b32 s2, 0x7f800000
	v_and_b32_e32 v14, 0x7f800000, v13
	v_cmp_eq_u32_e32 vcc, s2, v14
	v_readfirstlane_b32 s6, v13
	s_cbranch_vccnz .LBB101_755
; %bb.754:
	s_bfe_u32 s2, s6, 0x10010
	s_add_i32 s2, s6, s2
	s_add_i32 s7, s2, 0x7fff
	s_cbranch_execz .LBB101_756
	s_branch .LBB101_757
.LBB101_755:
                                        ; implicit-def: $sgpr7
.LBB101_756:
	s_and_b32 s2, s6, 0xffff
	s_or_b32 s3, s6, 0x10000
	s_cmp_eq_u32 s2, 0
	s_cselect_b32 s7, s6, s3
.LBB101_757:
	s_lshr_b32 s2, s7, 16
	v_mov_b32_e32 v13, s2
	s_and_saveexec_b64 s[2:3], s[28:29]
	s_cbranch_execnz .LBB101_696
	s_branch .LBB101_697
	.section	.rodata,"a",@progbits
	.p2align	6, 0x0
	.amdhsa_kernel _ZN7rocprim6detail25device_scan_by_key_kernelILNS0_25lookback_scan_determinismE0ELb1ENS0_26wrapped_scan_by_key_configINS_14default_configEi12hip_bfloat16EEPiN6hipcub22TransformInputIteratorIS5_NS8_6CastOpIS5_EEPS5_lEESC_S5_NS8_8EqualityENS8_3SumENS0_19lookback_scan_stateINS_5tupleIJS5_bEEELb0ELb1EEES5_EEvT2_T3_T4_T5_T6_T7_T8_mmmPKNSH_IJT9_bEEE
		.amdhsa_group_segment_fixed_size 16384
		.amdhsa_private_segment_fixed_size 0
		.amdhsa_kernarg_size 80
		.amdhsa_user_sgpr_count 6
		.amdhsa_user_sgpr_private_segment_buffer 1
		.amdhsa_user_sgpr_dispatch_ptr 0
		.amdhsa_user_sgpr_queue_ptr 0
		.amdhsa_user_sgpr_kernarg_segment_ptr 1
		.amdhsa_user_sgpr_dispatch_id 0
		.amdhsa_user_sgpr_flat_scratch_init 0
		.amdhsa_user_sgpr_private_segment_size 0
		.amdhsa_uses_dynamic_stack 0
		.amdhsa_system_sgpr_private_segment_wavefront_offset 0
		.amdhsa_system_sgpr_workgroup_id_x 1
		.amdhsa_system_sgpr_workgroup_id_y 0
		.amdhsa_system_sgpr_workgroup_id_z 0
		.amdhsa_system_sgpr_workgroup_info 0
		.amdhsa_system_vgpr_workitem_id 0
		.amdhsa_next_free_vgpr 49
		.amdhsa_next_free_sgpr 98
		.amdhsa_reserve_vcc 1
		.amdhsa_reserve_flat_scratch 0
		.amdhsa_float_round_mode_32 0
		.amdhsa_float_round_mode_16_64 0
		.amdhsa_float_denorm_mode_32 3
		.amdhsa_float_denorm_mode_16_64 3
		.amdhsa_dx10_clamp 1
		.amdhsa_ieee_mode 1
		.amdhsa_fp16_overflow 0
		.amdhsa_exception_fp_ieee_invalid_op 0
		.amdhsa_exception_fp_denorm_src 0
		.amdhsa_exception_fp_ieee_div_zero 0
		.amdhsa_exception_fp_ieee_overflow 0
		.amdhsa_exception_fp_ieee_underflow 0
		.amdhsa_exception_fp_ieee_inexact 0
		.amdhsa_exception_int_div_zero 0
	.end_amdhsa_kernel
	.section	.text._ZN7rocprim6detail25device_scan_by_key_kernelILNS0_25lookback_scan_determinismE0ELb1ENS0_26wrapped_scan_by_key_configINS_14default_configEi12hip_bfloat16EEPiN6hipcub22TransformInputIteratorIS5_NS8_6CastOpIS5_EEPS5_lEESC_S5_NS8_8EqualityENS8_3SumENS0_19lookback_scan_stateINS_5tupleIJS5_bEEELb0ELb1EEES5_EEvT2_T3_T4_T5_T6_T7_T8_mmmPKNSH_IJT9_bEEE,"axG",@progbits,_ZN7rocprim6detail25device_scan_by_key_kernelILNS0_25lookback_scan_determinismE0ELb1ENS0_26wrapped_scan_by_key_configINS_14default_configEi12hip_bfloat16EEPiN6hipcub22TransformInputIteratorIS5_NS8_6CastOpIS5_EEPS5_lEESC_S5_NS8_8EqualityENS8_3SumENS0_19lookback_scan_stateINS_5tupleIJS5_bEEELb0ELb1EEES5_EEvT2_T3_T4_T5_T6_T7_T8_mmmPKNSH_IJT9_bEEE,comdat
.Lfunc_end101:
	.size	_ZN7rocprim6detail25device_scan_by_key_kernelILNS0_25lookback_scan_determinismE0ELb1ENS0_26wrapped_scan_by_key_configINS_14default_configEi12hip_bfloat16EEPiN6hipcub22TransformInputIteratorIS5_NS8_6CastOpIS5_EEPS5_lEESC_S5_NS8_8EqualityENS8_3SumENS0_19lookback_scan_stateINS_5tupleIJS5_bEEELb0ELb1EEES5_EEvT2_T3_T4_T5_T6_T7_T8_mmmPKNSH_IJT9_bEEE, .Lfunc_end101-_ZN7rocprim6detail25device_scan_by_key_kernelILNS0_25lookback_scan_determinismE0ELb1ENS0_26wrapped_scan_by_key_configINS_14default_configEi12hip_bfloat16EEPiN6hipcub22TransformInputIteratorIS5_NS8_6CastOpIS5_EEPS5_lEESC_S5_NS8_8EqualityENS8_3SumENS0_19lookback_scan_stateINS_5tupleIJS5_bEEELb0ELb1EEES5_EEvT2_T3_T4_T5_T6_T7_T8_mmmPKNSH_IJT9_bEEE
                                        ; -- End function
	.set _ZN7rocprim6detail25device_scan_by_key_kernelILNS0_25lookback_scan_determinismE0ELb1ENS0_26wrapped_scan_by_key_configINS_14default_configEi12hip_bfloat16EEPiN6hipcub22TransformInputIteratorIS5_NS8_6CastOpIS5_EEPS5_lEESC_S5_NS8_8EqualityENS8_3SumENS0_19lookback_scan_stateINS_5tupleIJS5_bEEELb0ELb1EEES5_EEvT2_T3_T4_T5_T6_T7_T8_mmmPKNSH_IJT9_bEEE.num_vgpr, 47
	.set _ZN7rocprim6detail25device_scan_by_key_kernelILNS0_25lookback_scan_determinismE0ELb1ENS0_26wrapped_scan_by_key_configINS_14default_configEi12hip_bfloat16EEPiN6hipcub22TransformInputIteratorIS5_NS8_6CastOpIS5_EEPS5_lEESC_S5_NS8_8EqualityENS8_3SumENS0_19lookback_scan_stateINS_5tupleIJS5_bEEELb0ELb1EEES5_EEvT2_T3_T4_T5_T6_T7_T8_mmmPKNSH_IJT9_bEEE.num_agpr, 0
	.set _ZN7rocprim6detail25device_scan_by_key_kernelILNS0_25lookback_scan_determinismE0ELb1ENS0_26wrapped_scan_by_key_configINS_14default_configEi12hip_bfloat16EEPiN6hipcub22TransformInputIteratorIS5_NS8_6CastOpIS5_EEPS5_lEESC_S5_NS8_8EqualityENS8_3SumENS0_19lookback_scan_stateINS_5tupleIJS5_bEEELb0ELb1EEES5_EEvT2_T3_T4_T5_T6_T7_T8_mmmPKNSH_IJT9_bEEE.numbered_sgpr, 55
	.set _ZN7rocprim6detail25device_scan_by_key_kernelILNS0_25lookback_scan_determinismE0ELb1ENS0_26wrapped_scan_by_key_configINS_14default_configEi12hip_bfloat16EEPiN6hipcub22TransformInputIteratorIS5_NS8_6CastOpIS5_EEPS5_lEESC_S5_NS8_8EqualityENS8_3SumENS0_19lookback_scan_stateINS_5tupleIJS5_bEEELb0ELb1EEES5_EEvT2_T3_T4_T5_T6_T7_T8_mmmPKNSH_IJT9_bEEE.num_named_barrier, 0
	.set _ZN7rocprim6detail25device_scan_by_key_kernelILNS0_25lookback_scan_determinismE0ELb1ENS0_26wrapped_scan_by_key_configINS_14default_configEi12hip_bfloat16EEPiN6hipcub22TransformInputIteratorIS5_NS8_6CastOpIS5_EEPS5_lEESC_S5_NS8_8EqualityENS8_3SumENS0_19lookback_scan_stateINS_5tupleIJS5_bEEELb0ELb1EEES5_EEvT2_T3_T4_T5_T6_T7_T8_mmmPKNSH_IJT9_bEEE.private_seg_size, 0
	.set _ZN7rocprim6detail25device_scan_by_key_kernelILNS0_25lookback_scan_determinismE0ELb1ENS0_26wrapped_scan_by_key_configINS_14default_configEi12hip_bfloat16EEPiN6hipcub22TransformInputIteratorIS5_NS8_6CastOpIS5_EEPS5_lEESC_S5_NS8_8EqualityENS8_3SumENS0_19lookback_scan_stateINS_5tupleIJS5_bEEELb0ELb1EEES5_EEvT2_T3_T4_T5_T6_T7_T8_mmmPKNSH_IJT9_bEEE.uses_vcc, 1
	.set _ZN7rocprim6detail25device_scan_by_key_kernelILNS0_25lookback_scan_determinismE0ELb1ENS0_26wrapped_scan_by_key_configINS_14default_configEi12hip_bfloat16EEPiN6hipcub22TransformInputIteratorIS5_NS8_6CastOpIS5_EEPS5_lEESC_S5_NS8_8EqualityENS8_3SumENS0_19lookback_scan_stateINS_5tupleIJS5_bEEELb0ELb1EEES5_EEvT2_T3_T4_T5_T6_T7_T8_mmmPKNSH_IJT9_bEEE.uses_flat_scratch, 0
	.set _ZN7rocprim6detail25device_scan_by_key_kernelILNS0_25lookback_scan_determinismE0ELb1ENS0_26wrapped_scan_by_key_configINS_14default_configEi12hip_bfloat16EEPiN6hipcub22TransformInputIteratorIS5_NS8_6CastOpIS5_EEPS5_lEESC_S5_NS8_8EqualityENS8_3SumENS0_19lookback_scan_stateINS_5tupleIJS5_bEEELb0ELb1EEES5_EEvT2_T3_T4_T5_T6_T7_T8_mmmPKNSH_IJT9_bEEE.has_dyn_sized_stack, 0
	.set _ZN7rocprim6detail25device_scan_by_key_kernelILNS0_25lookback_scan_determinismE0ELb1ENS0_26wrapped_scan_by_key_configINS_14default_configEi12hip_bfloat16EEPiN6hipcub22TransformInputIteratorIS5_NS8_6CastOpIS5_EEPS5_lEESC_S5_NS8_8EqualityENS8_3SumENS0_19lookback_scan_stateINS_5tupleIJS5_bEEELb0ELb1EEES5_EEvT2_T3_T4_T5_T6_T7_T8_mmmPKNSH_IJT9_bEEE.has_recursion, 0
	.set _ZN7rocprim6detail25device_scan_by_key_kernelILNS0_25lookback_scan_determinismE0ELb1ENS0_26wrapped_scan_by_key_configINS_14default_configEi12hip_bfloat16EEPiN6hipcub22TransformInputIteratorIS5_NS8_6CastOpIS5_EEPS5_lEESC_S5_NS8_8EqualityENS8_3SumENS0_19lookback_scan_stateINS_5tupleIJS5_bEEELb0ELb1EEES5_EEvT2_T3_T4_T5_T6_T7_T8_mmmPKNSH_IJT9_bEEE.has_indirect_call, 0
	.section	.AMDGPU.csdata,"",@progbits
; Kernel info:
; codeLenInByte = 20616
; TotalNumSgprs: 59
; NumVgprs: 47
; ScratchSize: 0
; MemoryBound: 0
; FloatMode: 240
; IeeeMode: 1
; LDSByteSize: 16384 bytes/workgroup (compile time only)
; SGPRBlocks: 12
; VGPRBlocks: 12
; NumSGPRsForWavesPerEU: 102
; NumVGPRsForWavesPerEU: 49
; Occupancy: 4
; WaveLimiterHint : 1
; COMPUTE_PGM_RSRC2:SCRATCH_EN: 0
; COMPUTE_PGM_RSRC2:USER_SGPR: 6
; COMPUTE_PGM_RSRC2:TRAP_HANDLER: 0
; COMPUTE_PGM_RSRC2:TGID_X_EN: 1
; COMPUTE_PGM_RSRC2:TGID_Y_EN: 0
; COMPUTE_PGM_RSRC2:TGID_Z_EN: 0
; COMPUTE_PGM_RSRC2:TIDIG_COMP_CNT: 0
	.section	.text._ZN7rocprim6detail25device_scan_by_key_kernelILNS0_25lookback_scan_determinismE0ELb1ENS0_26wrapped_scan_by_key_configINS_14default_configEi12hip_bfloat16EEPiN6hipcub22TransformInputIteratorIS5_NS8_6CastOpIS5_EEPS5_lEESC_S5_NS8_8EqualityENS8_3MaxENS0_19lookback_scan_stateINS_5tupleIJS5_bEEELb1ELb1EEES5_EEvT2_T3_T4_T5_T6_T7_T8_mmmPKNSH_IJT9_bEEE,"axG",@progbits,_ZN7rocprim6detail25device_scan_by_key_kernelILNS0_25lookback_scan_determinismE0ELb1ENS0_26wrapped_scan_by_key_configINS_14default_configEi12hip_bfloat16EEPiN6hipcub22TransformInputIteratorIS5_NS8_6CastOpIS5_EEPS5_lEESC_S5_NS8_8EqualityENS8_3MaxENS0_19lookback_scan_stateINS_5tupleIJS5_bEEELb1ELb1EEES5_EEvT2_T3_T4_T5_T6_T7_T8_mmmPKNSH_IJT9_bEEE,comdat
	.protected	_ZN7rocprim6detail25device_scan_by_key_kernelILNS0_25lookback_scan_determinismE0ELb1ENS0_26wrapped_scan_by_key_configINS_14default_configEi12hip_bfloat16EEPiN6hipcub22TransformInputIteratorIS5_NS8_6CastOpIS5_EEPS5_lEESC_S5_NS8_8EqualityENS8_3MaxENS0_19lookback_scan_stateINS_5tupleIJS5_bEEELb1ELb1EEES5_EEvT2_T3_T4_T5_T6_T7_T8_mmmPKNSH_IJT9_bEEE ; -- Begin function _ZN7rocprim6detail25device_scan_by_key_kernelILNS0_25lookback_scan_determinismE0ELb1ENS0_26wrapped_scan_by_key_configINS_14default_configEi12hip_bfloat16EEPiN6hipcub22TransformInputIteratorIS5_NS8_6CastOpIS5_EEPS5_lEESC_S5_NS8_8EqualityENS8_3MaxENS0_19lookback_scan_stateINS_5tupleIJS5_bEEELb1ELb1EEES5_EEvT2_T3_T4_T5_T6_T7_T8_mmmPKNSH_IJT9_bEEE
	.globl	_ZN7rocprim6detail25device_scan_by_key_kernelILNS0_25lookback_scan_determinismE0ELb1ENS0_26wrapped_scan_by_key_configINS_14default_configEi12hip_bfloat16EEPiN6hipcub22TransformInputIteratorIS5_NS8_6CastOpIS5_EEPS5_lEESC_S5_NS8_8EqualityENS8_3MaxENS0_19lookback_scan_stateINS_5tupleIJS5_bEEELb1ELb1EEES5_EEvT2_T3_T4_T5_T6_T7_T8_mmmPKNSH_IJT9_bEEE
	.p2align	8
	.type	_ZN7rocprim6detail25device_scan_by_key_kernelILNS0_25lookback_scan_determinismE0ELb1ENS0_26wrapped_scan_by_key_configINS_14default_configEi12hip_bfloat16EEPiN6hipcub22TransformInputIteratorIS5_NS8_6CastOpIS5_EEPS5_lEESC_S5_NS8_8EqualityENS8_3MaxENS0_19lookback_scan_stateINS_5tupleIJS5_bEEELb1ELb1EEES5_EEvT2_T3_T4_T5_T6_T7_T8_mmmPKNSH_IJT9_bEEE,@function
_ZN7rocprim6detail25device_scan_by_key_kernelILNS0_25lookback_scan_determinismE0ELb1ENS0_26wrapped_scan_by_key_configINS_14default_configEi12hip_bfloat16EEPiN6hipcub22TransformInputIteratorIS5_NS8_6CastOpIS5_EEPS5_lEESC_S5_NS8_8EqualityENS8_3MaxENS0_19lookback_scan_stateINS_5tupleIJS5_bEEELb1ELb1EEES5_EEvT2_T3_T4_T5_T6_T7_T8_mmmPKNSH_IJT9_bEEE: ; @_ZN7rocprim6detail25device_scan_by_key_kernelILNS0_25lookback_scan_determinismE0ELb1ENS0_26wrapped_scan_by_key_configINS_14default_configEi12hip_bfloat16EEPiN6hipcub22TransformInputIteratorIS5_NS8_6CastOpIS5_EEPS5_lEESC_S5_NS8_8EqualityENS8_3MaxENS0_19lookback_scan_stateINS_5tupleIJS5_bEEELb1ELb1EEES5_EEvT2_T3_T4_T5_T6_T7_T8_mmmPKNSH_IJT9_bEEE
; %bb.0:
	s_endpgm
	.section	.rodata,"a",@progbits
	.p2align	6, 0x0
	.amdhsa_kernel _ZN7rocprim6detail25device_scan_by_key_kernelILNS0_25lookback_scan_determinismE0ELb1ENS0_26wrapped_scan_by_key_configINS_14default_configEi12hip_bfloat16EEPiN6hipcub22TransformInputIteratorIS5_NS8_6CastOpIS5_EEPS5_lEESC_S5_NS8_8EqualityENS8_3MaxENS0_19lookback_scan_stateINS_5tupleIJS5_bEEELb1ELb1EEES5_EEvT2_T3_T4_T5_T6_T7_T8_mmmPKNSH_IJT9_bEEE
		.amdhsa_group_segment_fixed_size 0
		.amdhsa_private_segment_fixed_size 0
		.amdhsa_kernarg_size 80
		.amdhsa_user_sgpr_count 6
		.amdhsa_user_sgpr_private_segment_buffer 1
		.amdhsa_user_sgpr_dispatch_ptr 0
		.amdhsa_user_sgpr_queue_ptr 0
		.amdhsa_user_sgpr_kernarg_segment_ptr 1
		.amdhsa_user_sgpr_dispatch_id 0
		.amdhsa_user_sgpr_flat_scratch_init 0
		.amdhsa_user_sgpr_private_segment_size 0
		.amdhsa_uses_dynamic_stack 0
		.amdhsa_system_sgpr_private_segment_wavefront_offset 0
		.amdhsa_system_sgpr_workgroup_id_x 1
		.amdhsa_system_sgpr_workgroup_id_y 0
		.amdhsa_system_sgpr_workgroup_id_z 0
		.amdhsa_system_sgpr_workgroup_info 0
		.amdhsa_system_vgpr_workitem_id 0
		.amdhsa_next_free_vgpr 1
		.amdhsa_next_free_sgpr 0
		.amdhsa_reserve_vcc 0
		.amdhsa_reserve_flat_scratch 0
		.amdhsa_float_round_mode_32 0
		.amdhsa_float_round_mode_16_64 0
		.amdhsa_float_denorm_mode_32 3
		.amdhsa_float_denorm_mode_16_64 3
		.amdhsa_dx10_clamp 1
		.amdhsa_ieee_mode 1
		.amdhsa_fp16_overflow 0
		.amdhsa_exception_fp_ieee_invalid_op 0
		.amdhsa_exception_fp_denorm_src 0
		.amdhsa_exception_fp_ieee_div_zero 0
		.amdhsa_exception_fp_ieee_overflow 0
		.amdhsa_exception_fp_ieee_underflow 0
		.amdhsa_exception_fp_ieee_inexact 0
		.amdhsa_exception_int_div_zero 0
	.end_amdhsa_kernel
	.section	.text._ZN7rocprim6detail25device_scan_by_key_kernelILNS0_25lookback_scan_determinismE0ELb1ENS0_26wrapped_scan_by_key_configINS_14default_configEi12hip_bfloat16EEPiN6hipcub22TransformInputIteratorIS5_NS8_6CastOpIS5_EEPS5_lEESC_S5_NS8_8EqualityENS8_3MaxENS0_19lookback_scan_stateINS_5tupleIJS5_bEEELb1ELb1EEES5_EEvT2_T3_T4_T5_T6_T7_T8_mmmPKNSH_IJT9_bEEE,"axG",@progbits,_ZN7rocprim6detail25device_scan_by_key_kernelILNS0_25lookback_scan_determinismE0ELb1ENS0_26wrapped_scan_by_key_configINS_14default_configEi12hip_bfloat16EEPiN6hipcub22TransformInputIteratorIS5_NS8_6CastOpIS5_EEPS5_lEESC_S5_NS8_8EqualityENS8_3MaxENS0_19lookback_scan_stateINS_5tupleIJS5_bEEELb1ELb1EEES5_EEvT2_T3_T4_T5_T6_T7_T8_mmmPKNSH_IJT9_bEEE,comdat
.Lfunc_end102:
	.size	_ZN7rocprim6detail25device_scan_by_key_kernelILNS0_25lookback_scan_determinismE0ELb1ENS0_26wrapped_scan_by_key_configINS_14default_configEi12hip_bfloat16EEPiN6hipcub22TransformInputIteratorIS5_NS8_6CastOpIS5_EEPS5_lEESC_S5_NS8_8EqualityENS8_3MaxENS0_19lookback_scan_stateINS_5tupleIJS5_bEEELb1ELb1EEES5_EEvT2_T3_T4_T5_T6_T7_T8_mmmPKNSH_IJT9_bEEE, .Lfunc_end102-_ZN7rocprim6detail25device_scan_by_key_kernelILNS0_25lookback_scan_determinismE0ELb1ENS0_26wrapped_scan_by_key_configINS_14default_configEi12hip_bfloat16EEPiN6hipcub22TransformInputIteratorIS5_NS8_6CastOpIS5_EEPS5_lEESC_S5_NS8_8EqualityENS8_3MaxENS0_19lookback_scan_stateINS_5tupleIJS5_bEEELb1ELb1EEES5_EEvT2_T3_T4_T5_T6_T7_T8_mmmPKNSH_IJT9_bEEE
                                        ; -- End function
	.set _ZN7rocprim6detail25device_scan_by_key_kernelILNS0_25lookback_scan_determinismE0ELb1ENS0_26wrapped_scan_by_key_configINS_14default_configEi12hip_bfloat16EEPiN6hipcub22TransformInputIteratorIS5_NS8_6CastOpIS5_EEPS5_lEESC_S5_NS8_8EqualityENS8_3MaxENS0_19lookback_scan_stateINS_5tupleIJS5_bEEELb1ELb1EEES5_EEvT2_T3_T4_T5_T6_T7_T8_mmmPKNSH_IJT9_bEEE.num_vgpr, 0
	.set _ZN7rocprim6detail25device_scan_by_key_kernelILNS0_25lookback_scan_determinismE0ELb1ENS0_26wrapped_scan_by_key_configINS_14default_configEi12hip_bfloat16EEPiN6hipcub22TransformInputIteratorIS5_NS8_6CastOpIS5_EEPS5_lEESC_S5_NS8_8EqualityENS8_3MaxENS0_19lookback_scan_stateINS_5tupleIJS5_bEEELb1ELb1EEES5_EEvT2_T3_T4_T5_T6_T7_T8_mmmPKNSH_IJT9_bEEE.num_agpr, 0
	.set _ZN7rocprim6detail25device_scan_by_key_kernelILNS0_25lookback_scan_determinismE0ELb1ENS0_26wrapped_scan_by_key_configINS_14default_configEi12hip_bfloat16EEPiN6hipcub22TransformInputIteratorIS5_NS8_6CastOpIS5_EEPS5_lEESC_S5_NS8_8EqualityENS8_3MaxENS0_19lookback_scan_stateINS_5tupleIJS5_bEEELb1ELb1EEES5_EEvT2_T3_T4_T5_T6_T7_T8_mmmPKNSH_IJT9_bEEE.numbered_sgpr, 0
	.set _ZN7rocprim6detail25device_scan_by_key_kernelILNS0_25lookback_scan_determinismE0ELb1ENS0_26wrapped_scan_by_key_configINS_14default_configEi12hip_bfloat16EEPiN6hipcub22TransformInputIteratorIS5_NS8_6CastOpIS5_EEPS5_lEESC_S5_NS8_8EqualityENS8_3MaxENS0_19lookback_scan_stateINS_5tupleIJS5_bEEELb1ELb1EEES5_EEvT2_T3_T4_T5_T6_T7_T8_mmmPKNSH_IJT9_bEEE.num_named_barrier, 0
	.set _ZN7rocprim6detail25device_scan_by_key_kernelILNS0_25lookback_scan_determinismE0ELb1ENS0_26wrapped_scan_by_key_configINS_14default_configEi12hip_bfloat16EEPiN6hipcub22TransformInputIteratorIS5_NS8_6CastOpIS5_EEPS5_lEESC_S5_NS8_8EqualityENS8_3MaxENS0_19lookback_scan_stateINS_5tupleIJS5_bEEELb1ELb1EEES5_EEvT2_T3_T4_T5_T6_T7_T8_mmmPKNSH_IJT9_bEEE.private_seg_size, 0
	.set _ZN7rocprim6detail25device_scan_by_key_kernelILNS0_25lookback_scan_determinismE0ELb1ENS0_26wrapped_scan_by_key_configINS_14default_configEi12hip_bfloat16EEPiN6hipcub22TransformInputIteratorIS5_NS8_6CastOpIS5_EEPS5_lEESC_S5_NS8_8EqualityENS8_3MaxENS0_19lookback_scan_stateINS_5tupleIJS5_bEEELb1ELb1EEES5_EEvT2_T3_T4_T5_T6_T7_T8_mmmPKNSH_IJT9_bEEE.uses_vcc, 0
	.set _ZN7rocprim6detail25device_scan_by_key_kernelILNS0_25lookback_scan_determinismE0ELb1ENS0_26wrapped_scan_by_key_configINS_14default_configEi12hip_bfloat16EEPiN6hipcub22TransformInputIteratorIS5_NS8_6CastOpIS5_EEPS5_lEESC_S5_NS8_8EqualityENS8_3MaxENS0_19lookback_scan_stateINS_5tupleIJS5_bEEELb1ELb1EEES5_EEvT2_T3_T4_T5_T6_T7_T8_mmmPKNSH_IJT9_bEEE.uses_flat_scratch, 0
	.set _ZN7rocprim6detail25device_scan_by_key_kernelILNS0_25lookback_scan_determinismE0ELb1ENS0_26wrapped_scan_by_key_configINS_14default_configEi12hip_bfloat16EEPiN6hipcub22TransformInputIteratorIS5_NS8_6CastOpIS5_EEPS5_lEESC_S5_NS8_8EqualityENS8_3MaxENS0_19lookback_scan_stateINS_5tupleIJS5_bEEELb1ELb1EEES5_EEvT2_T3_T4_T5_T6_T7_T8_mmmPKNSH_IJT9_bEEE.has_dyn_sized_stack, 0
	.set _ZN7rocprim6detail25device_scan_by_key_kernelILNS0_25lookback_scan_determinismE0ELb1ENS0_26wrapped_scan_by_key_configINS_14default_configEi12hip_bfloat16EEPiN6hipcub22TransformInputIteratorIS5_NS8_6CastOpIS5_EEPS5_lEESC_S5_NS8_8EqualityENS8_3MaxENS0_19lookback_scan_stateINS_5tupleIJS5_bEEELb1ELb1EEES5_EEvT2_T3_T4_T5_T6_T7_T8_mmmPKNSH_IJT9_bEEE.has_recursion, 0
	.set _ZN7rocprim6detail25device_scan_by_key_kernelILNS0_25lookback_scan_determinismE0ELb1ENS0_26wrapped_scan_by_key_configINS_14default_configEi12hip_bfloat16EEPiN6hipcub22TransformInputIteratorIS5_NS8_6CastOpIS5_EEPS5_lEESC_S5_NS8_8EqualityENS8_3MaxENS0_19lookback_scan_stateINS_5tupleIJS5_bEEELb1ELb1EEES5_EEvT2_T3_T4_T5_T6_T7_T8_mmmPKNSH_IJT9_bEEE.has_indirect_call, 0
	.section	.AMDGPU.csdata,"",@progbits
; Kernel info:
; codeLenInByte = 4
; TotalNumSgprs: 4
; NumVgprs: 0
; ScratchSize: 0
; MemoryBound: 0
; FloatMode: 240
; IeeeMode: 1
; LDSByteSize: 0 bytes/workgroup (compile time only)
; SGPRBlocks: 0
; VGPRBlocks: 0
; NumSGPRsForWavesPerEU: 4
; NumVGPRsForWavesPerEU: 1
; Occupancy: 10
; WaveLimiterHint : 0
; COMPUTE_PGM_RSRC2:SCRATCH_EN: 0
; COMPUTE_PGM_RSRC2:USER_SGPR: 6
; COMPUTE_PGM_RSRC2:TRAP_HANDLER: 0
; COMPUTE_PGM_RSRC2:TGID_X_EN: 1
; COMPUTE_PGM_RSRC2:TGID_Y_EN: 0
; COMPUTE_PGM_RSRC2:TGID_Z_EN: 0
; COMPUTE_PGM_RSRC2:TIDIG_COMP_CNT: 0
	.section	.text._ZN7rocprim6detail25device_scan_by_key_kernelILNS0_25lookback_scan_determinismE0ELb1ENS0_26wrapped_scan_by_key_configINS_14default_configEi12hip_bfloat16EEPiN6hipcub22TransformInputIteratorIS5_NS8_6CastOpIS5_EEPS5_lEESC_S5_NS8_8EqualityENS8_3MaxENS0_19lookback_scan_stateINS_5tupleIJS5_bEEELb0ELb1EEES5_EEvT2_T3_T4_T5_T6_T7_T8_mmmPKNSH_IJT9_bEEE,"axG",@progbits,_ZN7rocprim6detail25device_scan_by_key_kernelILNS0_25lookback_scan_determinismE0ELb1ENS0_26wrapped_scan_by_key_configINS_14default_configEi12hip_bfloat16EEPiN6hipcub22TransformInputIteratorIS5_NS8_6CastOpIS5_EEPS5_lEESC_S5_NS8_8EqualityENS8_3MaxENS0_19lookback_scan_stateINS_5tupleIJS5_bEEELb0ELb1EEES5_EEvT2_T3_T4_T5_T6_T7_T8_mmmPKNSH_IJT9_bEEE,comdat
	.protected	_ZN7rocprim6detail25device_scan_by_key_kernelILNS0_25lookback_scan_determinismE0ELb1ENS0_26wrapped_scan_by_key_configINS_14default_configEi12hip_bfloat16EEPiN6hipcub22TransformInputIteratorIS5_NS8_6CastOpIS5_EEPS5_lEESC_S5_NS8_8EqualityENS8_3MaxENS0_19lookback_scan_stateINS_5tupleIJS5_bEEELb0ELb1EEES5_EEvT2_T3_T4_T5_T6_T7_T8_mmmPKNSH_IJT9_bEEE ; -- Begin function _ZN7rocprim6detail25device_scan_by_key_kernelILNS0_25lookback_scan_determinismE0ELb1ENS0_26wrapped_scan_by_key_configINS_14default_configEi12hip_bfloat16EEPiN6hipcub22TransformInputIteratorIS5_NS8_6CastOpIS5_EEPS5_lEESC_S5_NS8_8EqualityENS8_3MaxENS0_19lookback_scan_stateINS_5tupleIJS5_bEEELb0ELb1EEES5_EEvT2_T3_T4_T5_T6_T7_T8_mmmPKNSH_IJT9_bEEE
	.globl	_ZN7rocprim6detail25device_scan_by_key_kernelILNS0_25lookback_scan_determinismE0ELb1ENS0_26wrapped_scan_by_key_configINS_14default_configEi12hip_bfloat16EEPiN6hipcub22TransformInputIteratorIS5_NS8_6CastOpIS5_EEPS5_lEESC_S5_NS8_8EqualityENS8_3MaxENS0_19lookback_scan_stateINS_5tupleIJS5_bEEELb0ELb1EEES5_EEvT2_T3_T4_T5_T6_T7_T8_mmmPKNSH_IJT9_bEEE
	.p2align	8
	.type	_ZN7rocprim6detail25device_scan_by_key_kernelILNS0_25lookback_scan_determinismE0ELb1ENS0_26wrapped_scan_by_key_configINS_14default_configEi12hip_bfloat16EEPiN6hipcub22TransformInputIteratorIS5_NS8_6CastOpIS5_EEPS5_lEESC_S5_NS8_8EqualityENS8_3MaxENS0_19lookback_scan_stateINS_5tupleIJS5_bEEELb0ELb1EEES5_EEvT2_T3_T4_T5_T6_T7_T8_mmmPKNSH_IJT9_bEEE,@function
_ZN7rocprim6detail25device_scan_by_key_kernelILNS0_25lookback_scan_determinismE0ELb1ENS0_26wrapped_scan_by_key_configINS_14default_configEi12hip_bfloat16EEPiN6hipcub22TransformInputIteratorIS5_NS8_6CastOpIS5_EEPS5_lEESC_S5_NS8_8EqualityENS8_3MaxENS0_19lookback_scan_stateINS_5tupleIJS5_bEEELb0ELb1EEES5_EEvT2_T3_T4_T5_T6_T7_T8_mmmPKNSH_IJT9_bEEE: ; @_ZN7rocprim6detail25device_scan_by_key_kernelILNS0_25lookback_scan_determinismE0ELb1ENS0_26wrapped_scan_by_key_configINS_14default_configEi12hip_bfloat16EEPiN6hipcub22TransformInputIteratorIS5_NS8_6CastOpIS5_EEPS5_lEESC_S5_NS8_8EqualityENS8_3MaxENS0_19lookback_scan_stateINS_5tupleIJS5_bEEELb0ELb1EEES5_EEvT2_T3_T4_T5_T6_T7_T8_mmmPKNSH_IJT9_bEEE
; %bb.0:
	s_load_dwordx4 s[0:3], s[4:5], 0x0
	s_load_dword s54, s[4:5], 0x20
	s_load_dwordx8 s[36:43], s[4:5], 0x28
	s_load_dwordx2 s[46:47], s[4:5], 0x48
	s_mul_i32 s8, s6, 0xe00
	s_mov_b32 s9, 0
	s_lshl_b64 s[10:11], s[8:9], 2
	s_waitcnt lgkmcnt(0)
	s_add_u32 s50, s0, s10
	s_addc_u32 s51, s1, s11
	s_lshl_b64 s[44:45], s[8:9], 1
	s_add_u32 s48, s2, s44
	s_addc_u32 s49, s3, s45
	s_add_u32 s0, s40, s6
	s_addc_u32 s1, s41, 0
	s_add_u32 s8, s42, -1
	s_addc_u32 s9, s43, -1
	v_mov_b32_e32 v1, s8
	v_mov_b32_e32 v2, s9
	v_cmp_ge_u64_e64 s[0:1], s[0:1], v[1:2]
	s_mov_b64 s[2:3], -1
	s_and_b64 vcc, exec, s[0:1]
	s_mul_i32 s33, s8, 0xfffff200
	s_cbranch_vccz .LBB103_76
; %bb.1:
	s_load_dword s39, s[50:51], 0x0
	v_lshlrev_b32_e32 v3, 2, v0
	s_add_i32 s7, s33, s38
	v_mov_b32_e32 v2, s51
	v_add_co_u32_e32 v1, vcc, s50, v3
	v_addc_co_u32_e32 v2, vcc, 0, v2, vcc
	v_cmp_gt_u32_e64 s[2:3], s7, v0
	s_waitcnt lgkmcnt(0)
	v_mov_b32_e32 v4, s39
	s_and_saveexec_b64 s[8:9], s[2:3]
	s_cbranch_execz .LBB103_3
; %bb.2:
	global_load_dword v4, v[1:2], off
.LBB103_3:
	s_or_b64 exec, exec, s[8:9]
	v_or_b32_e32 v5, 0x100, v0
	v_cmp_gt_u32_e64 s[34:35], s7, v5
	v_mov_b32_e32 v5, s39
	s_and_saveexec_b64 s[8:9], s[34:35]
	s_cbranch_execz .LBB103_5
; %bb.4:
	global_load_dword v5, v[1:2], off offset:1024
.LBB103_5:
	s_or_b64 exec, exec, s[8:9]
	v_or_b32_e32 v6, 0x200, v0
	v_cmp_gt_u32_e64 s[8:9], s7, v6
	v_mov_b32_e32 v6, s39
	s_and_saveexec_b64 s[10:11], s[8:9]
	s_cbranch_execz .LBB103_7
; %bb.6:
	global_load_dword v6, v[1:2], off offset:2048
.LBB103_7:
	;; [unrolled: 9-line block ×3, first 2 shown]
	s_or_b64 exec, exec, s[12:13]
	v_or_b32_e32 v8, 0x400, v0
	v_cmp_gt_u32_e64 s[12:13], s7, v8
	v_mov_b32_e32 v8, s39
	s_and_saveexec_b64 s[14:15], s[12:13]
	s_cbranch_execz .LBB103_11
; %bb.10:
	v_add_co_u32_e32 v8, vcc, 0x1000, v1
	v_addc_co_u32_e32 v9, vcc, 0, v2, vcc
	global_load_dword v8, v[8:9], off
.LBB103_11:
	s_or_b64 exec, exec, s[14:15]
	v_or_b32_e32 v9, 0x500, v0
	v_cmp_gt_u32_e64 s[14:15], s7, v9
	v_mov_b32_e32 v9, s39
	s_and_saveexec_b64 s[16:17], s[14:15]
	s_cbranch_execz .LBB103_13
; %bb.12:
	v_add_co_u32_e32 v9, vcc, 0x1000, v1
	v_addc_co_u32_e32 v10, vcc, 0, v2, vcc
	global_load_dword v9, v[9:10], off offset:1024
.LBB103_13:
	s_or_b64 exec, exec, s[16:17]
	v_or_b32_e32 v10, 0x600, v0
	v_cmp_gt_u32_e64 s[16:17], s7, v10
	v_mov_b32_e32 v10, s39
	s_and_saveexec_b64 s[18:19], s[16:17]
	s_cbranch_execz .LBB103_15
; %bb.14:
	v_add_co_u32_e32 v10, vcc, 0x1000, v1
	v_addc_co_u32_e32 v11, vcc, 0, v2, vcc
	global_load_dword v10, v[10:11], off offset:2048
.LBB103_15:
	;; [unrolled: 11-line block ×3, first 2 shown]
	s_or_b64 exec, exec, s[20:21]
	v_or_b32_e32 v12, 0x800, v0
	v_cmp_gt_u32_e64 s[20:21], s7, v12
	v_mov_b32_e32 v12, s39
	s_and_saveexec_b64 s[22:23], s[20:21]
	s_cbranch_execz .LBB103_19
; %bb.18:
	v_add_co_u32_e32 v12, vcc, 0x2000, v1
	v_addc_co_u32_e32 v13, vcc, 0, v2, vcc
	global_load_dword v12, v[12:13], off
.LBB103_19:
	s_or_b64 exec, exec, s[22:23]
	v_or_b32_e32 v13, 0x900, v0
	v_cmp_gt_u32_e64 s[22:23], s7, v13
	v_mov_b32_e32 v13, s39
	s_and_saveexec_b64 s[24:25], s[22:23]
	s_cbranch_execz .LBB103_21
; %bb.20:
	v_add_co_u32_e32 v13, vcc, 0x2000, v1
	v_addc_co_u32_e32 v14, vcc, 0, v2, vcc
	global_load_dword v13, v[13:14], off offset:1024
.LBB103_21:
	s_or_b64 exec, exec, s[24:25]
	v_or_b32_e32 v14, 0xa00, v0
	v_cmp_gt_u32_e64 s[24:25], s7, v14
	v_mov_b32_e32 v14, s39
	s_and_saveexec_b64 s[26:27], s[24:25]
	s_cbranch_execz .LBB103_23
; %bb.22:
	v_add_co_u32_e32 v14, vcc, 0x2000, v1
	v_addc_co_u32_e32 v15, vcc, 0, v2, vcc
	global_load_dword v14, v[14:15], off offset:2048
.LBB103_23:
	;; [unrolled: 11-line block ×3, first 2 shown]
	s_or_b64 exec, exec, s[28:29]
	v_or_b32_e32 v16, 0xc00, v0
	v_cmp_gt_u32_e64 s[28:29], s7, v16
	v_mov_b32_e32 v16, s39
	s_and_saveexec_b64 s[30:31], s[28:29]
	s_cbranch_execz .LBB103_27
; %bb.26:
	v_add_co_u32_e32 v16, vcc, 0x3000, v1
	v_addc_co_u32_e32 v17, vcc, 0, v2, vcc
	global_load_dword v16, v[16:17], off
.LBB103_27:
	s_or_b64 exec, exec, s[30:31]
	v_or_b32_e32 v17, 0xd00, v0
	v_cmp_gt_u32_e64 s[30:31], s7, v17
	v_mov_b32_e32 v17, s39
	s_and_saveexec_b64 s[40:41], s[30:31]
	s_cbranch_execz .LBB103_29
; %bb.28:
	v_add_co_u32_e32 v1, vcc, 0x3000, v1
	v_addc_co_u32_e32 v2, vcc, 0, v2, vcc
	global_load_dword v17, v[1:2], off offset:1024
.LBB103_29:
	s_or_b64 exec, exec, s[40:41]
	s_waitcnt vmcnt(0)
	ds_write2st64_b32 v3, v4, v5 offset1:4
	ds_write2st64_b32 v3, v6, v7 offset0:8 offset1:12
	ds_write2st64_b32 v3, v8, v9 offset0:16 offset1:20
	;; [unrolled: 1-line block ×6, first 2 shown]
	v_mad_u32_u24 v13, v0, 52, v3
	s_waitcnt lgkmcnt(0)
	s_barrier
	ds_read2_b64 v[9:12], v13 offset1:1
	ds_read2_b64 v[5:8], v13 offset0:2 offset1:3
	ds_read2_b64 v[1:4], v13 offset0:4 offset1:5
	ds_read_b64 v[17:18], v13 offset:48
	s_load_dword s39, s[50:51], 0x0
	s_movk_i32 s40, 0xffcc
	v_mad_i32_i24 v15, v0, s40, v13
	s_movk_i32 s40, 0xff
	v_cmp_ne_u32_e32 vcc, s40, v0
	s_waitcnt lgkmcnt(0)
	v_mov_b32_e32 v40, s39
	ds_write_b32 v15, v9 offset:15360
	s_waitcnt lgkmcnt(0)
	s_barrier
	s_and_saveexec_b64 s[40:41], vcc
; %bb.30:
	ds_read_b32 v40, v15 offset:15364
; %bb.31:
	s_or_b64 exec, exec, s[40:41]
	v_lshlrev_b32_e32 v16, 1, v0
	v_mov_b32_e32 v14, s49
	v_add_co_u32_e32 v13, vcc, s48, v16
	v_addc_co_u32_e32 v14, vcc, 0, v14, vcc
	s_waitcnt lgkmcnt(0)
	s_barrier
                                        ; implicit-def: $vgpr19
	s_and_saveexec_b64 s[40:41], s[2:3]
	s_cbranch_execz .LBB103_146
; %bb.32:
	global_load_ushort v19, v[13:14], off
	s_or_b64 exec, exec, s[40:41]
                                        ; implicit-def: $vgpr20
	s_and_saveexec_b64 s[2:3], s[34:35]
	s_cbranch_execnz .LBB103_147
.LBB103_33:
	s_or_b64 exec, exec, s[2:3]
                                        ; implicit-def: $vgpr21
	s_and_saveexec_b64 s[2:3], s[8:9]
	s_cbranch_execz .LBB103_148
.LBB103_34:
	global_load_ushort v21, v[13:14], off offset:1024
	s_or_b64 exec, exec, s[2:3]
                                        ; implicit-def: $vgpr22
	s_and_saveexec_b64 s[2:3], s[10:11]
	s_cbranch_execnz .LBB103_149
.LBB103_35:
	s_or_b64 exec, exec, s[2:3]
                                        ; implicit-def: $vgpr23
	s_and_saveexec_b64 s[2:3], s[12:13]
	s_cbranch_execz .LBB103_150
.LBB103_36:
	global_load_ushort v23, v[13:14], off offset:2048
	s_or_b64 exec, exec, s[2:3]
                                        ; implicit-def: $vgpr24
	s_and_saveexec_b64 s[2:3], s[14:15]
	s_cbranch_execnz .LBB103_151
.LBB103_37:
	s_or_b64 exec, exec, s[2:3]
                                        ; implicit-def: $vgpr25
	s_and_saveexec_b64 s[2:3], s[16:17]
	s_cbranch_execz .LBB103_152
.LBB103_38:
	global_load_ushort v25, v[13:14], off offset:3072
	s_or_b64 exec, exec, s[2:3]
                                        ; implicit-def: $vgpr26
	s_and_saveexec_b64 s[2:3], s[18:19]
	s_cbranch_execnz .LBB103_153
.LBB103_39:
	s_or_b64 exec, exec, s[2:3]
                                        ; implicit-def: $vgpr27
	s_and_saveexec_b64 s[2:3], s[20:21]
	s_cbranch_execz .LBB103_154
.LBB103_40:
	v_add_co_u32_e32 v27, vcc, 0x1000, v13
	v_addc_co_u32_e32 v28, vcc, 0, v14, vcc
	global_load_ushort v27, v[27:28], off
	s_or_b64 exec, exec, s[2:3]
                                        ; implicit-def: $vgpr28
	s_and_saveexec_b64 s[2:3], s[22:23]
	s_cbranch_execnz .LBB103_155
.LBB103_41:
	s_or_b64 exec, exec, s[2:3]
                                        ; implicit-def: $vgpr29
	s_and_saveexec_b64 s[2:3], s[24:25]
	s_cbranch_execz .LBB103_156
.LBB103_42:
	v_add_co_u32_e32 v29, vcc, 0x1000, v13
	v_addc_co_u32_e32 v30, vcc, 0, v14, vcc
	global_load_ushort v29, v[29:30], off offset:1024
	s_or_b64 exec, exec, s[2:3]
                                        ; implicit-def: $vgpr30
	s_and_saveexec_b64 s[2:3], s[26:27]
	s_cbranch_execnz .LBB103_157
.LBB103_43:
	s_or_b64 exec, exec, s[2:3]
                                        ; implicit-def: $vgpr31
	s_and_saveexec_b64 s[2:3], s[28:29]
	s_cbranch_execz .LBB103_45
.LBB103_44:
	v_add_co_u32_e32 v31, vcc, 0x1000, v13
	v_addc_co_u32_e32 v32, vcc, 0, v14, vcc
	global_load_ushort v31, v[31:32], off offset:2048
.LBB103_45:
	s_or_b64 exec, exec, s[2:3]
	v_mul_u32_u24_e32 v44, 14, v0
                                        ; implicit-def: $vgpr32
	s_and_saveexec_b64 s[2:3], s[30:31]
	s_cbranch_execz .LBB103_47
; %bb.46:
	v_add_co_u32_e32 v13, vcc, 0x1000, v13
	v_addc_co_u32_e32 v14, vcc, 0, v14, vcc
	global_load_ushort v32, v[13:14], off offset:2560
.LBB103_47:
	s_or_b64 exec, exec, s[2:3]
	v_sub_u32_e32 v15, v15, v16
	s_waitcnt vmcnt(0)
	ds_write_b16 v15, v19
	ds_write_b16 v15, v20 offset:512
	ds_write_b16 v15, v21 offset:1024
	;; [unrolled: 1-line block ×13, first 2 shown]
	v_cmp_gt_u32_e32 vcc, s7, v44
	s_mov_b64 s[2:3], 0
	v_mov_b32_e32 v28, 0
	s_mov_b64 s[12:13], 0
	v_mov_b32_e32 v45, 0
	v_mov_b32_e32 v43, 0
	;; [unrolled: 1-line block ×24, first 2 shown]
	s_waitcnt lgkmcnt(0)
	s_barrier
                                        ; implicit-def: $sgpr8_sgpr9
                                        ; implicit-def: $vgpr32
	s_and_saveexec_b64 s[10:11], vcc
	s_cbranch_execz .LBB103_75
; %bb.48:
	v_mad_u32_u24 v13, v0, 26, v15
	ds_read_u16 v13, v13
	v_mov_b32_e32 v14, s54
	v_cmp_eq_u32_e32 vcc, v9, v10
	v_mov_b32_e32 v36, 0x10000
	v_mov_b32_e32 v45, 0
	s_waitcnt lgkmcnt(0)
	v_cndmask_b32_e32 v9, v14, v13, vcc
	v_or_b32_e32 v13, 1, v44
	v_cndmask_b32_e64 v28, v36, 0, vcc
	v_cmp_gt_u32_e32 vcc, s7, v13
	s_mov_b64 s[14:15], 0
	v_mov_b32_e32 v43, 0
	v_mov_b32_e32 v42, 0
	;; [unrolled: 1-line block ×22, first 2 shown]
                                        ; implicit-def: $sgpr8_sgpr9
                                        ; implicit-def: $vgpr32
	s_and_saveexec_b64 s[12:13], vcc
	s_cbranch_execz .LBB103_74
; %bb.49:
	v_mul_u32_u24_e32 v13, 26, v0
	v_add_u32_e32 v45, v15, v13
	ds_read_b128 v[13:16], v45 offset:2
	v_mov_b32_e32 v19, s54
	v_cmp_eq_u32_e32 vcc, v10, v11
	v_mov_b32_e32 v43, 0
	v_cndmask_b32_e64 v36, v36, 0, vcc
	s_waitcnt lgkmcnt(0)
	v_cndmask_b32_e32 v10, v19, v13, vcc
	v_add_u32_e32 v19, 2, v44
	v_cmp_gt_u32_e32 vcc, s7, v19
	s_mov_b64 s[16:17], 0
	v_mov_b32_e32 v42, 0
	v_mov_b32_e32 v41, 0
	v_mov_b32_e32 v39, 0
	v_mov_b32_e32 v38, 0
	v_mov_b32_e32 v37, 0
	v_mov_b32_e32 v35, 0
	v_mov_b32_e32 v34, 0
	v_mov_b32_e32 v33, 0
	v_mov_b32_e32 v31, 0
	v_mov_b32_e32 v30, 0
	v_mov_b32_e32 v29, 0
	v_mov_b32_e32 v27, 0
	v_mov_b32_e32 v26, 0
	v_mov_b32_e32 v25, 0
	v_mov_b32_e32 v24, 0
	v_mov_b32_e32 v23, 0
	v_mov_b32_e32 v22, 0
	v_mov_b32_e32 v21, 0
	v_mov_b32_e32 v20, 0
	v_mov_b32_e32 v19, 0
                                        ; implicit-def: $sgpr8_sgpr9
                                        ; implicit-def: $vgpr32
	s_and_saveexec_b64 s[14:15], vcc
	s_cbranch_execz .LBB103_73
; %bb.50:
	v_mov_b32_e32 v19, s54
	v_cmp_eq_u32_e32 vcc, v11, v12
	v_mov_b32_e32 v29, 0x10000
	v_cndmask_b32_sdwa v13, v19, v13, vcc dst_sel:DWORD dst_unused:UNUSED_PAD src0_sel:DWORD src1_sel:WORD_1
	v_add_u32_e32 v19, 3, v44
	v_cndmask_b32_e64 v11, v29, 0, vcc
	v_mov_b32_e32 v42, 0
	v_cmp_gt_u32_e32 vcc, s7, v19
	s_mov_b64 s[18:19], 0
	v_mov_b32_e32 v41, 0
	v_mov_b32_e32 v39, 0
	;; [unrolled: 1-line block ×18, first 2 shown]
                                        ; implicit-def: $sgpr8_sgpr9
                                        ; implicit-def: $vgpr32
	s_and_saveexec_b64 s[16:17], vcc
	s_cbranch_execz .LBB103_72
; %bb.51:
	v_mov_b32_e32 v19, s54
	v_cmp_eq_u32_e32 vcc, v12, v5
	v_cndmask_b32_e32 v12, v19, v14, vcc
	v_add_u32_e32 v19, 4, v44
	v_mov_b32_e32 v41, 0
	v_cndmask_b32_e64 v27, v29, 0, vcc
	v_cmp_gt_u32_e32 vcc, s7, v19
	s_mov_b64 s[20:21], 0
	v_mov_b32_e32 v39, 0
	v_mov_b32_e32 v38, 0
	;; [unrolled: 1-line block ×16, first 2 shown]
                                        ; implicit-def: $sgpr8_sgpr9
                                        ; implicit-def: $vgpr32
	s_and_saveexec_b64 s[18:19], vcc
	s_cbranch_execz .LBB103_71
; %bb.52:
	v_mov_b32_e32 v19, s54
	v_mov_b32_e32 v29, 0x10000
	v_cmp_eq_u32_e32 vcc, v5, v6
	v_add_u32_e32 v5, 5, v44
	v_cndmask_b32_e64 v26, v29, 0, vcc
	v_cndmask_b32_sdwa v14, v19, v14, vcc dst_sel:DWORD dst_unused:UNUSED_PAD src0_sel:DWORD src1_sel:WORD_1
	v_mov_b32_e32 v39, 0
	v_cmp_gt_u32_e32 vcc, s7, v5
	s_mov_b64 s[22:23], 0
	v_mov_b32_e32 v38, 0
	v_mov_b32_e32 v37, 0
	;; [unrolled: 1-line block ×14, first 2 shown]
                                        ; implicit-def: $sgpr8_sgpr9
                                        ; implicit-def: $vgpr32
	s_and_saveexec_b64 s[20:21], vcc
	s_cbranch_execz .LBB103_70
; %bb.53:
	v_mov_b32_e32 v5, s54
	v_cmp_eq_u32_e32 vcc, v6, v7
	v_cndmask_b32_e32 v25, v5, v15, vcc
	v_add_u32_e32 v5, 6, v44
	v_mov_b32_e32 v38, 0
	v_cndmask_b32_e64 v29, v29, 0, vcc
	v_cmp_gt_u32_e32 vcc, s7, v5
	s_mov_b64 s[24:25], 0
	v_mov_b32_e32 v37, 0
	v_mov_b32_e32 v35, 0
	;; [unrolled: 1-line block ×12, first 2 shown]
                                        ; implicit-def: $sgpr8_sgpr9
                                        ; implicit-def: $vgpr32
	s_and_saveexec_b64 s[22:23], vcc
	s_cbranch_execz .LBB103_69
; %bb.54:
	v_mov_b32_e32 v6, s54
	v_cmp_eq_u32_e32 vcc, v7, v8
	v_mov_b32_e32 v5, 0x10000
	v_cndmask_b32_sdwa v15, v6, v15, vcc dst_sel:DWORD dst_unused:UNUSED_PAD src0_sel:DWORD src1_sel:WORD_1
	v_add_u32_e32 v6, 7, v44
	v_cndmask_b32_e64 v7, v5, 0, vcc
	v_mov_b32_e32 v37, 0
	v_cmp_gt_u32_e32 vcc, s7, v6
	s_mov_b64 s[26:27], 0
	v_mov_b32_e32 v35, 0
	v_mov_b32_e32 v34, 0
	;; [unrolled: 1-line block ×10, first 2 shown]
                                        ; implicit-def: $sgpr8_sgpr9
                                        ; implicit-def: $vgpr32
	s_and_saveexec_b64 s[24:25], vcc
	s_cbranch_execz .LBB103_68
; %bb.55:
	v_cmp_eq_u32_e32 vcc, v8, v1
	v_mov_b32_e32 v6, s54
	v_cndmask_b32_e64 v23, v5, 0, vcc
	v_add_u32_e32 v5, 8, v44
	v_cndmask_b32_e32 v8, v6, v16, vcc
	v_mov_b32_e32 v35, 0
	v_cmp_gt_u32_e32 vcc, s7, v5
	s_mov_b64 s[28:29], 0
	v_mov_b32_e32 v34, 0
	v_mov_b32_e32 v33, 0
	;; [unrolled: 1-line block ×8, first 2 shown]
                                        ; implicit-def: $sgpr8_sgpr9
                                        ; implicit-def: $vgpr32
	s_and_saveexec_b64 s[26:27], vcc
	s_cbranch_execz .LBB103_67
; %bb.56:
	v_mov_b32_e32 v5, s54
	v_cmp_eq_u32_e32 vcc, v1, v2
	v_mov_b32_e32 v22, 0x10000
	v_cndmask_b32_sdwa v16, v5, v16, vcc dst_sel:DWORD dst_unused:UNUSED_PAD src0_sel:DWORD src1_sel:WORD_1
	v_add_u32_e32 v5, 9, v44
	v_cndmask_b32_e64 v1, v22, 0, vcc
	v_mov_b32_e32 v34, 0
	v_cmp_gt_u32_e32 vcc, s7, v5
	s_mov_b64 s[30:31], 0
	v_mov_b32_e32 v33, 0
	v_mov_b32_e32 v31, 0
	;; [unrolled: 1-line block ×6, first 2 shown]
                                        ; implicit-def: $sgpr8_sgpr9
                                        ; implicit-def: $vgpr32
	s_and_saveexec_b64 s[28:29], vcc
	s_cbranch_execz .LBB103_66
; %bb.57:
	ds_read_b64 v[5:6], v45 offset:18
	v_mov_b32_e32 v19, s54
	v_cmp_eq_u32_e32 vcc, v2, v3
	v_mov_b32_e32 v33, 0
	v_cndmask_b32_e64 v21, v22, 0, vcc
	s_waitcnt lgkmcnt(0)
	v_cndmask_b32_e32 v2, v19, v5, vcc
	v_add_u32_e32 v19, 10, v44
	v_cmp_gt_u32_e32 vcc, s7, v19
	s_mov_b64 s[34:35], 0
	v_mov_b32_e32 v31, 0
	v_mov_b32_e32 v30, 0
	;; [unrolled: 1-line block ×4, first 2 shown]
                                        ; implicit-def: $sgpr8_sgpr9
                                        ; implicit-def: $vgpr32
	s_and_saveexec_b64 s[30:31], vcc
	s_cbranch_execz .LBB103_65
; %bb.58:
	v_mov_b32_e32 v19, s54
	v_cmp_eq_u32_e32 vcc, v3, v4
	v_mov_b32_e32 v20, 0x10000
	v_cndmask_b32_sdwa v5, v19, v5, vcc dst_sel:DWORD dst_unused:UNUSED_PAD src0_sel:DWORD src1_sel:WORD_1
	v_add_u32_e32 v19, 11, v44
	v_cndmask_b32_e64 v3, v20, 0, vcc
	v_mov_b32_e32 v31, 0
	v_cmp_gt_u32_e32 vcc, s7, v19
	s_mov_b64 s[40:41], 0
	v_mov_b32_e32 v30, 0
	v_mov_b32_e32 v19, 0
                                        ; implicit-def: $sgpr8_sgpr9
                                        ; implicit-def: $vgpr32
	s_and_saveexec_b64 s[34:35], vcc
	s_cbranch_execz .LBB103_64
; %bb.59:
	v_mov_b32_e32 v19, s54
	v_cmp_eq_u32_e32 vcc, v4, v17
	v_cndmask_b32_e32 v4, v19, v6, vcc
	v_cndmask_b32_e64 v19, v20, 0, vcc
	v_add_u32_e32 v20, 12, v44
	v_mov_b32_e32 v30, 0
	v_cmp_gt_u32_e32 vcc, s7, v20
	s_mov_b64 s[42:43], 0
                                        ; implicit-def: $sgpr8_sgpr9
                                        ; implicit-def: $vgpr32
	s_and_saveexec_b64 s[40:41], vcc
	s_cbranch_execz .LBB103_63
; %bb.60:
	v_mov_b32_e32 v20, s54
	v_cmp_eq_u32_e32 vcc, v17, v18
	v_mov_b32_e32 v22, 0x10000
	v_cndmask_b32_sdwa v6, v20, v6, vcc dst_sel:DWORD dst_unused:UNUSED_PAD src0_sel:DWORD src1_sel:WORD_1
	v_add_u32_e32 v20, 13, v44
	v_cndmask_b32_e64 v17, v22, 0, vcc
	v_cmp_gt_u32_e32 vcc, s7, v20
                                        ; implicit-def: $sgpr8_sgpr9
                                        ; implicit-def: $vgpr32
	s_and_saveexec_b64 s[52:53], vcc
	s_xor_b64 s[52:53], exec, s[52:53]
	s_cbranch_execz .LBB103_62
; %bb.61:
	ds_read_u16 v20, v45 offset:26
	v_mov_b32_e32 v22, s54
	v_cmp_ne_u32_e64 s[8:9], v18, v40
	s_mov_b64 s[42:43], exec
	s_waitcnt lgkmcnt(0)
	v_cndmask_b32_e64 v32, v20, v22, s[8:9]
.LBB103_62:
	s_or_b64 exec, exec, s[52:53]
	v_or_b32_sdwa v30, v17, v6 dst_sel:DWORD dst_unused:UNUSED_PAD src0_sel:DWORD src1_sel:WORD_0
	s_and_b64 s[42:43], s[42:43], exec
.LBB103_63:
	s_or_b64 exec, exec, s[40:41]
	v_or_b32_sdwa v31, v19, v4 dst_sel:DWORD dst_unused:UNUSED_PAD src0_sel:DWORD src1_sel:WORD_0
	s_and_b64 s[40:41], s[42:43], exec
	v_mov_b32_e32 v19, v30
.LBB103_64:
	s_or_b64 exec, exec, s[34:35]
	v_or_b32_sdwa v33, v3, v5 dst_sel:DWORD dst_unused:UNUSED_PAD src0_sel:DWORD src1_sel:WORD_0
	s_and_b64 s[34:35], s[40:41], exec
	v_mov_b32_e32 v20, v31
.LBB103_65:
	s_or_b64 exec, exec, s[30:31]
	v_or_b32_sdwa v34, v21, v2 dst_sel:DWORD dst_unused:UNUSED_PAD src0_sel:DWORD src1_sel:WORD_0
	s_and_b64 s[30:31], s[34:35], exec
	v_mov_b32_e32 v21, v33
.LBB103_66:
	s_or_b64 exec, exec, s[28:29]
	v_or_b32_sdwa v35, v1, v16 dst_sel:DWORD dst_unused:UNUSED_PAD src0_sel:DWORD src1_sel:WORD_0
	s_and_b64 s[28:29], s[30:31], exec
	v_mov_b32_e32 v22, v34
.LBB103_67:
	s_or_b64 exec, exec, s[26:27]
	v_or_b32_sdwa v37, v23, v8 dst_sel:DWORD dst_unused:UNUSED_PAD src0_sel:DWORD src1_sel:WORD_0
	s_and_b64 s[26:27], s[28:29], exec
	v_mov_b32_e32 v23, v35
.LBB103_68:
	s_or_b64 exec, exec, s[24:25]
	v_or_b32_sdwa v38, v7, v15 dst_sel:DWORD dst_unused:UNUSED_PAD src0_sel:DWORD src1_sel:WORD_0
	s_and_b64 s[24:25], s[26:27], exec
	v_mov_b32_e32 v24, v37
.LBB103_69:
	s_or_b64 exec, exec, s[22:23]
	v_or_b32_sdwa v39, v29, v25 dst_sel:DWORD dst_unused:UNUSED_PAD src0_sel:DWORD src1_sel:WORD_0
	s_and_b64 s[22:23], s[24:25], exec
	v_mov_b32_e32 v25, v38
.LBB103_70:
	s_or_b64 exec, exec, s[20:21]
	v_or_b32_sdwa v41, v26, v14 dst_sel:DWORD dst_unused:UNUSED_PAD src0_sel:DWORD src1_sel:WORD_0
	s_and_b64 s[20:21], s[22:23], exec
	v_mov_b32_e32 v26, v39
.LBB103_71:
	s_or_b64 exec, exec, s[18:19]
	v_or_b32_sdwa v42, v27, v12 dst_sel:DWORD dst_unused:UNUSED_PAD src0_sel:DWORD src1_sel:WORD_0
	s_and_b64 s[18:19], s[20:21], exec
	v_mov_b32_e32 v27, v41
.LBB103_72:
	s_or_b64 exec, exec, s[16:17]
	v_or_b32_sdwa v43, v11, v13 dst_sel:DWORD dst_unused:UNUSED_PAD src0_sel:DWORD src1_sel:WORD_0
	s_and_b64 s[16:17], s[18:19], exec
	v_mov_b32_e32 v29, v42
.LBB103_73:
	s_or_b64 exec, exec, s[14:15]
	v_or_b32_sdwa v45, v36, v10 dst_sel:DWORD dst_unused:UNUSED_PAD src0_sel:DWORD src1_sel:WORD_0
	s_and_b64 s[14:15], s[16:17], exec
	v_mov_b32_e32 v13, v43
.LBB103_74:
	s_or_b64 exec, exec, s[12:13]
	v_or_b32_sdwa v28, v28, v9 dst_sel:DWORD dst_unused:UNUSED_PAD src0_sel:DWORD src1_sel:WORD_0
	s_and_b64 s[12:13], s[14:15], exec
	v_mov_b32_e32 v14, v45
.LBB103_75:
	s_or_b64 exec, exec, s[10:11]
	s_and_b64 vcc, exec, s[2:3]
	s_cbranch_vccnz .LBB103_77
	s_branch .LBB103_82
.LBB103_76:
	s_mov_b64 s[12:13], 0
                                        ; implicit-def: $sgpr8_sgpr9
                                        ; implicit-def: $vgpr28
                                        ; implicit-def: $vgpr45
                                        ; implicit-def: $vgpr43
                                        ; implicit-def: $vgpr42
                                        ; implicit-def: $vgpr41
                                        ; implicit-def: $vgpr39
                                        ; implicit-def: $vgpr38
                                        ; implicit-def: $vgpr37
                                        ; implicit-def: $vgpr35
                                        ; implicit-def: $vgpr34
                                        ; implicit-def: $vgpr33
                                        ; implicit-def: $vgpr31
                                        ; implicit-def: $vgpr30
                                        ; implicit-def: $vgpr32
                                        ; implicit-def: $vgpr14
                                        ; implicit-def: $vgpr13
                                        ; implicit-def: $vgpr29
                                        ; implicit-def: $vgpr27
                                        ; implicit-def: $vgpr26
                                        ; implicit-def: $vgpr25
                                        ; implicit-def: $vgpr24
                                        ; implicit-def: $vgpr23
                                        ; implicit-def: $vgpr22
                                        ; implicit-def: $vgpr21
                                        ; implicit-def: $vgpr20
                                        ; implicit-def: $vgpr19
	s_and_b64 vcc, exec, s[2:3]
	s_cbranch_vccz .LBB103_82
.LBB103_77:
	v_lshlrev_b32_e32 v5, 2, v0
	v_mov_b32_e32 v1, s51
	v_add_co_u32_e32 v3, vcc, s50, v5
	v_addc_co_u32_e32 v4, vcc, 0, v1, vcc
	v_add_co_u32_e32 v1, vcc, 0x1000, v3
	v_addc_co_u32_e32 v2, vcc, 0, v4, vcc
	global_load_dword v6, v5, s[50:51]
	global_load_dword v7, v5, s[50:51] offset:1024
	global_load_dword v8, v5, s[50:51] offset:2048
	;; [unrolled: 1-line block ×3, first 2 shown]
	global_load_dword v10, v[1:2], off
	global_load_dword v11, v[1:2], off offset:1024
	global_load_dword v12, v[1:2], off offset:2048
	;; [unrolled: 1-line block ×3, first 2 shown]
	v_add_co_u32_e32 v1, vcc, 0x2000, v3
	v_addc_co_u32_e32 v2, vcc, 0, v4, vcc
	v_add_co_u32_e32 v3, vcc, 0x3000, v3
	v_addc_co_u32_e32 v4, vcc, 0, v4, vcc
	global_load_dword v15, v[1:2], off
	global_load_dword v16, v[1:2], off offset:1024
	global_load_dword v17, v[1:2], off offset:2048
	;; [unrolled: 1-line block ×3, first 2 shown]
	global_load_dword v19, v[3:4], off
	global_load_dword v20, v[3:4], off offset:1024
	s_movk_i32 s2, 0xffcc
	v_mad_u32_u24 v21, v0, 52, v5
	v_mad_i32_i24 v13, v0, s2, v21
	s_movk_i32 s3, 0xff
	s_movk_i32 s7, 0x1000
	v_cmp_ne_u32_e32 vcc, s3, v0
	s_waitcnt vmcnt(12)
	ds_write2st64_b32 v5, v6, v7 offset1:4
	s_waitcnt vmcnt(10)
	ds_write2st64_b32 v5, v8, v9 offset0:8 offset1:12
	s_waitcnt vmcnt(8)
	ds_write2st64_b32 v5, v10, v11 offset0:16 offset1:20
	s_waitcnt vmcnt(6)
	ds_write2st64_b32 v5, v12, v14 offset0:24 offset1:28
	s_waitcnt vmcnt(4)
	ds_write2st64_b32 v5, v15, v16 offset0:32 offset1:36
	s_waitcnt vmcnt(2)
	ds_write2st64_b32 v5, v17, v18 offset0:40 offset1:44
	s_waitcnt vmcnt(0)
	ds_write2st64_b32 v5, v19, v20 offset0:48 offset1:52
	s_waitcnt lgkmcnt(0)
	s_barrier
	ds_read2_b64 v[9:12], v21 offset1:1
	ds_read2_b64 v[5:8], v21 offset0:2 offset1:3
	ds_read2_b64 v[1:4], v21 offset0:4 offset1:5
	ds_read_b64 v[17:18], v21 offset:48
	s_load_dword s2, s[50:51], 0x3800
	s_waitcnt lgkmcnt(0)
	ds_write_b32 v13, v9 offset:15360
	s_waitcnt lgkmcnt(0)
	s_barrier
	v_mov_b32_e32 v21, s2
	s_and_saveexec_b64 s[2:3], vcc
; %bb.78:
	ds_read_b32 v21, v13 offset:15364
; %bb.79:
	s_or_b64 exec, exec, s[2:3]
	v_lshlrev_b32_e32 v16, 1, v0
	v_mov_b32_e32 v14, s49
	v_add_co_u32_e32 v15, vcc, s48, v16
	v_addc_co_u32_e32 v19, vcc, 0, v14, vcc
	v_add_co_u32_e32 v14, vcc, s7, v15
	v_addc_co_u32_e32 v15, vcc, 0, v19, vcc
	s_waitcnt lgkmcnt(0)
	s_barrier
	global_load_ushort v20, v16, s[48:49]
	global_load_ushort v22, v16, s[48:49] offset:512
	global_load_ushort v24, v16, s[48:49] offset:1024
	;; [unrolled: 1-line block ×7, first 2 shown]
	global_load_ushort v19, v[14:15], off
	global_load_ushort v30, v[14:15], off offset:512
	global_load_ushort v31, v[14:15], off offset:1024
	;; [unrolled: 1-line block ×5, first 2 shown]
	v_sub_u32_e32 v23, v13, v16
	v_mad_u32_u24 v35, v0, 26, v23
	v_cmp_eq_u32_e32 vcc, v9, v10
	v_mov_b32_e32 v9, 0x10000
	s_waitcnt vmcnt(13)
	ds_write_b16 v23, v20
	s_waitcnt vmcnt(12)
	ds_write_b16 v23, v22 offset:512
	s_waitcnt vmcnt(11)
	ds_write_b16 v23, v24 offset:1024
	;; [unrolled: 2-line block ×13, first 2 shown]
	s_waitcnt lgkmcnt(0)
	s_barrier
	ds_read_b128 v[13:16], v35 offset:2
	ds_read_b64 v[19:20], v35 offset:18
	ds_read_u16 v22, v35 offset:26
	v_mov_b32_e32 v24, s54
	v_mov_b32_e32 v25, 0x10000
	s_and_saveexec_b64 s[2:3], vcc
; %bb.80:
	v_mul_u32_u24_e32 v24, 26, v0
	v_add_u32_e32 v23, v23, v24
	ds_read_u16 v24, v23
	v_mov_b32_e32 v25, 0
; %bb.81:
	s_or_b64 exec, exec, s[2:3]
	v_mov_b32_e32 v23, s54
	v_cmp_eq_u32_e32 vcc, v10, v11
	s_waitcnt lgkmcnt(0)
	v_or_b32_sdwa v28, v25, v24 dst_sel:DWORD dst_unused:UNUSED_PAD src0_sel:DWORD src1_sel:WORD_0
	v_cndmask_b32_e32 v10, v23, v13, vcc
	v_cndmask_b32_e64 v24, v9, 0, vcc
	v_cmp_eq_u32_e32 vcc, v11, v12
	v_or_b32_sdwa v45, v24, v10 dst_sel:DWORD dst_unused:UNUSED_PAD src0_sel:DWORD src1_sel:WORD_0
	v_cndmask_b32_e64 v10, v9, 0, vcc
	v_cndmask_b32_sdwa v11, v23, v13, vcc dst_sel:DWORD dst_unused:UNUSED_PAD src0_sel:DWORD src1_sel:WORD_1
	v_cmp_eq_u32_e32 vcc, v12, v5
	v_or_b32_sdwa v43, v10, v11 dst_sel:DWORD dst_unused:UNUSED_PAD src0_sel:DWORD src1_sel:WORD_0
	v_cndmask_b32_e32 v10, v23, v14, vcc
	v_cndmask_b32_e64 v11, v9, 0, vcc
	v_cmp_eq_u32_e32 vcc, v5, v6
	v_or_b32_sdwa v42, v11, v10 dst_sel:DWORD dst_unused:UNUSED_PAD src0_sel:DWORD src1_sel:WORD_0
	v_cndmask_b32_e64 v5, v9, 0, vcc
	v_cndmask_b32_sdwa v10, v23, v14, vcc dst_sel:DWORD dst_unused:UNUSED_PAD src0_sel:DWORD src1_sel:WORD_1
	v_cmp_eq_u32_e32 vcc, v6, v7
	;; [unrolled: 8-line block ×5, first 2 shown]
	v_or_b32_sdwa v33, v1, v2 dst_sel:DWORD dst_unused:UNUSED_PAD src0_sel:DWORD src1_sel:WORD_0
	v_cndmask_b32_e32 v1, v23, v20, vcc
	v_cndmask_b32_e64 v2, v9, 0, vcc
	v_cmp_eq_u32_e32 vcc, v17, v18
	v_or_b32_sdwa v31, v2, v1 dst_sel:DWORD dst_unused:UNUSED_PAD src0_sel:DWORD src1_sel:WORD_0
	v_cndmask_b32_e64 v1, v9, 0, vcc
	v_cndmask_b32_sdwa v2, v23, v20, vcc dst_sel:DWORD dst_unused:UNUSED_PAD src0_sel:DWORD src1_sel:WORD_1
	v_or_b32_sdwa v30, v1, v2 dst_sel:DWORD dst_unused:UNUSED_PAD src0_sel:DWORD src1_sel:WORD_0
	v_cmp_ne_u32_e64 s[8:9], v18, v21
	v_cndmask_b32_e64 v32, v22, v23, s[8:9]
	s_mov_b64 s[12:13], -1
	v_mov_b32_e32 v14, v45
	v_mov_b32_e32 v13, v43
	v_mov_b32_e32 v29, v42
	v_mov_b32_e32 v27, v41
	v_mov_b32_e32 v26, v39
	v_mov_b32_e32 v25, v38
	v_mov_b32_e32 v24, v37
	v_mov_b32_e32 v23, v35
	v_mov_b32_e32 v22, v34
	v_mov_b32_e32 v21, v33
	v_mov_b32_e32 v20, v31
	v_mov_b32_e32 v19, v30
.LBB103_82:
	v_mov_b32_e32 v36, 0
	s_and_saveexec_b64 s[2:3], s[12:13]
	s_cbranch_execz .LBB103_84
; %bb.83:
	v_mov_b32_e32 v1, 0x10000
	v_cndmask_b32_e64 v1, 0, v1, s[8:9]
	v_or_b32_sdwa v36, v1, v32 dst_sel:DWORD dst_unused:UNUSED_PAD src0_sel:DWORD src1_sel:WORD_0
	v_mov_b32_e32 v19, v30
	v_mov_b32_e32 v20, v31
	;; [unrolled: 1-line block ×12, first 2 shown]
.LBB103_84:
	s_or_b64 exec, exec, s[2:3]
	v_or_b32_e32 v1, v24, v23
	v_or_b32_e32 v2, v20, v19
	s_cmp_lg_u32 s6, 0
	v_lshlrev_b32_e32 v35, 16, v28
	v_lshlrev_b32_e32 v34, 16, v14
	;; [unrolled: 1-line block ×9, first 2 shown]
	v_or3_b32 v40, v1, v25, v26
	v_lshlrev_b32_e32 v15, 16, v22
	v_lshlrev_b32_e32 v12, 16, v21
	;; [unrolled: 1-line block ×4, first 2 shown]
	v_or3_b32 v38, v2, v21, v22
	v_lshlrev_b32_e32 v39, 16, v36
	v_mbcnt_lo_u32_b32 v37, -1, 0
	s_barrier
	s_cbranch_scc0 .LBB103_158
; %bb.85:
	s_mov_b32 s7, 0x10000
	v_cmp_lt_f32_e32 vcc, v35, v34
	v_cndmask_b32_e32 v1, v28, v14, vcc
	v_cmp_gt_u32_e64 s[2:3], s7, v14
	v_cndmask_b32_e64 v1, v14, v1, s[2:3]
	v_lshlrev_b32_e32 v2, 16, v1
	v_cmp_lt_f32_e32 vcc, v2, v33
	v_cndmask_b32_e32 v1, v1, v13, vcc
	v_cmp_gt_u32_e64 s[30:31], s7, v13
	v_cndmask_b32_e64 v1, v13, v1, s[30:31]
	v_lshlrev_b32_e32 v2, 16, v1
	;; [unrolled: 5-line block ×7, first 2 shown]
	v_cmp_lt_f32_e32 vcc, v2, v16
	v_cndmask_b32_e32 v1, v1, v23, vcc
	v_cmp_gt_u32_e64 s[18:19], s7, v23
	v_cndmask_b32_e64 v1, v23, v1, s[18:19]
	v_or3_b32 v2, v40, v27, v29
	v_or3_b32 v4, v2, v13, v14
	v_lshlrev_b32_e32 v2, 16, v1
	v_cmp_lt_f32_e32 vcc, v2, v15
	v_cndmask_b32_e32 v1, v1, v22, vcc
	v_cmp_gt_u32_e64 s[20:21], s7, v22
	v_cndmask_b32_e64 v1, v22, v1, s[20:21]
	v_lshlrev_b32_e32 v2, 16, v1
	v_cmp_lt_f32_e32 vcc, v2, v12
	v_cndmask_b32_e32 v1, v1, v21, vcc
	v_cmp_gt_u32_e64 s[22:23], s7, v21
	v_cndmask_b32_e64 v1, v21, v1, s[22:23]
	;; [unrolled: 5-line block ×4, first 2 shown]
	v_lshlrev_b32_e32 v2, 16, v1
	v_cmp_lt_f32_e32 vcc, v2, v39
	v_cndmask_b32_e32 v1, v1, v36, vcc
	v_cmp_gt_u32_e32 vcc, s7, v36
	v_cndmask_b32_e32 v2, v36, v1, vcc
	v_or3_b32 v1, v36, v38, v4
	v_and_b32_e32 v1, 0xff0000, v1
	v_and_b32_e32 v3, 0x10000, v28
	v_mov_b32_e32 v4, 0x10000
	v_cmp_eq_u32_e32 vcc, 0, v1
	v_cndmask_b32_e32 v4, v4, v3, vcc
	v_mbcnt_hi_u32_b32 v3, -1, v37
	v_and_b32_e32 v7, 15, v3
	v_or_b32_sdwa v6, v4, v2 dst_sel:DWORD dst_unused:UNUSED_PAD src0_sel:DWORD src1_sel:WORD_0
	v_lshrrev_b32_e32 v1, 16, v4
	v_cmp_ne_u32_e32 vcc, 0, v7
	v_mov_b32_dpp v5, v6 row_shr:1 row_mask:0xf bank_mask:0xf
	s_and_saveexec_b64 s[28:29], vcc
	s_cbranch_execz .LBB103_87
; %bb.86:
	v_and_b32_e32 v1, 0x10000, v4
	v_mov_b32_e32 v6, 1
	v_and_b32_sdwa v6, v5, v6 dst_sel:DWORD dst_unused:UNUSED_PAD src0_sel:WORD_1 src1_sel:DWORD
	v_cmp_ne_u32_e32 vcc, 0, v1
	v_cndmask_b32_e64 v1, v6, 1, vcc
	v_mov_b32_e32 v6, 16
	v_lshlrev_b32_sdwa v6, v6, v2 dst_sel:DWORD dst_unused:UNUSED_PAD src0_sel:DWORD src1_sel:WORD_0
	v_lshlrev_b32_e32 v8, 16, v5
	v_cmp_lt_f32_e32 vcc, v8, v6
	v_cndmask_b32_e32 v5, v5, v2, vcc
	v_cmp_eq_u32_e32 vcc, 0, v4
	v_cndmask_b32_e32 v2, v2, v5, vcc
	v_lshlrev_b32_e32 v4, 16, v1
	v_or_b32_sdwa v6, v4, v2 dst_sel:DWORD dst_unused:UNUSED_PAD src0_sel:DWORD src1_sel:WORD_0
.LBB103_87:
	s_or_b64 exec, exec, s[28:29]
	v_lshrrev_b32_e32 v5, 16, v6
	v_mov_b32_dpp v8, v6 row_shr:2 row_mask:0xf bank_mask:0xf
	v_cmp_lt_u32_e32 vcc, 1, v7
	v_mov_b32_e32 v4, v6
	s_and_saveexec_b64 s[28:29], vcc
	s_cbranch_execz .LBB103_89
; %bb.88:
	v_and_b32_e32 v1, 0x10000, v6
	v_mov_b32_e32 v2, 1
	v_and_b32_sdwa v2, v8, v2 dst_sel:DWORD dst_unused:UNUSED_PAD src0_sel:WORD_1 src1_sel:DWORD
	v_cmp_ne_u32_e32 vcc, 0, v1
	v_cndmask_b32_e64 v1, v2, 1, vcc
	v_lshlrev_b32_e32 v2, 16, v6
	v_lshlrev_b32_e32 v4, 16, v8
	v_cmp_lt_f32_e32 vcc, v4, v2
	v_cndmask_b32_e32 v2, v8, v6, vcc
	v_cmp_gt_u32_e32 vcc, s7, v6
	v_cndmask_b32_e32 v2, v6, v2, vcc
	v_lshlrev_b32_e32 v4, 16, v1
	v_or_b32_sdwa v6, v4, v2 dst_sel:DWORD dst_unused:UNUSED_PAD src0_sel:DWORD src1_sel:WORD_0
	v_mov_b32_e32 v4, v2
	v_mov_b32_e32 v5, v1
.LBB103_89:
	s_or_b64 exec, exec, s[28:29]
	v_mov_b32_dpp v8, v6 row_shr:4 row_mask:0xf bank_mask:0xf
	v_cmp_lt_u32_e32 vcc, 3, v7
	s_and_saveexec_b64 s[28:29], vcc
	s_cbranch_execz .LBB103_91
; %bb.90:
	v_and_b32_e32 v1, 1, v5
	v_mov_b32_e32 v2, 1
	v_and_b32_sdwa v2, v8, v2 dst_sel:DWORD dst_unused:UNUSED_PAD src0_sel:WORD_1 src1_sel:DWORD
	v_cmp_eq_u32_e32 vcc, 1, v1
	v_cndmask_b32_e64 v1, v2, 1, vcc
	v_lshlrev_b32_e32 v2, 16, v8
	v_lshlrev_b32_e32 v6, 16, v4
	v_cmp_lt_f32_e32 vcc, v2, v6
	v_cndmask_b32_e32 v2, v8, v4, vcc
	v_cmp_eq_u16_e32 vcc, 0, v5
	v_cndmask_b32_e32 v2, v4, v2, vcc
	v_lshlrev_b32_e32 v4, 16, v1
	v_or_b32_sdwa v6, v4, v2 dst_sel:DWORD dst_unused:UNUSED_PAD src0_sel:DWORD src1_sel:WORD_0
	v_mov_b32_e32 v4, v2
	v_mov_b32_e32 v5, v1
.LBB103_91:
	s_or_b64 exec, exec, s[28:29]
	v_mov_b32_dpp v8, v6 row_shr:8 row_mask:0xf bank_mask:0xf
	v_cmp_lt_u32_e32 vcc, 7, v7
	s_and_saveexec_b64 s[28:29], vcc
	s_cbranch_execz .LBB103_93
; %bb.92:
	v_and_b32_e32 v1, 1, v5
	v_mov_b32_e32 v2, 1
	v_and_b32_sdwa v2, v8, v2 dst_sel:DWORD dst_unused:UNUSED_PAD src0_sel:WORD_1 src1_sel:DWORD
	v_cmp_eq_u32_e32 vcc, 1, v1
	v_cndmask_b32_e64 v1, v2, 1, vcc
	v_lshlrev_b32_e32 v2, 16, v8
	v_lshlrev_b32_e32 v6, 16, v4
	v_cmp_lt_f32_e32 vcc, v2, v6
	v_cndmask_b32_e32 v2, v8, v4, vcc
	v_cmp_eq_u16_e32 vcc, 0, v5
	v_cndmask_b32_e32 v2, v4, v2, vcc
	v_lshlrev_b32_e32 v4, 16, v1
	v_or_b32_sdwa v6, v4, v2 dst_sel:DWORD dst_unused:UNUSED_PAD src0_sel:DWORD src1_sel:WORD_0
	v_mov_b32_e32 v4, v2
	v_mov_b32_e32 v5, v1
.LBB103_93:
	s_or_b64 exec, exec, s[28:29]
	v_and_b32_e32 v8, 16, v3
	v_mov_b32_dpp v7, v6 row_bcast:15 row_mask:0xf bank_mask:0xf
	v_cmp_ne_u32_e32 vcc, 0, v8
	s_and_saveexec_b64 s[28:29], vcc
	s_cbranch_execz .LBB103_95
; %bb.94:
	v_and_b32_e32 v1, 1, v5
	v_mov_b32_e32 v2, 1
	v_and_b32_sdwa v2, v7, v2 dst_sel:DWORD dst_unused:UNUSED_PAD src0_sel:WORD_1 src1_sel:DWORD
	v_cmp_eq_u32_e32 vcc, 1, v1
	v_cndmask_b32_e64 v1, v2, 1, vcc
	v_lshlrev_b32_e32 v2, 16, v7
	v_lshlrev_b32_e32 v6, 16, v4
	v_cmp_lt_f32_e32 vcc, v2, v6
	v_cndmask_b32_e32 v2, v7, v4, vcc
	v_cmp_eq_u16_e32 vcc, 0, v5
	v_cndmask_b32_e32 v2, v4, v2, vcc
	v_lshlrev_b32_e32 v4, 16, v1
	v_or_b32_sdwa v6, v4, v2 dst_sel:DWORD dst_unused:UNUSED_PAD src0_sel:DWORD src1_sel:WORD_0
	v_mov_b32_e32 v4, v2
	v_mov_b32_e32 v5, v1
.LBB103_95:
	s_or_b64 exec, exec, s[28:29]
	v_mov_b32_dpp v6, v6 row_bcast:31 row_mask:0xf bank_mask:0xf
	v_cmp_lt_u32_e32 vcc, 31, v3
	s_and_saveexec_b64 s[28:29], vcc
	s_cbranch_execz .LBB103_97
; %bb.96:
	v_and_b32_e32 v1, 1, v5
	v_mov_b32_e32 v2, 1
	v_and_b32_sdwa v2, v6, v2 dst_sel:DWORD dst_unused:UNUSED_PAD src0_sel:WORD_1 src1_sel:DWORD
	v_cmp_eq_u32_e32 vcc, 1, v1
	v_cndmask_b32_e64 v1, v2, 1, vcc
	v_lshlrev_b32_e32 v2, 16, v6
	v_lshlrev_b32_e32 v7, 16, v4
	v_cmp_lt_f32_e32 vcc, v2, v7
	v_cndmask_b32_e32 v2, v6, v4, vcc
	v_cmp_eq_u16_e32 vcc, 0, v5
	v_cndmask_b32_e32 v2, v4, v2, vcc
.LBB103_97:
	s_or_b64 exec, exec, s[28:29]
	v_lshrrev_b32_e32 v4, 6, v0
	v_or_b32_e32 v5, 63, v0
	v_cmp_eq_u32_e32 vcc, v0, v5
	v_lshlrev_b32_e32 v4, 2, v4
	s_and_saveexec_b64 s[28:29], vcc
	s_cbranch_execz .LBB103_99
; %bb.98:
	ds_write_b16 v4, v2
	ds_write_b8 v4, v1 offset:2
.LBB103_99:
	s_or_b64 exec, exec, s[28:29]
	v_cmp_gt_u32_e32 vcc, 4, v0
	s_waitcnt lgkmcnt(0)
	s_barrier
	s_and_saveexec_b64 s[28:29], vcc
	s_cbranch_execz .LBB103_105
; %bb.100:
	v_lshlrev_b32_e32 v5, 2, v0
	ds_read_b32 v6, v5
	v_and_b32_e32 v8, 3, v3
	v_cmp_ne_u32_e32 vcc, 0, v8
	s_waitcnt lgkmcnt(0)
	v_lshrrev_b32_e32 v7, 16, v6
	v_mov_b32_dpp v41, v6 row_shr:1 row_mask:0xf bank_mask:0xf
	v_mov_b32_e32 v9, v6
	s_and_saveexec_b64 s[34:35], vcc
	s_cbranch_execz .LBB103_102
; %bb.101:
	v_and_b32_e32 v9, 0x10000, v6
	v_mov_b32_e32 v43, 1
	v_and_b32_sdwa v43, v41, v43 dst_sel:DWORD dst_unused:UNUSED_PAD src0_sel:WORD_1 src1_sel:DWORD
	v_cmp_ne_u32_e32 vcc, 0, v9
	v_lshlrev_b32_e32 v44, 16, v6
	v_lshlrev_b32_e32 v45, 16, v41
	v_cndmask_b32_e64 v43, v43, 1, vcc
	v_mov_b32_e32 v9, 0
	v_cmp_lt_f32_e32 vcc, v45, v44
	v_cndmask_b32_e32 v41, v41, v6, vcc
	v_cmp_eq_u16_sdwa vcc, v7, v9 src0_sel:BYTE_0 src1_sel:DWORD
	v_cndmask_b32_e32 v9, v6, v41, vcc
	v_and_b32_e32 v42, 0xff000000, v6
	v_lshlrev_b32_e32 v6, 16, v43
	v_and_b32_e32 v7, 0xffff, v9
	v_or3_b32 v6, v6, v42, v7
	v_mov_b32_e32 v7, v43
.LBB103_102:
	s_or_b64 exec, exec, s[34:35]
	v_mov_b32_dpp v41, v6 row_shr:2 row_mask:0xf bank_mask:0xf
	v_cmp_lt_u32_e32 vcc, 1, v8
	s_and_saveexec_b64 s[34:35], vcc
	s_cbranch_execz .LBB103_104
; %bb.103:
	v_and_b32_e32 v7, 0x10000, v6
	v_mov_b32_e32 v8, 1
	v_and_b32_sdwa v8, v41, v8 dst_sel:DWORD dst_unused:UNUSED_PAD src0_sel:WORD_1 src1_sel:DWORD
	v_cmp_eq_u32_e32 vcc, 0, v7
	v_lshlrev_b32_e32 v9, 16, v6
	v_lshlrev_b32_e32 v42, 16, v41
	v_cndmask_b32_e32 v7, 1, v8, vcc
	v_and_b32_e32 v8, 0xff0000, v6
	v_cmp_lt_f32_e32 vcc, v42, v9
	v_cndmask_b32_e32 v9, v41, v6, vcc
	v_cmp_eq_u32_e32 vcc, 0, v8
	v_cndmask_b32_e32 v9, v6, v9, vcc
.LBB103_104:
	s_or_b64 exec, exec, s[34:35]
	ds_write_b16 v5, v9
	ds_write_b8 v5, v7 offset:2
.LBB103_105:
	s_or_b64 exec, exec, s[28:29]
	v_cmp_gt_u32_e32 vcc, 64, v0
	v_cmp_lt_u32_e64 s[28:29], 63, v0
	v_mov_b32_e32 v41, 0
	v_mov_b32_e32 v42, 0
	s_waitcnt lgkmcnt(0)
	s_barrier
	s_and_saveexec_b64 s[34:35], s[28:29]
	s_cbranch_execz .LBB103_107
; %bb.106:
	v_add_u32_e32 v5, -4, v4
	ds_read_u16 v41, v5
	v_add_u32_e32 v4, -2, v4
	ds_read_u8 v42, v4
	v_lshlrev_b32_e32 v5, 16, v2
	s_waitcnt lgkmcnt(1)
	v_lshlrev_b32_e32 v4, 16, v41
	v_cmp_lt_f32_e64 s[28:29], v4, v5
	v_cndmask_b32_e64 v4, v41, v2, s[28:29]
	v_cmp_eq_u16_e64 s[28:29], 0, v1
	v_and_b32_e32 v1, 1, v1
	v_cndmask_b32_e64 v2, v2, v4, s[28:29]
	v_cmp_eq_u32_e64 s[28:29], 1, v1
	s_waitcnt lgkmcnt(0)
	v_cndmask_b32_e64 v1, v42, 1, s[28:29]
.LBB103_107:
	s_or_b64 exec, exec, s[34:35]
	v_and_b32_e32 v1, 0xff, v1
	v_and_b32_e32 v2, 0xffff, v2
	v_lshl_or_b32 v1, v1, 16, v2
	v_subrev_co_u32_e64 v2, s[28:29], 1, v3
	v_and_b32_e32 v4, 64, v3
	v_cmp_lt_i32_e64 s[34:35], v2, v4
	v_cndmask_b32_e64 v2, v2, v3, s[34:35]
	v_lshlrev_b32_e32 v2, 2, v2
	ds_bpermute_b32 v43, v2, v1
	s_and_saveexec_b64 s[34:35], vcc
	s_cbranch_execz .LBB103_163
; %bb.108:
	v_mov_b32_e32 v6, 0
	ds_read_b32 v1, v6 offset:12
	s_and_saveexec_b64 s[40:41], s[28:29]
	s_cbranch_execz .LBB103_110
; %bb.109:
	s_add_i32 s42, s6, 64
	s_mov_b32 s43, 0
	s_lshl_b64 s[42:43], s[42:43], 3
	s_add_u32 s42, s36, s42
	v_mov_b32_e32 v2, 1
	s_addc_u32 s43, s37, s43
	s_waitcnt lgkmcnt(0)
	global_store_dwordx2 v6, v[1:2], s[42:43]
.LBB103_110:
	s_or_b64 exec, exec, s[40:41]
	v_xad_u32 v2, v3, -1, s6
	v_add_u32_e32 v5, 64, v2
	v_lshlrev_b64 v[4:5], 3, v[5:6]
	v_mov_b32_e32 v8, s37
	v_add_co_u32_e32 v7, vcc, s36, v4
	v_addc_co_u32_e32 v8, vcc, v8, v5, vcc
	global_load_dwordx2 v[4:5], v[7:8], off glc
	s_waitcnt vmcnt(0)
	v_cmp_eq_u16_sdwa s[42:43], v5, v6 src0_sel:BYTE_0 src1_sel:DWORD
	s_and_saveexec_b64 s[40:41], s[42:43]
	s_cbranch_execz .LBB103_114
; %bb.111:
	s_mov_b64 s[42:43], 0
	v_mov_b32_e32 v6, 0
.LBB103_112:                            ; =>This Inner Loop Header: Depth=1
	global_load_dwordx2 v[4:5], v[7:8], off glc
	s_waitcnt vmcnt(0)
	v_cmp_ne_u16_sdwa s[48:49], v5, v6 src0_sel:BYTE_0 src1_sel:DWORD
	s_or_b64 s[42:43], s[48:49], s[42:43]
	s_andn2_b64 exec, exec, s[42:43]
	s_cbranch_execnz .LBB103_112
; %bb.113:
	s_or_b64 exec, exec, s[42:43]
.LBB103_114:
	s_or_b64 exec, exec, s[40:41]
	v_mov_b32_e32 v8, 2
	v_lshlrev_b64 v[6:7], v3, -1
	v_cmp_eq_u16_sdwa s[40:41], v5, v8 src0_sel:BYTE_0 src1_sel:DWORD
	v_and_b32_e32 v8, s41, v7
	v_or_b32_e32 v8, 0x80000000, v8
	v_and_b32_e32 v9, s40, v6
	v_ffbl_b32_e32 v8, v8
	v_and_b32_e32 v52, 63, v3
	v_add_u32_e32 v8, 32, v8
	v_ffbl_b32_e32 v9, v9
	v_cmp_ne_u32_e32 vcc, 63, v52
	v_min_u32_e32 v8, v9, v8
	v_addc_co_u32_e32 v9, vcc, 0, v3, vcc
	v_and_b32_e32 v55, 0xffffff, v4
	v_lshlrev_b32_e32 v44, 2, v9
	ds_bpermute_b32 v46, v44, v55
	v_add_u32_e32 v45, 1, v3
	v_lshrrev_b32_e32 v9, 16, v4
	v_cmp_le_u32_e32 vcc, v45, v8
	v_bfe_u32 v54, v4, 16, 8
	s_and_saveexec_b64 s[40:41], vcc
	s_cbranch_execz .LBB103_116
; %bb.115:
	s_waitcnt lgkmcnt(0)
	v_lshlrev_b32_e32 v47, 16, v46
	v_lshlrev_b32_e32 v48, 16, v4
	v_and_b32_e32 v9, 0xff0000, v4
	v_cmp_lt_f32_e32 vcc, v47, v48
	v_cndmask_b32_e32 v47, v46, v4, vcc
	v_cmp_eq_u32_e32 vcc, 0, v9
	v_cndmask_b32_e32 v4, v4, v47, vcc
	v_and_b32_e32 v9, 0x10000, v9
	v_mov_b32_e32 v47, 1
	v_and_b32_sdwa v46, v46, v47 dst_sel:DWORD dst_unused:UNUSED_PAD src0_sel:WORD_1 src1_sel:DWORD
	v_cmp_ne_u32_e32 vcc, 0, v9
	v_cndmask_b32_e64 v9, v46, 1, vcc
	v_lshlrev_b32_e32 v46, 16, v9
	v_or_b32_sdwa v55, v46, v4 dst_sel:DWORD dst_unused:UNUSED_PAD src0_sel:DWORD src1_sel:WORD_0
	v_mov_b32_e32 v54, v9
.LBB103_116:
	s_or_b64 exec, exec, s[40:41]
	v_cmp_gt_u32_e32 vcc, 62, v52
	s_waitcnt lgkmcnt(0)
	v_cndmask_b32_e64 v46, 0, 2, vcc
	v_add_lshl_u32 v46, v46, v3, 2
	ds_bpermute_b32 v48, v46, v55
	v_add_u32_e32 v47, 2, v3
	v_cmp_le_u32_e32 vcc, v47, v8
	s_and_saveexec_b64 s[40:41], vcc
	s_cbranch_execz .LBB103_118
; %bb.117:
	s_waitcnt lgkmcnt(0)
	v_lshlrev_b32_e32 v9, 16, v48
	v_lshlrev_b32_e32 v49, 16, v4
	v_cmp_lt_f32_e32 vcc, v9, v49
	v_cndmask_b32_e32 v9, v48, v4, vcc
	v_cmp_eq_u16_e32 vcc, 0, v54
	v_cndmask_b32_e32 v4, v4, v9, vcc
	v_and_b32_e32 v9, 1, v54
	v_mov_b32_e32 v49, 1
	v_and_b32_sdwa v48, v48, v49 dst_sel:DWORD dst_unused:UNUSED_PAD src0_sel:WORD_1 src1_sel:DWORD
	v_cmp_eq_u32_e32 vcc, 1, v9
	v_cndmask_b32_e64 v9, v48, 1, vcc
	v_lshlrev_b32_e32 v48, 16, v9
	v_or_b32_sdwa v55, v48, v4 dst_sel:DWORD dst_unused:UNUSED_PAD src0_sel:DWORD src1_sel:WORD_0
	v_mov_b32_e32 v54, v9
.LBB103_118:
	s_or_b64 exec, exec, s[40:41]
	v_cmp_gt_u32_e32 vcc, 60, v52
	s_waitcnt lgkmcnt(0)
	v_cndmask_b32_e64 v48, 0, 4, vcc
	v_add_lshl_u32 v48, v48, v3, 2
	ds_bpermute_b32 v50, v48, v55
	v_add_u32_e32 v49, 4, v3
	v_cmp_le_u32_e32 vcc, v49, v8
	s_and_saveexec_b64 s[40:41], vcc
	s_cbranch_execz .LBB103_120
; %bb.119:
	s_waitcnt lgkmcnt(0)
	v_lshlrev_b32_e32 v9, 16, v50
	v_lshlrev_b32_e32 v51, 16, v4
	v_cmp_lt_f32_e32 vcc, v9, v51
	v_cndmask_b32_e32 v9, v50, v4, vcc
	v_cmp_eq_u16_e32 vcc, 0, v54
	v_cndmask_b32_e32 v4, v4, v9, vcc
	v_and_b32_e32 v9, 1, v54
	v_mov_b32_e32 v51, 1
	v_and_b32_sdwa v50, v50, v51 dst_sel:DWORD dst_unused:UNUSED_PAD src0_sel:WORD_1 src1_sel:DWORD
	v_cmp_eq_u32_e32 vcc, 1, v9
	v_cndmask_b32_e64 v9, v50, 1, vcc
	v_lshlrev_b32_e32 v50, 16, v9
	v_or_b32_sdwa v55, v50, v4 dst_sel:DWORD dst_unused:UNUSED_PAD src0_sel:DWORD src1_sel:WORD_0
	v_mov_b32_e32 v54, v9
.LBB103_120:
	;; [unrolled: 27-line block ×3, first 2 shown]
	s_or_b64 exec, exec, s[40:41]
	v_cmp_gt_u32_e32 vcc, 48, v52
	v_cndmask_b32_e64 v52, 0, 16, vcc
	v_add_lshl_u32 v52, v52, v3, 2
	ds_bpermute_b32 v56, v52, v55
	s_waitcnt lgkmcnt(1)
	v_add_u32_e32 v53, 16, v3
	v_cmp_le_u32_e32 vcc, v53, v8
	s_and_saveexec_b64 s[40:41], vcc
	s_cbranch_execz .LBB103_124
; %bb.123:
	s_waitcnt lgkmcnt(0)
	v_lshlrev_b32_e32 v9, 16, v56
	v_lshlrev_b32_e32 v55, 16, v4
	v_cmp_lt_f32_e32 vcc, v9, v55
	v_cndmask_b32_e32 v9, v56, v4, vcc
	v_cmp_eq_u16_e32 vcc, 0, v54
	v_cndmask_b32_e32 v4, v4, v9, vcc
	v_and_b32_e32 v9, 1, v54
	v_mov_b32_e32 v54, 1
	v_and_b32_sdwa v54, v56, v54 dst_sel:DWORD dst_unused:UNUSED_PAD src0_sel:WORD_1 src1_sel:DWORD
	v_cmp_eq_u32_e32 vcc, 1, v9
	v_cndmask_b32_e64 v9, v54, 1, vcc
	v_lshlrev_b32_e32 v54, 16, v9
	v_or_b32_sdwa v55, v54, v4 dst_sel:DWORD dst_unused:UNUSED_PAD src0_sel:DWORD src1_sel:WORD_0
	v_mov_b32_e32 v54, v9
.LBB103_124:
	s_or_b64 exec, exec, s[40:41]
	s_waitcnt lgkmcnt(0)
	v_mov_b32_e32 v56, 0x80
	v_lshl_or_b32 v56, v3, 2, v56
	ds_bpermute_b32 v55, v56, v55
	v_add_u32_e32 v57, 32, v3
	v_cmp_le_u32_e32 vcc, v57, v8
	s_and_saveexec_b64 s[40:41], vcc
	s_cbranch_execz .LBB103_126
; %bb.125:
	s_waitcnt lgkmcnt(0)
	v_lshlrev_b32_e32 v3, 16, v55
	v_lshlrev_b32_e32 v8, 16, v4
	v_cmp_lt_f32_e32 vcc, v3, v8
	v_cndmask_b32_e32 v3, v55, v4, vcc
	v_cmp_eq_u16_e32 vcc, 0, v54
	v_cndmask_b32_e32 v4, v4, v3, vcc
	v_and_b32_e32 v3, 1, v54
	v_mov_b32_e32 v8, 1
	v_and_b32_sdwa v8, v55, v8 dst_sel:DWORD dst_unused:UNUSED_PAD src0_sel:WORD_1 src1_sel:DWORD
	v_cmp_eq_u32_e32 vcc, 1, v3
	v_cndmask_b32_e64 v9, v8, 1, vcc
.LBB103_126:
	s_or_b64 exec, exec, s[40:41]
	v_mov_b32_e32 v3, 0
	v_mov_b32_e32 v58, 2
	;; [unrolled: 1-line block ×3, first 2 shown]
	s_branch .LBB103_129
.LBB103_127:                            ;   in Loop: Header=BB103_129 Depth=1
	s_or_b64 exec, exec, s[40:41]
	v_lshlrev_b32_e32 v8, 16, v4
	v_lshlrev_b32_e32 v60, 16, v55
	v_cmp_lt_f32_e32 vcc, v8, v60
	v_cndmask_b32_e32 v4, v4, v55, vcc
	v_cmp_eq_u16_sdwa vcc, v54, v3 src0_sel:BYTE_0 src1_sel:DWORD
	v_and_b32_e32 v8, 1, v54
	v_cndmask_b32_e32 v4, v55, v4, vcc
	v_and_b32_e32 v9, 1, v9
	v_cmp_eq_u32_e32 vcc, 1, v8
	v_subrev_u32_e32 v2, 64, v2
	v_cndmask_b32_e64 v9, v9, 1, vcc
	s_mov_b64 s[40:41], 0
.LBB103_128:                            ;   in Loop: Header=BB103_129 Depth=1
	s_and_b64 vcc, exec, s[40:41]
	s_cbranch_vccnz .LBB103_159
.LBB103_129:                            ; =>This Loop Header: Depth=1
                                        ;     Child Loop BB103_132 Depth 2
	v_cmp_ne_u16_sdwa s[40:41], v5, v58 src0_sel:BYTE_0 src1_sel:DWORD
	v_mov_b32_e32 v54, v9
	s_waitcnt lgkmcnt(0)
	v_mov_b32_e32 v55, v4
	s_cmp_lg_u64 s[40:41], exec
	s_mov_b64 s[40:41], -1
                                        ; implicit-def: $vgpr9
                                        ; implicit-def: $vgpr4
	s_cbranch_scc1 .LBB103_128
; %bb.130:                              ;   in Loop: Header=BB103_129 Depth=1
	v_lshlrev_b64 v[4:5], 3, v[2:3]
	v_mov_b32_e32 v9, s37
	v_add_co_u32_e32 v8, vcc, s36, v4
	v_addc_co_u32_e32 v9, vcc, v9, v5, vcc
	global_load_dwordx2 v[4:5], v[8:9], off glc
	s_waitcnt vmcnt(0)
	v_cmp_eq_u16_sdwa s[42:43], v5, v3 src0_sel:BYTE_0 src1_sel:DWORD
	s_and_saveexec_b64 s[40:41], s[42:43]
	s_cbranch_execz .LBB103_134
; %bb.131:                              ;   in Loop: Header=BB103_129 Depth=1
	s_mov_b64 s[42:43], 0
.LBB103_132:                            ;   Parent Loop BB103_129 Depth=1
                                        ; =>  This Inner Loop Header: Depth=2
	global_load_dwordx2 v[4:5], v[8:9], off glc
	s_waitcnt vmcnt(0)
	v_cmp_ne_u16_sdwa s[48:49], v5, v3 src0_sel:BYTE_0 src1_sel:DWORD
	s_or_b64 s[42:43], s[48:49], s[42:43]
	s_andn2_b64 exec, exec, s[42:43]
	s_cbranch_execnz .LBB103_132
; %bb.133:                              ;   in Loop: Header=BB103_129 Depth=1
	s_or_b64 exec, exec, s[42:43]
.LBB103_134:                            ;   in Loop: Header=BB103_129 Depth=1
	s_or_b64 exec, exec, s[40:41]
	v_cmp_eq_u16_sdwa s[40:41], v5, v58 src0_sel:BYTE_0 src1_sel:DWORD
	v_and_b32_e32 v8, s41, v7
	v_and_b32_e32 v61, 0xffffff, v4
	v_or_b32_e32 v8, 0x80000000, v8
	ds_bpermute_b32 v62, v44, v61
	v_and_b32_e32 v9, s40, v6
	v_ffbl_b32_e32 v8, v8
	v_add_u32_e32 v8, 32, v8
	v_ffbl_b32_e32 v9, v9
	v_min_u32_e32 v8, v9, v8
	v_lshrrev_b32_e32 v9, 16, v4
	v_cmp_le_u32_e32 vcc, v45, v8
	v_bfe_u32 v60, v4, 16, 8
	s_and_saveexec_b64 s[40:41], vcc
	s_cbranch_execz .LBB103_136
; %bb.135:                              ;   in Loop: Header=BB103_129 Depth=1
	s_waitcnt lgkmcnt(0)
	v_lshlrev_b32_e32 v60, 16, v62
	v_lshlrev_b32_e32 v61, 16, v4
	v_and_b32_e32 v9, 0xff0000, v4
	v_cmp_lt_f32_e32 vcc, v60, v61
	v_cndmask_b32_e32 v60, v62, v4, vcc
	v_cmp_eq_u32_e32 vcc, 0, v9
	v_and_b32_e32 v9, 0x10000, v9
	v_cndmask_b32_e32 v4, v4, v60, vcc
	v_and_b32_sdwa v60, v62, v59 dst_sel:DWORD dst_unused:UNUSED_PAD src0_sel:WORD_1 src1_sel:DWORD
	v_cmp_ne_u32_e32 vcc, 0, v9
	v_cndmask_b32_e64 v9, v60, 1, vcc
	v_lshlrev_b32_e32 v60, 16, v9
	v_or_b32_sdwa v61, v60, v4 dst_sel:DWORD dst_unused:UNUSED_PAD src0_sel:DWORD src1_sel:WORD_0
	v_mov_b32_e32 v60, v9
.LBB103_136:                            ;   in Loop: Header=BB103_129 Depth=1
	s_or_b64 exec, exec, s[40:41]
	s_waitcnt lgkmcnt(0)
	ds_bpermute_b32 v62, v46, v61
	v_cmp_le_u32_e32 vcc, v47, v8
	s_and_saveexec_b64 s[40:41], vcc
	s_cbranch_execz .LBB103_138
; %bb.137:                              ;   in Loop: Header=BB103_129 Depth=1
	s_waitcnt lgkmcnt(0)
	v_lshlrev_b32_e32 v9, 16, v62
	v_lshlrev_b32_e32 v61, 16, v4
	v_cmp_lt_f32_e32 vcc, v9, v61
	v_cndmask_b32_e32 v9, v62, v4, vcc
	v_cmp_eq_u16_e32 vcc, 0, v60
	v_cndmask_b32_e32 v4, v4, v9, vcc
	v_and_b32_e32 v9, 1, v60
	v_and_b32_sdwa v60, v62, v59 dst_sel:DWORD dst_unused:UNUSED_PAD src0_sel:WORD_1 src1_sel:DWORD
	v_cmp_eq_u32_e32 vcc, 1, v9
	v_cndmask_b32_e64 v9, v60, 1, vcc
	v_lshlrev_b32_e32 v60, 16, v9
	v_or_b32_sdwa v61, v60, v4 dst_sel:DWORD dst_unused:UNUSED_PAD src0_sel:DWORD src1_sel:WORD_0
	v_mov_b32_e32 v60, v9
.LBB103_138:                            ;   in Loop: Header=BB103_129 Depth=1
	s_or_b64 exec, exec, s[40:41]
	s_waitcnt lgkmcnt(0)
	ds_bpermute_b32 v62, v48, v61
	v_cmp_le_u32_e32 vcc, v49, v8
	s_and_saveexec_b64 s[40:41], vcc
	s_cbranch_execz .LBB103_140
; %bb.139:                              ;   in Loop: Header=BB103_129 Depth=1
	s_waitcnt lgkmcnt(0)
	v_lshlrev_b32_e32 v9, 16, v62
	v_lshlrev_b32_e32 v61, 16, v4
	v_cmp_lt_f32_e32 vcc, v9, v61
	v_cndmask_b32_e32 v9, v62, v4, vcc
	v_cmp_eq_u16_e32 vcc, 0, v60
	v_cndmask_b32_e32 v4, v4, v9, vcc
	v_and_b32_e32 v9, 1, v60
	v_and_b32_sdwa v60, v62, v59 dst_sel:DWORD dst_unused:UNUSED_PAD src0_sel:WORD_1 src1_sel:DWORD
	v_cmp_eq_u32_e32 vcc, 1, v9
	v_cndmask_b32_e64 v9, v60, 1, vcc
	v_lshlrev_b32_e32 v60, 16, v9
	v_or_b32_sdwa v61, v60, v4 dst_sel:DWORD dst_unused:UNUSED_PAD src0_sel:DWORD src1_sel:WORD_0
	v_mov_b32_e32 v60, v9
.LBB103_140:                            ;   in Loop: Header=BB103_129 Depth=1
	;; [unrolled: 22-line block ×4, first 2 shown]
	s_or_b64 exec, exec, s[40:41]
	ds_bpermute_b32 v61, v56, v61
	v_cmp_le_u32_e32 vcc, v57, v8
	s_and_saveexec_b64 s[40:41], vcc
	s_cbranch_execz .LBB103_127
; %bb.145:                              ;   in Loop: Header=BB103_129 Depth=1
	s_waitcnt lgkmcnt(0)
	v_lshlrev_b32_e32 v8, 16, v61
	v_lshlrev_b32_e32 v9, 16, v4
	v_cmp_lt_f32_e32 vcc, v8, v9
	v_cndmask_b32_e32 v8, v61, v4, vcc
	v_cmp_eq_u16_e32 vcc, 0, v60
	v_cndmask_b32_e32 v4, v4, v8, vcc
	v_and_b32_e32 v8, 1, v60
	v_lshrrev_b32_e32 v9, 16, v61
	v_cmp_eq_u32_e32 vcc, 1, v8
	v_cndmask_b32_e64 v9, v9, 1, vcc
	s_branch .LBB103_127
.LBB103_146:
	s_or_b64 exec, exec, s[40:41]
                                        ; implicit-def: $vgpr20
	s_and_saveexec_b64 s[2:3], s[34:35]
	s_cbranch_execz .LBB103_33
.LBB103_147:
	global_load_ushort v20, v[13:14], off offset:512
	s_or_b64 exec, exec, s[2:3]
                                        ; implicit-def: $vgpr21
	s_and_saveexec_b64 s[2:3], s[8:9]
	s_cbranch_execnz .LBB103_34
.LBB103_148:
	s_or_b64 exec, exec, s[2:3]
                                        ; implicit-def: $vgpr22
	s_and_saveexec_b64 s[2:3], s[10:11]
	s_cbranch_execz .LBB103_35
.LBB103_149:
	global_load_ushort v22, v[13:14], off offset:1536
	s_or_b64 exec, exec, s[2:3]
                                        ; implicit-def: $vgpr23
	s_and_saveexec_b64 s[2:3], s[12:13]
	s_cbranch_execnz .LBB103_36
.LBB103_150:
	s_or_b64 exec, exec, s[2:3]
                                        ; implicit-def: $vgpr24
	s_and_saveexec_b64 s[2:3], s[14:15]
	s_cbranch_execz .LBB103_37
.LBB103_151:
	global_load_ushort v24, v[13:14], off offset:2560
	s_or_b64 exec, exec, s[2:3]
                                        ; implicit-def: $vgpr25
	s_and_saveexec_b64 s[2:3], s[16:17]
	s_cbranch_execnz .LBB103_38
.LBB103_152:
	s_or_b64 exec, exec, s[2:3]
                                        ; implicit-def: $vgpr26
	s_and_saveexec_b64 s[2:3], s[18:19]
	s_cbranch_execz .LBB103_39
.LBB103_153:
	global_load_ushort v26, v[13:14], off offset:3584
	s_or_b64 exec, exec, s[2:3]
                                        ; implicit-def: $vgpr27
	s_and_saveexec_b64 s[2:3], s[20:21]
	s_cbranch_execnz .LBB103_40
.LBB103_154:
	s_or_b64 exec, exec, s[2:3]
                                        ; implicit-def: $vgpr28
	s_and_saveexec_b64 s[2:3], s[22:23]
	s_cbranch_execz .LBB103_41
.LBB103_155:
	v_add_co_u32_e32 v28, vcc, 0x1000, v13
	v_addc_co_u32_e32 v29, vcc, 0, v14, vcc
	global_load_ushort v28, v[28:29], off offset:512
	s_or_b64 exec, exec, s[2:3]
                                        ; implicit-def: $vgpr29
	s_and_saveexec_b64 s[2:3], s[24:25]
	s_cbranch_execnz .LBB103_42
.LBB103_156:
	s_or_b64 exec, exec, s[2:3]
                                        ; implicit-def: $vgpr30
	s_and_saveexec_b64 s[2:3], s[26:27]
	s_cbranch_execz .LBB103_43
.LBB103_157:
	v_add_co_u32_e32 v30, vcc, 0x1000, v13
	v_addc_co_u32_e32 v31, vcc, 0, v14, vcc
	global_load_ushort v30, v[30:31], off offset:1536
	s_or_b64 exec, exec, s[2:3]
                                        ; implicit-def: $vgpr31
	s_and_saveexec_b64 s[2:3], s[28:29]
	s_cbranch_execz .LBB103_45
	s_branch .LBB103_44
.LBB103_158:
                                        ; implicit-def: $vgpr3
                                        ; implicit-def: $vgpr4
                                        ; implicit-def: $vgpr5
                                        ; implicit-def: $vgpr6
                                        ; implicit-def: $vgpr7
                                        ; implicit-def: $vgpr8
                                        ; implicit-def: $vgpr9
                                        ; implicit-def: $vgpr41
                                        ; implicit-def: $vgpr42
                                        ; implicit-def: $vgpr43
                                        ; implicit-def: $vgpr44
                                        ; implicit-def: $vgpr45
                                        ; implicit-def: $vgpr46
                                        ; implicit-def: $vgpr47
	s_cbranch_execnz .LBB103_166
	s_branch .LBB103_195
.LBB103_159:
	s_and_saveexec_b64 s[40:41], s[28:29]
	s_cbranch_execz .LBB103_161
; %bb.160:
	v_lshlrev_b32_e32 v3, 16, v55
	v_lshlrev_b32_e32 v4, 16, v1
	v_and_b32_e32 v2, 0xff0000, v1
	v_cmp_lt_f32_e32 vcc, v3, v4
	v_cndmask_b32_e32 v3, v55, v1, vcc
	v_cmp_eq_u32_e32 vcc, 0, v2
	s_mov_b32 s7, 0
	v_cndmask_b32_e32 v2, v1, v3, vcc
	v_and_b32_e32 v1, 0x10000, v1
	v_mov_b32_e32 v3, 1
	s_add_i32 s6, s6, 64
	v_and_b32_sdwa v3, v54, v3 dst_sel:WORD_1 dst_unused:UNUSED_PAD src0_sel:DWORD src1_sel:DWORD
	v_and_b32_e32 v4, 0xffff, v2
	s_lshl_b64 s[6:7], s[6:7], 3
	v_mov_b32_e32 v2, 0x10000
	v_cmp_eq_u32_e32 vcc, 0, v1
	s_add_u32 s6, s36, s6
	v_cndmask_b32_e32 v1, v2, v3, vcc
	s_addc_u32 s7, s37, s7
	v_mov_b32_e32 v5, 0
	v_mov_b32_e32 v2, 2
	v_or_b32_e32 v1, v1, v4
	global_store_dwordx2 v5, v[1:2], s[6:7]
.LBB103_161:
	s_or_b64 exec, exec, s[40:41]
	v_cmp_eq_u32_e32 vcc, 0, v0
	s_and_b64 exec, exec, vcc
	s_cbranch_execz .LBB103_163
; %bb.162:
	v_mov_b32_e32 v1, 0
	ds_write_b16 v1, v55 offset:12
	ds_write_b8 v1, v54 offset:14
.LBB103_163:
	s_or_b64 exec, exec, s[34:35]
	v_mov_b32_e32 v1, 0
	s_waitcnt vmcnt(0) lgkmcnt(0)
	s_barrier
	ds_read_b32 v3, v1 offset:12
	v_cmp_ne_u32_e32 vcc, 0, v0
	s_and_saveexec_b64 s[6:7], vcc
	s_cbranch_execz .LBB103_165
; %bb.164:
	v_cndmask_b32_e64 v2, v43, v41, s[28:29]
	s_mov_b64 vcc, s[28:29]
	s_waitcnt lgkmcnt(0)
	v_lshlrev_b32_e32 v5, 16, v3
	v_lshlrev_b32_e32 v6, 16, v2
	v_cndmask_b32_sdwa v4, v43, v42, vcc dst_sel:DWORD dst_unused:UNUSED_PAD src0_sel:WORD_1 src1_sel:DWORD
	v_cmp_lt_f32_e32 vcc, v5, v6
	v_cndmask_b32_e32 v3, v3, v2, vcc
	v_cmp_eq_u16_sdwa vcc, v4, v1 src0_sel:BYTE_0 src1_sel:DWORD
	v_cndmask_b32_e32 v3, v2, v3, vcc
.LBB103_165:
	s_or_b64 exec, exec, s[6:7]
	s_waitcnt lgkmcnt(0)
	v_lshlrev_b32_e32 v2, 16, v3
	v_and_b32_e32 v1, 0xff0000, v28
	v_cmp_lt_f32_e32 vcc, v2, v35
	v_cndmask_b32_e32 v2, v3, v28, vcc
	v_cmp_eq_u32_e32 vcc, 0, v1
	v_cndmask_b32_e32 v4, v28, v2, vcc
	v_lshlrev_b32_e32 v1, 16, v4
	v_cmp_lt_f32_e32 vcc, v1, v34
	v_cndmask_b32_e32 v1, v4, v14, vcc
	v_cndmask_b32_e64 v5, v14, v1, s[2:3]
	v_lshlrev_b32_e32 v1, 16, v5
	v_cmp_lt_f32_e32 vcc, v1, v33
	v_cndmask_b32_e32 v1, v5, v13, vcc
	v_cndmask_b32_e64 v6, v13, v1, s[30:31]
	;; [unrolled: 4-line block ×12, first 2 shown]
	s_branch .LBB103_195
.LBB103_166:
	s_cmp_eq_u64 s[46:47], 0
	v_mov_b32_e32 v1, s54
	s_cbranch_scc1 .LBB103_168
; %bb.167:
	v_mov_b32_e32 v1, 0
	global_load_ushort v1, v1, s[46:47]
.LBB103_168:
	s_mov_b32 s28, 0x10000
	v_cmp_lt_f32_e32 vcc, v35, v34
	v_cndmask_b32_e32 v2, v28, v14, vcc
	v_cmp_gt_u32_e64 s[2:3], s28, v14
	v_cndmask_b32_e64 v2, v14, v2, s[2:3]
	v_lshlrev_b32_e32 v4, 16, v2
	v_cmp_lt_f32_e32 vcc, v4, v33
	v_cndmask_b32_e32 v2, v2, v13, vcc
	v_cmp_gt_u32_e64 s[6:7], s28, v13
	v_cndmask_b32_e64 v2, v13, v2, s[6:7]
	v_lshlrev_b32_e32 v4, 16, v2
	;; [unrolled: 5-line block ×7, first 2 shown]
	v_cmp_lt_f32_e32 vcc, v4, v16
	v_cndmask_b32_e32 v2, v2, v23, vcc
	v_cmp_gt_u32_e64 s[18:19], s28, v23
	v_cndmask_b32_e64 v2, v23, v2, s[18:19]
	v_or3_b32 v4, v40, v27, v29
	v_or3_b32 v5, v4, v13, v14
	v_lshlrev_b32_e32 v4, 16, v2
	v_cmp_lt_f32_e32 vcc, v4, v15
	v_cndmask_b32_e32 v2, v2, v22, vcc
	v_cmp_gt_u32_e64 s[20:21], s28, v22
	v_cndmask_b32_e64 v2, v22, v2, s[20:21]
	v_lshlrev_b32_e32 v4, 16, v2
	v_cmp_lt_f32_e32 vcc, v4, v12
	v_cndmask_b32_e32 v2, v2, v21, vcc
	v_cmp_gt_u32_e64 s[22:23], s28, v21
	v_cndmask_b32_e64 v2, v21, v2, s[22:23]
	;; [unrolled: 5-line block ×3, first 2 shown]
	v_lshlrev_b32_e32 v4, 16, v2
	v_cmp_lt_f32_e32 vcc, v4, v10
	v_cndmask_b32_e32 v2, v2, v19, vcc
	v_cmp_gt_u32_e32 vcc, s28, v19
	v_cndmask_b32_e32 v2, v19, v2, vcc
	v_lshlrev_b32_e32 v4, 16, v2
	v_cmp_lt_f32_e64 s[26:27], v4, v39
	v_cndmask_b32_e64 v2, v2, v36, s[26:27]
	v_cmp_gt_u32_e64 s[26:27], s28, v36
	v_cndmask_b32_e64 v4, v36, v2, s[26:27]
	v_or3_b32 v2, v36, v38, v5
	v_and_b32_e32 v2, 0xff0000, v2
	v_and_b32_e32 v3, 0x10000, v28
	v_mov_b32_e32 v5, 0x10000
	v_cmp_eq_u32_e64 s[26:27], 0, v2
	v_cndmask_b32_e64 v5, v5, v3, s[26:27]
	v_mbcnt_hi_u32_b32 v2, -1, v37
	v_and_b32_e32 v8, 15, v2
	v_or_b32_sdwa v7, v5, v4 dst_sel:DWORD dst_unused:UNUSED_PAD src0_sel:DWORD src1_sel:WORD_0
	v_lshrrev_b32_e32 v3, 16, v5
	v_cmp_ne_u32_e64 s[26:27], 0, v8
	v_mov_b32_dpp v6, v7 row_shr:1 row_mask:0xf bank_mask:0xf
	s_and_saveexec_b64 s[28:29], s[26:27]
	s_cbranch_execz .LBB103_170
; %bb.169:
	v_and_b32_e32 v3, 0x10000, v5
	v_mov_b32_e32 v7, 1
	v_and_b32_sdwa v7, v6, v7 dst_sel:DWORD dst_unused:UNUSED_PAD src0_sel:WORD_1 src1_sel:DWORD
	v_cmp_ne_u32_e64 s[26:27], 0, v3
	v_cndmask_b32_e64 v3, v7, 1, s[26:27]
	v_mov_b32_e32 v7, 16
	v_lshlrev_b32_sdwa v7, v7, v4 dst_sel:DWORD dst_unused:UNUSED_PAD src0_sel:DWORD src1_sel:WORD_0
	v_lshlrev_b32_e32 v9, 16, v6
	v_cmp_lt_f32_e64 s[26:27], v9, v7
	v_cndmask_b32_e64 v6, v6, v4, s[26:27]
	v_cmp_eq_u32_e64 s[26:27], 0, v5
	v_cndmask_b32_e64 v4, v4, v6, s[26:27]
	v_lshlrev_b32_e32 v5, 16, v3
	v_or_b32_sdwa v7, v5, v4 dst_sel:DWORD dst_unused:UNUSED_PAD src0_sel:DWORD src1_sel:WORD_0
.LBB103_170:
	s_or_b64 exec, exec, s[28:29]
	v_lshrrev_b32_e32 v6, 16, v7
	v_mov_b32_dpp v9, v7 row_shr:2 row_mask:0xf bank_mask:0xf
	v_cmp_lt_u32_e64 s[26:27], 1, v8
	v_mov_b32_e32 v5, v7
	s_and_saveexec_b64 s[28:29], s[26:27]
	s_cbranch_execz .LBB103_172
; %bb.171:
	v_and_b32_e32 v3, 0x10000, v7
	v_mov_b32_e32 v4, 1
	v_and_b32_sdwa v4, v9, v4 dst_sel:DWORD dst_unused:UNUSED_PAD src0_sel:WORD_1 src1_sel:DWORD
	v_cmp_ne_u32_e64 s[26:27], 0, v3
	v_cndmask_b32_e64 v3, v4, 1, s[26:27]
	v_lshlrev_b32_e32 v4, 16, v7
	v_lshlrev_b32_e32 v5, 16, v9
	s_mov_b32 s30, 0x10000
	v_cmp_lt_f32_e64 s[26:27], v5, v4
	v_cndmask_b32_e64 v4, v9, v7, s[26:27]
	v_cmp_gt_u32_e64 s[26:27], s30, v7
	v_cndmask_b32_e64 v4, v7, v4, s[26:27]
	v_lshlrev_b32_e32 v5, 16, v3
	v_or_b32_sdwa v7, v5, v4 dst_sel:DWORD dst_unused:UNUSED_PAD src0_sel:DWORD src1_sel:WORD_0
	v_mov_b32_e32 v5, v4
	v_mov_b32_e32 v6, v3
.LBB103_172:
	s_or_b64 exec, exec, s[28:29]
	v_mov_b32_dpp v9, v7 row_shr:4 row_mask:0xf bank_mask:0xf
	v_cmp_lt_u32_e64 s[26:27], 3, v8
	s_and_saveexec_b64 s[28:29], s[26:27]
	s_cbranch_execz .LBB103_174
; %bb.173:
	v_and_b32_e32 v3, 1, v6
	v_mov_b32_e32 v4, 1
	v_and_b32_sdwa v4, v9, v4 dst_sel:DWORD dst_unused:UNUSED_PAD src0_sel:WORD_1 src1_sel:DWORD
	v_cmp_eq_u32_e64 s[26:27], 1, v3
	v_cndmask_b32_e64 v3, v4, 1, s[26:27]
	v_lshlrev_b32_e32 v4, 16, v9
	v_lshlrev_b32_e32 v7, 16, v5
	v_cmp_lt_f32_e64 s[26:27], v4, v7
	v_cndmask_b32_e64 v4, v9, v5, s[26:27]
	v_cmp_eq_u16_e64 s[26:27], 0, v6
	v_cndmask_b32_e64 v4, v5, v4, s[26:27]
	v_lshlrev_b32_e32 v5, 16, v3
	v_or_b32_sdwa v7, v5, v4 dst_sel:DWORD dst_unused:UNUSED_PAD src0_sel:DWORD src1_sel:WORD_0
	v_mov_b32_e32 v5, v4
	v_mov_b32_e32 v6, v3
.LBB103_174:
	s_or_b64 exec, exec, s[28:29]
	v_mov_b32_dpp v9, v7 row_shr:8 row_mask:0xf bank_mask:0xf
	v_cmp_lt_u32_e64 s[26:27], 7, v8
	s_and_saveexec_b64 s[28:29], s[26:27]
	s_cbranch_execz .LBB103_176
; %bb.175:
	v_and_b32_e32 v3, 1, v6
	v_mov_b32_e32 v4, 1
	v_and_b32_sdwa v4, v9, v4 dst_sel:DWORD dst_unused:UNUSED_PAD src0_sel:WORD_1 src1_sel:DWORD
	v_cmp_eq_u32_e64 s[26:27], 1, v3
	v_cndmask_b32_e64 v3, v4, 1, s[26:27]
	v_lshlrev_b32_e32 v4, 16, v9
	v_lshlrev_b32_e32 v7, 16, v5
	v_cmp_lt_f32_e64 s[26:27], v4, v7
	v_cndmask_b32_e64 v4, v9, v5, s[26:27]
	v_cmp_eq_u16_e64 s[26:27], 0, v6
	v_cndmask_b32_e64 v4, v5, v4, s[26:27]
	v_lshlrev_b32_e32 v5, 16, v3
	v_or_b32_sdwa v7, v5, v4 dst_sel:DWORD dst_unused:UNUSED_PAD src0_sel:DWORD src1_sel:WORD_0
	v_mov_b32_e32 v5, v4
	v_mov_b32_e32 v6, v3
.LBB103_176:
	s_or_b64 exec, exec, s[28:29]
	v_and_b32_e32 v9, 16, v2
	v_mov_b32_dpp v8, v7 row_bcast:15 row_mask:0xf bank_mask:0xf
	v_cmp_ne_u32_e64 s[26:27], 0, v9
	s_and_saveexec_b64 s[28:29], s[26:27]
	s_cbranch_execz .LBB103_178
; %bb.177:
	v_and_b32_e32 v3, 1, v6
	v_mov_b32_e32 v4, 1
	v_and_b32_sdwa v4, v8, v4 dst_sel:DWORD dst_unused:UNUSED_PAD src0_sel:WORD_1 src1_sel:DWORD
	v_cmp_eq_u32_e64 s[26:27], 1, v3
	v_cndmask_b32_e64 v3, v4, 1, s[26:27]
	v_lshlrev_b32_e32 v4, 16, v8
	v_lshlrev_b32_e32 v7, 16, v5
	v_cmp_lt_f32_e64 s[26:27], v4, v7
	v_cndmask_b32_e64 v4, v8, v5, s[26:27]
	v_cmp_eq_u16_e64 s[26:27], 0, v6
	v_cndmask_b32_e64 v4, v5, v4, s[26:27]
	v_lshlrev_b32_e32 v5, 16, v3
	v_or_b32_sdwa v7, v5, v4 dst_sel:DWORD dst_unused:UNUSED_PAD src0_sel:DWORD src1_sel:WORD_0
	v_mov_b32_e32 v5, v4
	v_mov_b32_e32 v6, v3
.LBB103_178:
	s_or_b64 exec, exec, s[28:29]
	v_mov_b32_dpp v7, v7 row_bcast:31 row_mask:0xf bank_mask:0xf
	v_cmp_lt_u32_e64 s[26:27], 31, v2
	s_and_saveexec_b64 s[28:29], s[26:27]
	s_cbranch_execz .LBB103_180
; %bb.179:
	v_and_b32_e32 v3, 1, v6
	v_mov_b32_e32 v4, 1
	v_and_b32_sdwa v4, v7, v4 dst_sel:DWORD dst_unused:UNUSED_PAD src0_sel:WORD_1 src1_sel:DWORD
	v_cmp_eq_u32_e64 s[26:27], 1, v3
	v_cndmask_b32_e64 v3, v4, 1, s[26:27]
	v_lshlrev_b32_e32 v4, 16, v7
	v_lshlrev_b32_e32 v8, 16, v5
	v_cmp_lt_f32_e64 s[26:27], v4, v8
	v_cndmask_b32_e64 v4, v7, v5, s[26:27]
	v_cmp_eq_u16_e64 s[26:27], 0, v6
	v_cndmask_b32_e64 v4, v5, v4, s[26:27]
.LBB103_180:
	s_or_b64 exec, exec, s[28:29]
	v_lshrrev_b32_e32 v5, 6, v0
	v_or_b32_e32 v6, 63, v0
	v_cmp_eq_u32_e64 s[26:27], v0, v6
	v_lshlrev_b32_e32 v5, 2, v5
	s_and_saveexec_b64 s[28:29], s[26:27]
	s_cbranch_execz .LBB103_182
; %bb.181:
	ds_write_b16 v5, v4
	ds_write_b8 v5, v3 offset:2
.LBB103_182:
	s_or_b64 exec, exec, s[28:29]
	v_cmp_gt_u32_e64 s[26:27], 4, v0
	s_waitcnt vmcnt(0) lgkmcnt(0)
	s_barrier
	s_and_saveexec_b64 s[28:29], s[26:27]
	s_cbranch_execz .LBB103_188
; %bb.183:
	v_lshlrev_b32_e32 v6, 2, v0
	ds_read_b32 v7, v6
	v_and_b32_e32 v9, 3, v2
	v_cmp_ne_u32_e64 s[26:27], 0, v9
	s_waitcnt lgkmcnt(0)
	v_lshrrev_b32_e32 v8, 16, v7
	v_mov_b32_dpp v37, v7 row_shr:1 row_mask:0xf bank_mask:0xf
	v_mov_b32_e32 v36, v7
	s_and_saveexec_b64 s[30:31], s[26:27]
	s_cbranch_execz .LBB103_185
; %bb.184:
	v_and_b32_e32 v36, 0x10000, v7
	v_mov_b32_e32 v39, 1
	v_and_b32_sdwa v39, v37, v39 dst_sel:DWORD dst_unused:UNUSED_PAD src0_sel:WORD_1 src1_sel:DWORD
	v_cmp_ne_u32_e64 s[26:27], 0, v36
	v_lshlrev_b32_e32 v40, 16, v7
	v_lshlrev_b32_e32 v41, 16, v37
	v_cndmask_b32_e64 v39, v39, 1, s[26:27]
	v_mov_b32_e32 v36, 0
	v_cmp_lt_f32_e64 s[26:27], v41, v40
	v_cndmask_b32_e64 v37, v37, v7, s[26:27]
	v_cmp_eq_u16_sdwa s[26:27], v8, v36 src0_sel:BYTE_0 src1_sel:DWORD
	v_cndmask_b32_e64 v36, v7, v37, s[26:27]
	v_and_b32_e32 v38, 0xff000000, v7
	v_lshlrev_b32_e32 v7, 16, v39
	v_and_b32_e32 v8, 0xffff, v36
	v_or3_b32 v7, v7, v38, v8
	v_mov_b32_e32 v8, v39
.LBB103_185:
	s_or_b64 exec, exec, s[30:31]
	v_mov_b32_dpp v37, v7 row_shr:2 row_mask:0xf bank_mask:0xf
	v_cmp_lt_u32_e64 s[26:27], 1, v9
	s_and_saveexec_b64 s[30:31], s[26:27]
	s_cbranch_execz .LBB103_187
; %bb.186:
	v_and_b32_e32 v8, 0x10000, v7
	v_mov_b32_e32 v9, 1
	v_and_b32_sdwa v9, v37, v9 dst_sel:DWORD dst_unused:UNUSED_PAD src0_sel:WORD_1 src1_sel:DWORD
	v_cmp_eq_u32_e64 s[26:27], 0, v8
	v_lshlrev_b32_e32 v36, 16, v7
	v_lshlrev_b32_e32 v38, 16, v37
	v_cndmask_b32_e64 v8, 1, v9, s[26:27]
	v_and_b32_e32 v9, 0xff0000, v7
	v_cmp_lt_f32_e64 s[26:27], v38, v36
	v_cndmask_b32_e64 v36, v37, v7, s[26:27]
	v_cmp_eq_u32_e64 s[26:27], 0, v9
	v_cndmask_b32_e64 v36, v7, v36, s[26:27]
.LBB103_187:
	s_or_b64 exec, exec, s[30:31]
	ds_write_b16 v6, v36
	ds_write_b8 v6, v8 offset:2
.LBB103_188:
	s_or_b64 exec, exec, s[28:29]
	v_cmp_lt_u32_e64 s[26:27], 63, v0
	s_waitcnt lgkmcnt(0)
	s_barrier
                                        ; implicit-def: $vgpr6
                                        ; implicit-def: $vgpr36
                                        ; implicit-def: $vgpr7
                                        ; implicit-def: $vgpr8
	s_and_saveexec_b64 s[28:29], s[26:27]
	s_xor_b64 s[28:29], exec, s[28:29]
	s_cbranch_execz .LBB103_190
; %bb.189:
	v_add_u32_e32 v6, -4, v5
	ds_read_u16 v6, v6
	v_add_u32_e32 v5, -2, v5
	ds_read_u8 v5, v5
	v_mov_b32_e32 v7, 16
	v_lshlrev_b32_sdwa v36, v7, v1 dst_sel:DWORD dst_unused:UNUSED_PAD src0_sel:DWORD src1_sel:WORD_0
	s_waitcnt lgkmcnt(1)
	v_lshlrev_b32_e32 v7, 16, v6
	v_cmp_lt_f32_e64 s[26:27], v36, v7
	v_cndmask_b32_e64 v7, v1, v6, s[26:27]
	s_waitcnt lgkmcnt(0)
	v_cmp_eq_u32_e64 s[26:27], 0, v5
	v_cndmask_b32_e64 v6, v6, v7, s[26:27]
	v_lshlrev_b32_e32 v8, 16, v6
	v_lshlrev_b32_e32 v7, 16, v5
.LBB103_190:
	s_andn2_saveexec_b64 s[26:27], s[28:29]
; %bb.191:
	v_mov_b32_e32 v5, 16
	v_lshlrev_b32_sdwa v8, v5, v1 dst_sel:DWORD dst_unused:UNUSED_PAD src0_sel:DWORD src1_sel:WORD_0
	v_mov_b32_e32 v7, 0
	v_mov_b32_e32 v36, v8
	;; [unrolled: 1-line block ×3, first 2 shown]
; %bb.192:
	s_or_b64 exec, exec, s[26:27]
	v_lshlrev_b32_e32 v5, 16, v4
	v_cmp_lt_f32_e64 s[26:27], v8, v5
	v_cndmask_b32_e64 v5, v6, v4, s[26:27]
	v_cmp_eq_u16_e64 s[26:27], 0, v3
	v_and_b32_e32 v3, 1, v3
	v_cndmask_b32_e64 v4, v4, v5, s[26:27]
	v_mov_b32_e32 v5, 0x10000
	v_cmp_eq_u32_e64 s[26:27], 1, v3
	v_cndmask_b32_e64 v3, v7, v5, s[26:27]
	v_or_b32_sdwa v3, v3, v4 dst_sel:DWORD dst_unused:UNUSED_PAD src0_sel:DWORD src1_sel:WORD_0
	v_subrev_co_u32_e64 v4, s[26:27], 1, v2
	v_and_b32_e32 v5, 64, v2
	v_cmp_lt_i32_e64 s[28:29], v4, v5
	v_cndmask_b32_e64 v2, v4, v2, s[28:29]
	v_lshlrev_b32_e32 v2, 2, v2
	ds_bpermute_b32 v2, v2, v3
	v_and_b32_e32 v4, 0xff0000, v28
	s_waitcnt lgkmcnt(0)
	v_cndmask_b32_e64 v3, v2, v6, s[26:27]
	v_cmp_eq_u32_e64 s[26:27], 0, v0
	v_cndmask_b32_e64 v2, v3, v1, s[26:27]
	v_lshlrev_b32_e32 v5, 16, v2
	v_cmp_lt_f32_e64 s[28:29], v5, v35
	v_cndmask_b32_e64 v2, v2, v28, s[28:29]
	v_cmp_eq_u32_e64 s[28:29], 0, v4
	v_cndmask_b32_e64 v4, v28, v2, s[28:29]
	v_lshlrev_b32_e32 v2, 16, v4
	v_cmp_lt_f32_e64 s[28:29], v2, v34
	v_cndmask_b32_e64 v2, v4, v14, s[28:29]
	v_cndmask_b32_e64 v5, v14, v2, s[2:3]
	v_lshlrev_b32_e32 v2, 16, v5
	v_cmp_lt_f32_e64 s[2:3], v2, v33
	v_cndmask_b32_e64 v2, v5, v13, s[2:3]
	;; [unrolled: 4-line block ×12, first 2 shown]
	s_and_saveexec_b64 s[6:7], s[26:27]
	s_cbranch_execz .LBB103_194
; %bb.193:
	v_mov_b32_e32 v3, 0
	ds_read_u16 v10, v3 offset:12
	ds_read_u8 v12, v3 offset:14
	v_mov_b32_e32 v11, 2
	s_waitcnt lgkmcnt(1)
	v_lshlrev_b32_e32 v13, 16, v10
	v_cmp_lt_f32_e64 s[2:3], v36, v13
	v_cndmask_b32_e64 v13, v1, v10, s[2:3]
	s_waitcnt lgkmcnt(0)
	v_cmp_eq_u32_e64 s[2:3], 0, v12
	v_cndmask_b32_e64 v10, v10, v13, s[2:3]
	v_and_b32_e32 v10, 0xffff, v10
	v_lshl_or_b32 v10, v12, 16, v10
	global_store_dwordx2 v3, v[10:11], s[36:37] offset:512
	v_mov_b32_e32 v3, v1
.LBB103_194:
	s_or_b64 exec, exec, s[6:7]
	v_cndmask_b32_e32 v47, v19, v2, vcc
.LBB103_195:
	s_load_dwordx2 s[2:3], s[4:5], 0x18
	s_waitcnt lgkmcnt(0)
	s_add_u32 s2, s2, s44
	s_addc_u32 s3, s3, s45
	s_and_b64 vcc, exec, s[0:1]
	s_cbranch_vccz .LBB103_245
; %bb.196:
	s_add_i32 s33, s33, s38
	v_mul_u32_u24_e32 v1, 14, v0
	v_cmp_gt_u32_e32 vcc, s33, v1
	s_and_saveexec_b64 s[0:1], vcc
	s_cbranch_execz .LBB103_218
; %bb.197:
	v_or_b32_e32 v2, 1, v1
	v_cmp_gt_u32_e32 vcc, s33, v2
	s_and_saveexec_b64 s[4:5], vcc
	s_cbranch_execz .LBB103_217
; %bb.198:
	v_add_u32_e32 v2, 2, v1
	v_cmp_gt_u32_e32 vcc, s33, v2
	s_and_saveexec_b64 s[6:7], vcc
	s_cbranch_execz .LBB103_216
; %bb.199:
	v_add_u32_e32 v2, 3, v1
	;; [unrolled: 5-line block ×9, first 2 shown]
	v_cmp_gt_u32_e32 vcc, s33, v2
	s_and_saveexec_b64 s[22:23], vcc
; %bb.207:
	v_add_u32_e32 v2, 11, v1
	v_cmp_gt_u32_e32 vcc, s33, v2
	s_and_saveexec_b64 s[24:25], vcc
	s_or_b64 exec, exec, s[24:25]
; %bb.208:
	s_or_b64 exec, exec, s[22:23]
.LBB103_209:
	s_or_b64 exec, exec, s[20:21]
.LBB103_210:
	s_or_b64 exec, exec, s[18:19]
.LBB103_211:
	s_or_b64 exec, exec, s[16:17]
.LBB103_212:
	s_or_b64 exec, exec, s[14:15]
.LBB103_213:
	s_or_b64 exec, exec, s[12:13]
.LBB103_214:
	s_or_b64 exec, exec, s[10:11]
.LBB103_215:
	s_or_b64 exec, exec, s[8:9]
.LBB103_216:
	s_or_b64 exec, exec, s[6:7]
.LBB103_217:
	s_or_b64 exec, exec, s[4:5]
.LBB103_218:
	s_or_b64 exec, exec, s[0:1]
	s_mov_b32 s0, 0x5040100
	v_lshlrev_b32_e32 v22, 1, v1
	v_perm_b32 v1, v6, v5, s0
	v_perm_b32 v2, v4, v3, s0
	s_waitcnt vmcnt(0)
	s_barrier
	ds_write2_b32 v22, v2, v1 offset1:1
	v_perm_b32 v1, v41, v9, s0
	v_perm_b32 v2, v8, v7, s0
	ds_write2_b32 v22, v2, v1 offset0:2 offset1:3
	v_perm_b32 v1, v45, v44, s0
	v_perm_b32 v2, v43, v42, s0
	ds_write2_b32 v22, v2, v1 offset0:4 offset1:5
	v_perm_b32 v1, v47, v46, s0
	s_movk_i32 s0, 0xffe6
	ds_write_b32 v22, v1 offset:24
	v_mad_i32_i24 v1, v0, s0, v22
	s_waitcnt lgkmcnt(0)
	s_barrier
	ds_read_u16 v23, v1 offset:512
	ds_read_u16 v21, v1 offset:1024
	;; [unrolled: 1-line block ×13, first 2 shown]
	v_lshlrev_b32_e32 v1, 1, v0
	v_mov_b32_e32 v2, s3
	v_add_co_u32_e32 v1, vcc, s2, v1
	v_addc_co_u32_e32 v2, vcc, 0, v2, vcc
	v_cmp_gt_u32_e32 vcc, s33, v0
	s_and_saveexec_b64 s[0:1], vcc
	s_cbranch_execz .LBB103_220
; %bb.219:
	v_mul_i32_i24_e32 v24, 0xffffffe6, v0
	v_add_u32_e32 v22, v22, v24
	ds_read_u16 v22, v22
	s_waitcnt lgkmcnt(0)
	global_store_short v[1:2], v22, off
.LBB103_220:
	s_or_b64 exec, exec, s[0:1]
	v_or_b32_e32 v22, 0x100, v0
	v_cmp_gt_u32_e32 vcc, s33, v22
	s_and_saveexec_b64 s[0:1], vcc
	s_cbranch_execz .LBB103_222
; %bb.221:
	s_waitcnt lgkmcnt(12)
	global_store_short v[1:2], v23, off offset:512
.LBB103_222:
	s_or_b64 exec, exec, s[0:1]
	v_or_b32_e32 v22, 0x200, v0
	v_cmp_gt_u32_e32 vcc, s33, v22
	s_and_saveexec_b64 s[0:1], vcc
	s_cbranch_execz .LBB103_224
; %bb.223:
	s_waitcnt lgkmcnt(11)
	global_store_short v[1:2], v21, off offset:1024
.LBB103_224:
	s_or_b64 exec, exec, s[0:1]
	s_waitcnt lgkmcnt(11)
	v_or_b32_e32 v21, 0x300, v0
	v_cmp_gt_u32_e32 vcc, s33, v21
	s_and_saveexec_b64 s[0:1], vcc
	s_cbranch_execz .LBB103_226
; %bb.225:
	s_waitcnt lgkmcnt(10)
	global_store_short v[1:2], v20, off offset:1536
.LBB103_226:
	s_or_b64 exec, exec, s[0:1]
	s_waitcnt lgkmcnt(10)
	v_or_b32_e32 v20, 0x400, v0
	v_cmp_gt_u32_e32 vcc, s33, v20
	s_and_saveexec_b64 s[0:1], vcc
	s_cbranch_execz .LBB103_228
; %bb.227:
	s_waitcnt lgkmcnt(9)
	global_store_short v[1:2], v19, off offset:2048
.LBB103_228:
	s_or_b64 exec, exec, s[0:1]
	s_waitcnt lgkmcnt(9)
	v_or_b32_e32 v19, 0x500, v0
	v_cmp_gt_u32_e32 vcc, s33, v19
	s_and_saveexec_b64 s[0:1], vcc
	s_cbranch_execz .LBB103_230
; %bb.229:
	s_waitcnt lgkmcnt(8)
	global_store_short v[1:2], v18, off offset:2560
.LBB103_230:
	s_or_b64 exec, exec, s[0:1]
	s_waitcnt lgkmcnt(8)
	v_or_b32_e32 v18, 0x600, v0
	v_cmp_gt_u32_e32 vcc, s33, v18
	s_and_saveexec_b64 s[0:1], vcc
	s_cbranch_execz .LBB103_232
; %bb.231:
	s_waitcnt lgkmcnt(7)
	global_store_short v[1:2], v17, off offset:3072
.LBB103_232:
	s_or_b64 exec, exec, s[0:1]
	s_waitcnt lgkmcnt(7)
	v_or_b32_e32 v17, 0x700, v0
	v_cmp_gt_u32_e32 vcc, s33, v17
	s_and_saveexec_b64 s[0:1], vcc
	s_cbranch_execz .LBB103_234
; %bb.233:
	s_waitcnt lgkmcnt(6)
	global_store_short v[1:2], v16, off offset:3584
.LBB103_234:
	s_or_b64 exec, exec, s[0:1]
	s_waitcnt lgkmcnt(6)
	v_or_b32_e32 v16, 0x800, v0
	v_cmp_gt_u32_e32 vcc, s33, v16
	s_and_saveexec_b64 s[0:1], vcc
	s_cbranch_execz .LBB103_236
; %bb.235:
	v_add_co_u32_e32 v16, vcc, 0x1000, v1
	v_addc_co_u32_e32 v17, vcc, 0, v2, vcc
	s_waitcnt lgkmcnt(5)
	global_store_short v[16:17], v15, off
.LBB103_236:
	s_or_b64 exec, exec, s[0:1]
	s_waitcnt lgkmcnt(5)
	v_or_b32_e32 v15, 0x900, v0
	v_cmp_gt_u32_e32 vcc, s33, v15
	s_and_saveexec_b64 s[0:1], vcc
	s_cbranch_execz .LBB103_238
; %bb.237:
	v_add_co_u32_e32 v15, vcc, 0x1000, v1
	v_addc_co_u32_e32 v16, vcc, 0, v2, vcc
	s_waitcnt lgkmcnt(4)
	global_store_short v[15:16], v14, off offset:512
.LBB103_238:
	s_or_b64 exec, exec, s[0:1]
	s_waitcnt lgkmcnt(4)
	v_or_b32_e32 v14, 0xa00, v0
	v_cmp_gt_u32_e32 vcc, s33, v14
	s_and_saveexec_b64 s[0:1], vcc
	s_cbranch_execz .LBB103_240
; %bb.239:
	v_add_co_u32_e32 v14, vcc, 0x1000, v1
	v_addc_co_u32_e32 v15, vcc, 0, v2, vcc
	s_waitcnt lgkmcnt(3)
	global_store_short v[14:15], v13, off offset:1024
.LBB103_240:
	;; [unrolled: 12-line block ×4, first 2 shown]
	s_or_b64 exec, exec, s[0:1]
	v_or_b32_e32 v1, 0xd00, v0
	v_cmp_gt_u32_e64 s[0:1], s33, v1
	s_branch .LBB103_247
.LBB103_245:
	s_mov_b64 s[0:1], 0
                                        ; implicit-def: $vgpr10
	s_cbranch_execz .LBB103_247
; %bb.246:
	s_mov_b32 s4, 0x5040100
	v_mul_u32_u24_e32 v1, 28, v0
	v_perm_b32 v2, v6, v5, s4
	v_perm_b32 v3, v4, v3, s4
	s_waitcnt vmcnt(0) lgkmcnt(0)
	s_barrier
	ds_write2_b32 v1, v3, v2 offset1:1
	v_perm_b32 v2, v41, v9, s4
	v_perm_b32 v3, v8, v7, s4
	ds_write2_b32 v1, v3, v2 offset0:2 offset1:3
	v_perm_b32 v2, v45, v44, s4
	v_perm_b32 v3, v43, v42, s4
	ds_write2_b32 v1, v3, v2 offset0:4 offset1:5
	v_perm_b32 v2, v47, v46, s4
	ds_write_b32 v1, v2 offset:24
	v_mul_i32_i24_e32 v1, 0xffffffe6, v0
	v_mad_u32_u24 v1, v0, 28, v1
	s_waitcnt lgkmcnt(0)
	s_barrier
	ds_read_u16 v2, v1
	ds_read_u16 v3, v1 offset:512
	ds_read_u16 v4, v1 offset:1024
	;; [unrolled: 1-line block ×13, first 2 shown]
	v_lshlrev_b32_e32 v1, 1, v0
	v_mov_b32_e32 v16, s3
	v_add_co_u32_e32 v17, vcc, s2, v1
	v_addc_co_u32_e32 v16, vcc, 0, v16, vcc
	s_waitcnt lgkmcnt(13)
	global_store_short v1, v2, s[2:3]
	s_waitcnt lgkmcnt(12)
	global_store_short v1, v3, s[2:3] offset:512
	s_waitcnt lgkmcnt(11)
	global_store_short v1, v4, s[2:3] offset:1024
	;; [unrolled: 2-line block ×7, first 2 shown]
	v_add_co_u32_e32 v1, vcc, 0x1000, v17
	v_addc_co_u32_e32 v2, vcc, 0, v16, vcc
	s_or_b64 s[0:1], s[0:1], exec
	s_waitcnt lgkmcnt(5)
	global_store_short v[1:2], v11, off
	s_waitcnt lgkmcnt(4)
	global_store_short v[1:2], v12, off offset:512
	s_waitcnt lgkmcnt(3)
	global_store_short v[1:2], v13, off offset:1024
	;; [unrolled: 2-line block ×4, first 2 shown]
.LBB103_247:
	s_and_saveexec_b64 s[4:5], s[0:1]
	s_cbranch_execz .LBB103_249
; %bb.248:
	v_lshlrev_b32_e32 v0, 1, v0
	v_mov_b32_e32 v1, s3
	v_add_co_u32_e32 v0, vcc, s2, v0
	v_addc_co_u32_e32 v1, vcc, 0, v1, vcc
	v_add_co_u32_e32 v0, vcc, 0x1000, v0
	v_addc_co_u32_e32 v1, vcc, 0, v1, vcc
	s_waitcnt lgkmcnt(0)
	global_store_short v[0:1], v10, off offset:2560
	s_endpgm
.LBB103_249:
	s_endpgm
	.section	.rodata,"a",@progbits
	.p2align	6, 0x0
	.amdhsa_kernel _ZN7rocprim6detail25device_scan_by_key_kernelILNS0_25lookback_scan_determinismE0ELb1ENS0_26wrapped_scan_by_key_configINS_14default_configEi12hip_bfloat16EEPiN6hipcub22TransformInputIteratorIS5_NS8_6CastOpIS5_EEPS5_lEESC_S5_NS8_8EqualityENS8_3MaxENS0_19lookback_scan_stateINS_5tupleIJS5_bEEELb0ELb1EEES5_EEvT2_T3_T4_T5_T6_T7_T8_mmmPKNSH_IJT9_bEEE
		.amdhsa_group_segment_fixed_size 16384
		.amdhsa_private_segment_fixed_size 0
		.amdhsa_kernarg_size 80
		.amdhsa_user_sgpr_count 6
		.amdhsa_user_sgpr_private_segment_buffer 1
		.amdhsa_user_sgpr_dispatch_ptr 0
		.amdhsa_user_sgpr_queue_ptr 0
		.amdhsa_user_sgpr_kernarg_segment_ptr 1
		.amdhsa_user_sgpr_dispatch_id 0
		.amdhsa_user_sgpr_flat_scratch_init 0
		.amdhsa_user_sgpr_private_segment_size 0
		.amdhsa_uses_dynamic_stack 0
		.amdhsa_system_sgpr_private_segment_wavefront_offset 0
		.amdhsa_system_sgpr_workgroup_id_x 1
		.amdhsa_system_sgpr_workgroup_id_y 0
		.amdhsa_system_sgpr_workgroup_id_z 0
		.amdhsa_system_sgpr_workgroup_info 0
		.amdhsa_system_vgpr_workitem_id 0
		.amdhsa_next_free_vgpr 63
		.amdhsa_next_free_sgpr 98
		.amdhsa_reserve_vcc 1
		.amdhsa_reserve_flat_scratch 0
		.amdhsa_float_round_mode_32 0
		.amdhsa_float_round_mode_16_64 0
		.amdhsa_float_denorm_mode_32 3
		.amdhsa_float_denorm_mode_16_64 3
		.amdhsa_dx10_clamp 1
		.amdhsa_ieee_mode 1
		.amdhsa_fp16_overflow 0
		.amdhsa_exception_fp_ieee_invalid_op 0
		.amdhsa_exception_fp_denorm_src 0
		.amdhsa_exception_fp_ieee_div_zero 0
		.amdhsa_exception_fp_ieee_overflow 0
		.amdhsa_exception_fp_ieee_underflow 0
		.amdhsa_exception_fp_ieee_inexact 0
		.amdhsa_exception_int_div_zero 0
	.end_amdhsa_kernel
	.section	.text._ZN7rocprim6detail25device_scan_by_key_kernelILNS0_25lookback_scan_determinismE0ELb1ENS0_26wrapped_scan_by_key_configINS_14default_configEi12hip_bfloat16EEPiN6hipcub22TransformInputIteratorIS5_NS8_6CastOpIS5_EEPS5_lEESC_S5_NS8_8EqualityENS8_3MaxENS0_19lookback_scan_stateINS_5tupleIJS5_bEEELb0ELb1EEES5_EEvT2_T3_T4_T5_T6_T7_T8_mmmPKNSH_IJT9_bEEE,"axG",@progbits,_ZN7rocprim6detail25device_scan_by_key_kernelILNS0_25lookback_scan_determinismE0ELb1ENS0_26wrapped_scan_by_key_configINS_14default_configEi12hip_bfloat16EEPiN6hipcub22TransformInputIteratorIS5_NS8_6CastOpIS5_EEPS5_lEESC_S5_NS8_8EqualityENS8_3MaxENS0_19lookback_scan_stateINS_5tupleIJS5_bEEELb0ELb1EEES5_EEvT2_T3_T4_T5_T6_T7_T8_mmmPKNSH_IJT9_bEEE,comdat
.Lfunc_end103:
	.size	_ZN7rocprim6detail25device_scan_by_key_kernelILNS0_25lookback_scan_determinismE0ELb1ENS0_26wrapped_scan_by_key_configINS_14default_configEi12hip_bfloat16EEPiN6hipcub22TransformInputIteratorIS5_NS8_6CastOpIS5_EEPS5_lEESC_S5_NS8_8EqualityENS8_3MaxENS0_19lookback_scan_stateINS_5tupleIJS5_bEEELb0ELb1EEES5_EEvT2_T3_T4_T5_T6_T7_T8_mmmPKNSH_IJT9_bEEE, .Lfunc_end103-_ZN7rocprim6detail25device_scan_by_key_kernelILNS0_25lookback_scan_determinismE0ELb1ENS0_26wrapped_scan_by_key_configINS_14default_configEi12hip_bfloat16EEPiN6hipcub22TransformInputIteratorIS5_NS8_6CastOpIS5_EEPS5_lEESC_S5_NS8_8EqualityENS8_3MaxENS0_19lookback_scan_stateINS_5tupleIJS5_bEEELb0ELb1EEES5_EEvT2_T3_T4_T5_T6_T7_T8_mmmPKNSH_IJT9_bEEE
                                        ; -- End function
	.set _ZN7rocprim6detail25device_scan_by_key_kernelILNS0_25lookback_scan_determinismE0ELb1ENS0_26wrapped_scan_by_key_configINS_14default_configEi12hip_bfloat16EEPiN6hipcub22TransformInputIteratorIS5_NS8_6CastOpIS5_EEPS5_lEESC_S5_NS8_8EqualityENS8_3MaxENS0_19lookback_scan_stateINS_5tupleIJS5_bEEELb0ELb1EEES5_EEvT2_T3_T4_T5_T6_T7_T8_mmmPKNSH_IJT9_bEEE.num_vgpr, 63
	.set _ZN7rocprim6detail25device_scan_by_key_kernelILNS0_25lookback_scan_determinismE0ELb1ENS0_26wrapped_scan_by_key_configINS_14default_configEi12hip_bfloat16EEPiN6hipcub22TransformInputIteratorIS5_NS8_6CastOpIS5_EEPS5_lEESC_S5_NS8_8EqualityENS8_3MaxENS0_19lookback_scan_stateINS_5tupleIJS5_bEEELb0ELb1EEES5_EEvT2_T3_T4_T5_T6_T7_T8_mmmPKNSH_IJT9_bEEE.num_agpr, 0
	.set _ZN7rocprim6detail25device_scan_by_key_kernelILNS0_25lookback_scan_determinismE0ELb1ENS0_26wrapped_scan_by_key_configINS_14default_configEi12hip_bfloat16EEPiN6hipcub22TransformInputIteratorIS5_NS8_6CastOpIS5_EEPS5_lEESC_S5_NS8_8EqualityENS8_3MaxENS0_19lookback_scan_stateINS_5tupleIJS5_bEEELb0ELb1EEES5_EEvT2_T3_T4_T5_T6_T7_T8_mmmPKNSH_IJT9_bEEE.numbered_sgpr, 55
	.set _ZN7rocprim6detail25device_scan_by_key_kernelILNS0_25lookback_scan_determinismE0ELb1ENS0_26wrapped_scan_by_key_configINS_14default_configEi12hip_bfloat16EEPiN6hipcub22TransformInputIteratorIS5_NS8_6CastOpIS5_EEPS5_lEESC_S5_NS8_8EqualityENS8_3MaxENS0_19lookback_scan_stateINS_5tupleIJS5_bEEELb0ELb1EEES5_EEvT2_T3_T4_T5_T6_T7_T8_mmmPKNSH_IJT9_bEEE.num_named_barrier, 0
	.set _ZN7rocprim6detail25device_scan_by_key_kernelILNS0_25lookback_scan_determinismE0ELb1ENS0_26wrapped_scan_by_key_configINS_14default_configEi12hip_bfloat16EEPiN6hipcub22TransformInputIteratorIS5_NS8_6CastOpIS5_EEPS5_lEESC_S5_NS8_8EqualityENS8_3MaxENS0_19lookback_scan_stateINS_5tupleIJS5_bEEELb0ELb1EEES5_EEvT2_T3_T4_T5_T6_T7_T8_mmmPKNSH_IJT9_bEEE.private_seg_size, 0
	.set _ZN7rocprim6detail25device_scan_by_key_kernelILNS0_25lookback_scan_determinismE0ELb1ENS0_26wrapped_scan_by_key_configINS_14default_configEi12hip_bfloat16EEPiN6hipcub22TransformInputIteratorIS5_NS8_6CastOpIS5_EEPS5_lEESC_S5_NS8_8EqualityENS8_3MaxENS0_19lookback_scan_stateINS_5tupleIJS5_bEEELb0ELb1EEES5_EEvT2_T3_T4_T5_T6_T7_T8_mmmPKNSH_IJT9_bEEE.uses_vcc, 1
	.set _ZN7rocprim6detail25device_scan_by_key_kernelILNS0_25lookback_scan_determinismE0ELb1ENS0_26wrapped_scan_by_key_configINS_14default_configEi12hip_bfloat16EEPiN6hipcub22TransformInputIteratorIS5_NS8_6CastOpIS5_EEPS5_lEESC_S5_NS8_8EqualityENS8_3MaxENS0_19lookback_scan_stateINS_5tupleIJS5_bEEELb0ELb1EEES5_EEvT2_T3_T4_T5_T6_T7_T8_mmmPKNSH_IJT9_bEEE.uses_flat_scratch, 0
	.set _ZN7rocprim6detail25device_scan_by_key_kernelILNS0_25lookback_scan_determinismE0ELb1ENS0_26wrapped_scan_by_key_configINS_14default_configEi12hip_bfloat16EEPiN6hipcub22TransformInputIteratorIS5_NS8_6CastOpIS5_EEPS5_lEESC_S5_NS8_8EqualityENS8_3MaxENS0_19lookback_scan_stateINS_5tupleIJS5_bEEELb0ELb1EEES5_EEvT2_T3_T4_T5_T6_T7_T8_mmmPKNSH_IJT9_bEEE.has_dyn_sized_stack, 0
	.set _ZN7rocprim6detail25device_scan_by_key_kernelILNS0_25lookback_scan_determinismE0ELb1ENS0_26wrapped_scan_by_key_configINS_14default_configEi12hip_bfloat16EEPiN6hipcub22TransformInputIteratorIS5_NS8_6CastOpIS5_EEPS5_lEESC_S5_NS8_8EqualityENS8_3MaxENS0_19lookback_scan_stateINS_5tupleIJS5_bEEELb0ELb1EEES5_EEvT2_T3_T4_T5_T6_T7_T8_mmmPKNSH_IJT9_bEEE.has_recursion, 0
	.set _ZN7rocprim6detail25device_scan_by_key_kernelILNS0_25lookback_scan_determinismE0ELb1ENS0_26wrapped_scan_by_key_configINS_14default_configEi12hip_bfloat16EEPiN6hipcub22TransformInputIteratorIS5_NS8_6CastOpIS5_EEPS5_lEESC_S5_NS8_8EqualityENS8_3MaxENS0_19lookback_scan_stateINS_5tupleIJS5_bEEELb0ELb1EEES5_EEvT2_T3_T4_T5_T6_T7_T8_mmmPKNSH_IJT9_bEEE.has_indirect_call, 0
	.section	.AMDGPU.csdata,"",@progbits
; Kernel info:
; codeLenInByte = 12516
; TotalNumSgprs: 59
; NumVgprs: 63
; ScratchSize: 0
; MemoryBound: 0
; FloatMode: 240
; IeeeMode: 1
; LDSByteSize: 16384 bytes/workgroup (compile time only)
; SGPRBlocks: 12
; VGPRBlocks: 15
; NumSGPRsForWavesPerEU: 102
; NumVGPRsForWavesPerEU: 63
; Occupancy: 4
; WaveLimiterHint : 1
; COMPUTE_PGM_RSRC2:SCRATCH_EN: 0
; COMPUTE_PGM_RSRC2:USER_SGPR: 6
; COMPUTE_PGM_RSRC2:TRAP_HANDLER: 0
; COMPUTE_PGM_RSRC2:TGID_X_EN: 1
; COMPUTE_PGM_RSRC2:TGID_Y_EN: 0
; COMPUTE_PGM_RSRC2:TGID_Z_EN: 0
; COMPUTE_PGM_RSRC2:TIDIG_COMP_CNT: 0
	.section	.text._ZN7rocprim6detail25device_scan_by_key_kernelILNS0_25lookback_scan_determinismE0ELb1ENS0_26wrapped_scan_by_key_configINS_14default_configEiiEEPiN6hipcub22TransformInputIteratorIiNS7_6CastOpIiEES6_lEEPdiNS7_8EqualityENS7_3SumENS0_19lookback_scan_stateINS_5tupleIJibEEELb1ELb1EEEiEEvT2_T3_T4_T5_T6_T7_T8_mmmPKNSG_IJT9_bEEE,"axG",@progbits,_ZN7rocprim6detail25device_scan_by_key_kernelILNS0_25lookback_scan_determinismE0ELb1ENS0_26wrapped_scan_by_key_configINS_14default_configEiiEEPiN6hipcub22TransformInputIteratorIiNS7_6CastOpIiEES6_lEEPdiNS7_8EqualityENS7_3SumENS0_19lookback_scan_stateINS_5tupleIJibEEELb1ELb1EEEiEEvT2_T3_T4_T5_T6_T7_T8_mmmPKNSG_IJT9_bEEE,comdat
	.protected	_ZN7rocprim6detail25device_scan_by_key_kernelILNS0_25lookback_scan_determinismE0ELb1ENS0_26wrapped_scan_by_key_configINS_14default_configEiiEEPiN6hipcub22TransformInputIteratorIiNS7_6CastOpIiEES6_lEEPdiNS7_8EqualityENS7_3SumENS0_19lookback_scan_stateINS_5tupleIJibEEELb1ELb1EEEiEEvT2_T3_T4_T5_T6_T7_T8_mmmPKNSG_IJT9_bEEE ; -- Begin function _ZN7rocprim6detail25device_scan_by_key_kernelILNS0_25lookback_scan_determinismE0ELb1ENS0_26wrapped_scan_by_key_configINS_14default_configEiiEEPiN6hipcub22TransformInputIteratorIiNS7_6CastOpIiEES6_lEEPdiNS7_8EqualityENS7_3SumENS0_19lookback_scan_stateINS_5tupleIJibEEELb1ELb1EEEiEEvT2_T3_T4_T5_T6_T7_T8_mmmPKNSG_IJT9_bEEE
	.globl	_ZN7rocprim6detail25device_scan_by_key_kernelILNS0_25lookback_scan_determinismE0ELb1ENS0_26wrapped_scan_by_key_configINS_14default_configEiiEEPiN6hipcub22TransformInputIteratorIiNS7_6CastOpIiEES6_lEEPdiNS7_8EqualityENS7_3SumENS0_19lookback_scan_stateINS_5tupleIJibEEELb1ELb1EEEiEEvT2_T3_T4_T5_T6_T7_T8_mmmPKNSG_IJT9_bEEE
	.p2align	8
	.type	_ZN7rocprim6detail25device_scan_by_key_kernelILNS0_25lookback_scan_determinismE0ELb1ENS0_26wrapped_scan_by_key_configINS_14default_configEiiEEPiN6hipcub22TransformInputIteratorIiNS7_6CastOpIiEES6_lEEPdiNS7_8EqualityENS7_3SumENS0_19lookback_scan_stateINS_5tupleIJibEEELb1ELb1EEEiEEvT2_T3_T4_T5_T6_T7_T8_mmmPKNSG_IJT9_bEEE,@function
_ZN7rocprim6detail25device_scan_by_key_kernelILNS0_25lookback_scan_determinismE0ELb1ENS0_26wrapped_scan_by_key_configINS_14default_configEiiEEPiN6hipcub22TransformInputIteratorIiNS7_6CastOpIiEES6_lEEPdiNS7_8EqualityENS7_3SumENS0_19lookback_scan_stateINS_5tupleIJibEEELb1ELb1EEEiEEvT2_T3_T4_T5_T6_T7_T8_mmmPKNSG_IJT9_bEEE: ; @_ZN7rocprim6detail25device_scan_by_key_kernelILNS0_25lookback_scan_determinismE0ELb1ENS0_26wrapped_scan_by_key_configINS_14default_configEiiEEPiN6hipcub22TransformInputIteratorIiNS7_6CastOpIiEES6_lEEPdiNS7_8EqualityENS7_3SumENS0_19lookback_scan_stateINS_5tupleIJibEEELb1ELb1EEEiEEvT2_T3_T4_T5_T6_T7_T8_mmmPKNSG_IJT9_bEEE
; %bb.0:
	s_endpgm
	.section	.rodata,"a",@progbits
	.p2align	6, 0x0
	.amdhsa_kernel _ZN7rocprim6detail25device_scan_by_key_kernelILNS0_25lookback_scan_determinismE0ELb1ENS0_26wrapped_scan_by_key_configINS_14default_configEiiEEPiN6hipcub22TransformInputIteratorIiNS7_6CastOpIiEES6_lEEPdiNS7_8EqualityENS7_3SumENS0_19lookback_scan_stateINS_5tupleIJibEEELb1ELb1EEEiEEvT2_T3_T4_T5_T6_T7_T8_mmmPKNSG_IJT9_bEEE
		.amdhsa_group_segment_fixed_size 0
		.amdhsa_private_segment_fixed_size 0
		.amdhsa_kernarg_size 80
		.amdhsa_user_sgpr_count 6
		.amdhsa_user_sgpr_private_segment_buffer 1
		.amdhsa_user_sgpr_dispatch_ptr 0
		.amdhsa_user_sgpr_queue_ptr 0
		.amdhsa_user_sgpr_kernarg_segment_ptr 1
		.amdhsa_user_sgpr_dispatch_id 0
		.amdhsa_user_sgpr_flat_scratch_init 0
		.amdhsa_user_sgpr_private_segment_size 0
		.amdhsa_uses_dynamic_stack 0
		.amdhsa_system_sgpr_private_segment_wavefront_offset 0
		.amdhsa_system_sgpr_workgroup_id_x 1
		.amdhsa_system_sgpr_workgroup_id_y 0
		.amdhsa_system_sgpr_workgroup_id_z 0
		.amdhsa_system_sgpr_workgroup_info 0
		.amdhsa_system_vgpr_workitem_id 0
		.amdhsa_next_free_vgpr 1
		.amdhsa_next_free_sgpr 0
		.amdhsa_reserve_vcc 0
		.amdhsa_reserve_flat_scratch 0
		.amdhsa_float_round_mode_32 0
		.amdhsa_float_round_mode_16_64 0
		.amdhsa_float_denorm_mode_32 3
		.amdhsa_float_denorm_mode_16_64 3
		.amdhsa_dx10_clamp 1
		.amdhsa_ieee_mode 1
		.amdhsa_fp16_overflow 0
		.amdhsa_exception_fp_ieee_invalid_op 0
		.amdhsa_exception_fp_denorm_src 0
		.amdhsa_exception_fp_ieee_div_zero 0
		.amdhsa_exception_fp_ieee_overflow 0
		.amdhsa_exception_fp_ieee_underflow 0
		.amdhsa_exception_fp_ieee_inexact 0
		.amdhsa_exception_int_div_zero 0
	.end_amdhsa_kernel
	.section	.text._ZN7rocprim6detail25device_scan_by_key_kernelILNS0_25lookback_scan_determinismE0ELb1ENS0_26wrapped_scan_by_key_configINS_14default_configEiiEEPiN6hipcub22TransformInputIteratorIiNS7_6CastOpIiEES6_lEEPdiNS7_8EqualityENS7_3SumENS0_19lookback_scan_stateINS_5tupleIJibEEELb1ELb1EEEiEEvT2_T3_T4_T5_T6_T7_T8_mmmPKNSG_IJT9_bEEE,"axG",@progbits,_ZN7rocprim6detail25device_scan_by_key_kernelILNS0_25lookback_scan_determinismE0ELb1ENS0_26wrapped_scan_by_key_configINS_14default_configEiiEEPiN6hipcub22TransformInputIteratorIiNS7_6CastOpIiEES6_lEEPdiNS7_8EqualityENS7_3SumENS0_19lookback_scan_stateINS_5tupleIJibEEELb1ELb1EEEiEEvT2_T3_T4_T5_T6_T7_T8_mmmPKNSG_IJT9_bEEE,comdat
.Lfunc_end104:
	.size	_ZN7rocprim6detail25device_scan_by_key_kernelILNS0_25lookback_scan_determinismE0ELb1ENS0_26wrapped_scan_by_key_configINS_14default_configEiiEEPiN6hipcub22TransformInputIteratorIiNS7_6CastOpIiEES6_lEEPdiNS7_8EqualityENS7_3SumENS0_19lookback_scan_stateINS_5tupleIJibEEELb1ELb1EEEiEEvT2_T3_T4_T5_T6_T7_T8_mmmPKNSG_IJT9_bEEE, .Lfunc_end104-_ZN7rocprim6detail25device_scan_by_key_kernelILNS0_25lookback_scan_determinismE0ELb1ENS0_26wrapped_scan_by_key_configINS_14default_configEiiEEPiN6hipcub22TransformInputIteratorIiNS7_6CastOpIiEES6_lEEPdiNS7_8EqualityENS7_3SumENS0_19lookback_scan_stateINS_5tupleIJibEEELb1ELb1EEEiEEvT2_T3_T4_T5_T6_T7_T8_mmmPKNSG_IJT9_bEEE
                                        ; -- End function
	.set _ZN7rocprim6detail25device_scan_by_key_kernelILNS0_25lookback_scan_determinismE0ELb1ENS0_26wrapped_scan_by_key_configINS_14default_configEiiEEPiN6hipcub22TransformInputIteratorIiNS7_6CastOpIiEES6_lEEPdiNS7_8EqualityENS7_3SumENS0_19lookback_scan_stateINS_5tupleIJibEEELb1ELb1EEEiEEvT2_T3_T4_T5_T6_T7_T8_mmmPKNSG_IJT9_bEEE.num_vgpr, 0
	.set _ZN7rocprim6detail25device_scan_by_key_kernelILNS0_25lookback_scan_determinismE0ELb1ENS0_26wrapped_scan_by_key_configINS_14default_configEiiEEPiN6hipcub22TransformInputIteratorIiNS7_6CastOpIiEES6_lEEPdiNS7_8EqualityENS7_3SumENS0_19lookback_scan_stateINS_5tupleIJibEEELb1ELb1EEEiEEvT2_T3_T4_T5_T6_T7_T8_mmmPKNSG_IJT9_bEEE.num_agpr, 0
	.set _ZN7rocprim6detail25device_scan_by_key_kernelILNS0_25lookback_scan_determinismE0ELb1ENS0_26wrapped_scan_by_key_configINS_14default_configEiiEEPiN6hipcub22TransformInputIteratorIiNS7_6CastOpIiEES6_lEEPdiNS7_8EqualityENS7_3SumENS0_19lookback_scan_stateINS_5tupleIJibEEELb1ELb1EEEiEEvT2_T3_T4_T5_T6_T7_T8_mmmPKNSG_IJT9_bEEE.numbered_sgpr, 0
	.set _ZN7rocprim6detail25device_scan_by_key_kernelILNS0_25lookback_scan_determinismE0ELb1ENS0_26wrapped_scan_by_key_configINS_14default_configEiiEEPiN6hipcub22TransformInputIteratorIiNS7_6CastOpIiEES6_lEEPdiNS7_8EqualityENS7_3SumENS0_19lookback_scan_stateINS_5tupleIJibEEELb1ELb1EEEiEEvT2_T3_T4_T5_T6_T7_T8_mmmPKNSG_IJT9_bEEE.num_named_barrier, 0
	.set _ZN7rocprim6detail25device_scan_by_key_kernelILNS0_25lookback_scan_determinismE0ELb1ENS0_26wrapped_scan_by_key_configINS_14default_configEiiEEPiN6hipcub22TransformInputIteratorIiNS7_6CastOpIiEES6_lEEPdiNS7_8EqualityENS7_3SumENS0_19lookback_scan_stateINS_5tupleIJibEEELb1ELb1EEEiEEvT2_T3_T4_T5_T6_T7_T8_mmmPKNSG_IJT9_bEEE.private_seg_size, 0
	.set _ZN7rocprim6detail25device_scan_by_key_kernelILNS0_25lookback_scan_determinismE0ELb1ENS0_26wrapped_scan_by_key_configINS_14default_configEiiEEPiN6hipcub22TransformInputIteratorIiNS7_6CastOpIiEES6_lEEPdiNS7_8EqualityENS7_3SumENS0_19lookback_scan_stateINS_5tupleIJibEEELb1ELb1EEEiEEvT2_T3_T4_T5_T6_T7_T8_mmmPKNSG_IJT9_bEEE.uses_vcc, 0
	.set _ZN7rocprim6detail25device_scan_by_key_kernelILNS0_25lookback_scan_determinismE0ELb1ENS0_26wrapped_scan_by_key_configINS_14default_configEiiEEPiN6hipcub22TransformInputIteratorIiNS7_6CastOpIiEES6_lEEPdiNS7_8EqualityENS7_3SumENS0_19lookback_scan_stateINS_5tupleIJibEEELb1ELb1EEEiEEvT2_T3_T4_T5_T6_T7_T8_mmmPKNSG_IJT9_bEEE.uses_flat_scratch, 0
	.set _ZN7rocprim6detail25device_scan_by_key_kernelILNS0_25lookback_scan_determinismE0ELb1ENS0_26wrapped_scan_by_key_configINS_14default_configEiiEEPiN6hipcub22TransformInputIteratorIiNS7_6CastOpIiEES6_lEEPdiNS7_8EqualityENS7_3SumENS0_19lookback_scan_stateINS_5tupleIJibEEELb1ELb1EEEiEEvT2_T3_T4_T5_T6_T7_T8_mmmPKNSG_IJT9_bEEE.has_dyn_sized_stack, 0
	.set _ZN7rocprim6detail25device_scan_by_key_kernelILNS0_25lookback_scan_determinismE0ELb1ENS0_26wrapped_scan_by_key_configINS_14default_configEiiEEPiN6hipcub22TransformInputIteratorIiNS7_6CastOpIiEES6_lEEPdiNS7_8EqualityENS7_3SumENS0_19lookback_scan_stateINS_5tupleIJibEEELb1ELb1EEEiEEvT2_T3_T4_T5_T6_T7_T8_mmmPKNSG_IJT9_bEEE.has_recursion, 0
	.set _ZN7rocprim6detail25device_scan_by_key_kernelILNS0_25lookback_scan_determinismE0ELb1ENS0_26wrapped_scan_by_key_configINS_14default_configEiiEEPiN6hipcub22TransformInputIteratorIiNS7_6CastOpIiEES6_lEEPdiNS7_8EqualityENS7_3SumENS0_19lookback_scan_stateINS_5tupleIJibEEELb1ELb1EEEiEEvT2_T3_T4_T5_T6_T7_T8_mmmPKNSG_IJT9_bEEE.has_indirect_call, 0
	.section	.AMDGPU.csdata,"",@progbits
; Kernel info:
; codeLenInByte = 4
; TotalNumSgprs: 4
; NumVgprs: 0
; ScratchSize: 0
; MemoryBound: 0
; FloatMode: 240
; IeeeMode: 1
; LDSByteSize: 0 bytes/workgroup (compile time only)
; SGPRBlocks: 0
; VGPRBlocks: 0
; NumSGPRsForWavesPerEU: 4
; NumVGPRsForWavesPerEU: 1
; Occupancy: 10
; WaveLimiterHint : 0
; COMPUTE_PGM_RSRC2:SCRATCH_EN: 0
; COMPUTE_PGM_RSRC2:USER_SGPR: 6
; COMPUTE_PGM_RSRC2:TRAP_HANDLER: 0
; COMPUTE_PGM_RSRC2:TGID_X_EN: 1
; COMPUTE_PGM_RSRC2:TGID_Y_EN: 0
; COMPUTE_PGM_RSRC2:TGID_Z_EN: 0
; COMPUTE_PGM_RSRC2:TIDIG_COMP_CNT: 0
	.section	.text._ZN7rocprim6detail25device_scan_by_key_kernelILNS0_25lookback_scan_determinismE0ELb1ENS0_26wrapped_scan_by_key_configINS_14default_configEiiEEPiN6hipcub22TransformInputIteratorIiNS7_6CastOpIiEES6_lEEPdiNS7_8EqualityENS7_3SumENS0_19lookback_scan_stateINS_5tupleIJibEEELb0ELb1EEEiEEvT2_T3_T4_T5_T6_T7_T8_mmmPKNSG_IJT9_bEEE,"axG",@progbits,_ZN7rocprim6detail25device_scan_by_key_kernelILNS0_25lookback_scan_determinismE0ELb1ENS0_26wrapped_scan_by_key_configINS_14default_configEiiEEPiN6hipcub22TransformInputIteratorIiNS7_6CastOpIiEES6_lEEPdiNS7_8EqualityENS7_3SumENS0_19lookback_scan_stateINS_5tupleIJibEEELb0ELb1EEEiEEvT2_T3_T4_T5_T6_T7_T8_mmmPKNSG_IJT9_bEEE,comdat
	.protected	_ZN7rocprim6detail25device_scan_by_key_kernelILNS0_25lookback_scan_determinismE0ELb1ENS0_26wrapped_scan_by_key_configINS_14default_configEiiEEPiN6hipcub22TransformInputIteratorIiNS7_6CastOpIiEES6_lEEPdiNS7_8EqualityENS7_3SumENS0_19lookback_scan_stateINS_5tupleIJibEEELb0ELb1EEEiEEvT2_T3_T4_T5_T6_T7_T8_mmmPKNSG_IJT9_bEEE ; -- Begin function _ZN7rocprim6detail25device_scan_by_key_kernelILNS0_25lookback_scan_determinismE0ELb1ENS0_26wrapped_scan_by_key_configINS_14default_configEiiEEPiN6hipcub22TransformInputIteratorIiNS7_6CastOpIiEES6_lEEPdiNS7_8EqualityENS7_3SumENS0_19lookback_scan_stateINS_5tupleIJibEEELb0ELb1EEEiEEvT2_T3_T4_T5_T6_T7_T8_mmmPKNSG_IJT9_bEEE
	.globl	_ZN7rocprim6detail25device_scan_by_key_kernelILNS0_25lookback_scan_determinismE0ELb1ENS0_26wrapped_scan_by_key_configINS_14default_configEiiEEPiN6hipcub22TransformInputIteratorIiNS7_6CastOpIiEES6_lEEPdiNS7_8EqualityENS7_3SumENS0_19lookback_scan_stateINS_5tupleIJibEEELb0ELb1EEEiEEvT2_T3_T4_T5_T6_T7_T8_mmmPKNSG_IJT9_bEEE
	.p2align	8
	.type	_ZN7rocprim6detail25device_scan_by_key_kernelILNS0_25lookback_scan_determinismE0ELb1ENS0_26wrapped_scan_by_key_configINS_14default_configEiiEEPiN6hipcub22TransformInputIteratorIiNS7_6CastOpIiEES6_lEEPdiNS7_8EqualityENS7_3SumENS0_19lookback_scan_stateINS_5tupleIJibEEELb0ELb1EEEiEEvT2_T3_T4_T5_T6_T7_T8_mmmPKNSG_IJT9_bEEE,@function
_ZN7rocprim6detail25device_scan_by_key_kernelILNS0_25lookback_scan_determinismE0ELb1ENS0_26wrapped_scan_by_key_configINS_14default_configEiiEEPiN6hipcub22TransformInputIteratorIiNS7_6CastOpIiEES6_lEEPdiNS7_8EqualityENS7_3SumENS0_19lookback_scan_stateINS_5tupleIJibEEELb0ELb1EEEiEEvT2_T3_T4_T5_T6_T7_T8_mmmPKNSG_IJT9_bEEE: ; @_ZN7rocprim6detail25device_scan_by_key_kernelILNS0_25lookback_scan_determinismE0ELb1ENS0_26wrapped_scan_by_key_configINS_14default_configEiiEEPiN6hipcub22TransformInputIteratorIiNS7_6CastOpIiEES6_lEEPdiNS7_8EqualityENS7_3SumENS0_19lookback_scan_stateINS_5tupleIJibEEELb0ELb1EEEiEEvT2_T3_T4_T5_T6_T7_T8_mmmPKNSG_IJT9_bEEE
; %bb.0:
	s_load_dwordx4 s[0:3], s[4:5], 0x0
	s_load_dword s56, s[4:5], 0x20
	s_load_dwordx8 s[44:51], s[4:5], 0x28
	s_load_dwordx2 s[54:55], s[4:5], 0x48
	s_mul_i32 s52, s6, 0xf00
	s_mov_b32 s53, 0
	s_lshl_b64 s[8:9], s[52:53], 2
	s_waitcnt lgkmcnt(0)
	s_add_u32 s40, s0, s8
	s_addc_u32 s41, s1, s9
	s_add_u32 s38, s2, s8
	s_addc_u32 s39, s3, s9
	;; [unrolled: 2-line block ×3, first 2 shown]
	s_add_u32 s8, s50, -1
	s_addc_u32 s9, s51, -1
	v_mov_b32_e32 v1, s8
	v_mov_b32_e32 v2, s9
	v_cmp_ge_u64_e64 s[0:1], s[0:1], v[1:2]
	s_mov_b64 s[2:3], -1
	s_and_b64 vcc, exec, s[0:1]
	s_mul_i32 s33, s8, 0xfffff100
	v_lshlrev_b32_e32 v70, 2, v0
	s_cbranch_vccz .LBB105_47
; %bb.1:
	s_load_dword s42, s[40:41], 0x0
	s_add_i32 s7, s33, s46
	v_mov_b32_e32 v2, s41
	v_add_co_u32_e32 v1, vcc, s40, v70
	v_addc_co_u32_e32 v2, vcc, 0, v2, vcc
	v_cmp_gt_u32_e64 s[2:3], s7, v0
	s_waitcnt lgkmcnt(0)
	v_mov_b32_e32 v3, s42
	s_and_saveexec_b64 s[8:9], s[2:3]
	s_cbranch_execz .LBB105_3
; %bb.2:
	global_load_dword v3, v[1:2], off
.LBB105_3:
	s_or_b64 exec, exec, s[8:9]
	v_or_b32_e32 v4, 0x100, v0
	v_cmp_gt_u32_e64 s[36:37], s7, v4
	v_mov_b32_e32 v4, s42
	s_and_saveexec_b64 s[8:9], s[36:37]
	s_cbranch_execz .LBB105_5
; %bb.4:
	global_load_dword v4, v[1:2], off offset:1024
.LBB105_5:
	s_or_b64 exec, exec, s[8:9]
	v_or_b32_e32 v5, 0x200, v0
	v_cmp_gt_u32_e64 s[8:9], s7, v5
	v_mov_b32_e32 v5, s42
	s_and_saveexec_b64 s[10:11], s[8:9]
	s_cbranch_execz .LBB105_7
; %bb.6:
	global_load_dword v5, v[1:2], off offset:2048
.LBB105_7:
	;; [unrolled: 9-line block ×3, first 2 shown]
	s_or_b64 exec, exec, s[12:13]
	v_or_b32_e32 v7, 0x400, v0
	v_cmp_gt_u32_e64 s[12:13], s7, v7
	v_mov_b32_e32 v7, s42
	s_and_saveexec_b64 s[14:15], s[12:13]
	s_cbranch_execz .LBB105_11
; %bb.10:
	v_add_co_u32_e32 v7, vcc, 0x1000, v1
	v_addc_co_u32_e32 v8, vcc, 0, v2, vcc
	global_load_dword v7, v[7:8], off
.LBB105_11:
	s_or_b64 exec, exec, s[14:15]
	v_or_b32_e32 v8, 0x500, v0
	v_cmp_gt_u32_e64 s[14:15], s7, v8
	v_mov_b32_e32 v8, s42
	s_and_saveexec_b64 s[16:17], s[14:15]
	s_cbranch_execz .LBB105_13
; %bb.12:
	v_add_co_u32_e32 v8, vcc, 0x1000, v1
	v_addc_co_u32_e32 v9, vcc, 0, v2, vcc
	global_load_dword v8, v[8:9], off offset:1024
.LBB105_13:
	s_or_b64 exec, exec, s[16:17]
	v_or_b32_e32 v9, 0x600, v0
	v_cmp_gt_u32_e64 s[16:17], s7, v9
	v_mov_b32_e32 v9, s42
	s_and_saveexec_b64 s[18:19], s[16:17]
	s_cbranch_execz .LBB105_15
; %bb.14:
	v_add_co_u32_e32 v9, vcc, 0x1000, v1
	v_addc_co_u32_e32 v10, vcc, 0, v2, vcc
	global_load_dword v9, v[9:10], off offset:2048
.LBB105_15:
	;; [unrolled: 11-line block ×3, first 2 shown]
	s_or_b64 exec, exec, s[20:21]
	v_or_b32_e32 v11, 0x800, v0
	v_cmp_gt_u32_e64 s[20:21], s7, v11
	v_mov_b32_e32 v11, s42
	s_and_saveexec_b64 s[22:23], s[20:21]
	s_cbranch_execz .LBB105_19
; %bb.18:
	v_add_co_u32_e32 v11, vcc, 0x2000, v1
	v_addc_co_u32_e32 v12, vcc, 0, v2, vcc
	global_load_dword v11, v[11:12], off
.LBB105_19:
	s_or_b64 exec, exec, s[22:23]
	v_or_b32_e32 v12, 0x900, v0
	v_cmp_gt_u32_e64 s[22:23], s7, v12
	v_mov_b32_e32 v12, s42
	s_and_saveexec_b64 s[24:25], s[22:23]
	s_cbranch_execz .LBB105_21
; %bb.20:
	v_add_co_u32_e32 v12, vcc, 0x2000, v1
	v_addc_co_u32_e32 v13, vcc, 0, v2, vcc
	global_load_dword v12, v[12:13], off offset:1024
.LBB105_21:
	s_or_b64 exec, exec, s[24:25]
	v_or_b32_e32 v13, 0xa00, v0
	v_cmp_gt_u32_e64 s[24:25], s7, v13
	v_mov_b32_e32 v13, s42
	s_and_saveexec_b64 s[26:27], s[24:25]
	s_cbranch_execz .LBB105_23
; %bb.22:
	v_add_co_u32_e32 v13, vcc, 0x2000, v1
	v_addc_co_u32_e32 v14, vcc, 0, v2, vcc
	global_load_dword v13, v[13:14], off offset:2048
.LBB105_23:
	;; [unrolled: 11-line block ×3, first 2 shown]
	s_or_b64 exec, exec, s[28:29]
	v_or_b32_e32 v15, 0xc00, v0
	v_cmp_gt_u32_e64 s[28:29], s7, v15
	v_mov_b32_e32 v15, s42
	s_and_saveexec_b64 s[30:31], s[28:29]
	s_cbranch_execz .LBB105_27
; %bb.26:
	v_add_co_u32_e32 v15, vcc, 0x3000, v1
	v_addc_co_u32_e32 v16, vcc, 0, v2, vcc
	global_load_dword v15, v[15:16], off
.LBB105_27:
	s_or_b64 exec, exec, s[30:31]
	v_or_b32_e32 v16, 0xd00, v0
	v_cmp_gt_u32_e64 s[30:31], s7, v16
	v_mov_b32_e32 v16, s42
	s_and_saveexec_b64 s[34:35], s[30:31]
	s_cbranch_execz .LBB105_29
; %bb.28:
	v_add_co_u32_e32 v16, vcc, 0x3000, v1
	v_addc_co_u32_e32 v17, vcc, 0, v2, vcc
	global_load_dword v16, v[16:17], off offset:1024
.LBB105_29:
	s_or_b64 exec, exec, s[34:35]
	v_or_b32_e32 v17, 0xe00, v0
	v_cmp_gt_u32_e64 s[34:35], s7, v17
	v_mov_b32_e32 v17, s42
	s_and_saveexec_b64 s[42:43], s[34:35]
	s_cbranch_execz .LBB105_31
; %bb.30:
	v_add_co_u32_e32 v1, vcc, 0x3000, v1
	v_addc_co_u32_e32 v2, vcc, 0, v2, vcc
	global_load_dword v17, v[1:2], off offset:2048
.LBB105_31:
	s_or_b64 exec, exec, s[42:43]
	v_mad_u32_u24 v72, v0, 56, v70
	s_waitcnt vmcnt(0)
	ds_write2st64_b32 v70, v3, v4 offset1:4
	ds_write2st64_b32 v70, v5, v6 offset0:8 offset1:12
	ds_write2st64_b32 v70, v7, v8 offset0:16 offset1:20
	;; [unrolled: 1-line block ×6, first 2 shown]
	ds_write_b32 v70, v17 offset:14336
	s_waitcnt lgkmcnt(0)
	s_barrier
	ds_read_b32 v74, v72
	ds_read2_b32 v[68:69], v72 offset0:1 offset1:2
	ds_read2_b32 v[66:67], v72 offset0:3 offset1:4
	;; [unrolled: 1-line block ×7, first 2 shown]
	s_load_dword s42, s[40:41], 0x0
	s_movk_i32 s43, 0xffc8
	v_mad_i32_i24 v1, v0, s43, v72
	s_movk_i32 s43, 0xff
	v_cmp_ne_u32_e32 vcc, s43, v0
	s_waitcnt lgkmcnt(0)
	v_mov_b32_e32 v71, s42
	ds_write_b32 v1, v74 offset:16384
	s_waitcnt lgkmcnt(0)
	s_barrier
	s_and_saveexec_b64 s[42:43], vcc
; %bb.32:
	v_mul_i32_i24_e32 v1, 0xffffffc8, v0
	v_add_u32_e32 v1, v72, v1
	ds_read_b32 v71, v1 offset:16388
; %bb.33:
	s_or_b64 exec, exec, s[42:43]
	v_mov_b32_e32 v2, s39
	v_add_co_u32_e32 v1, vcc, s38, v70
	v_addc_co_u32_e32 v2, vcc, 0, v2, vcc
	s_waitcnt lgkmcnt(0)
	s_barrier
                                        ; implicit-def: $vgpr3
	s_and_saveexec_b64 s[42:43], s[2:3]
	s_cbranch_execz .LBB105_48
; %bb.34:
	global_load_dword v3, v[1:2], off
	s_or_b64 exec, exec, s[42:43]
                                        ; implicit-def: $vgpr4
	s_and_saveexec_b64 s[2:3], s[36:37]
	s_cbranch_execnz .LBB105_49
.LBB105_35:
	s_or_b64 exec, exec, s[2:3]
                                        ; implicit-def: $vgpr5
	s_and_saveexec_b64 s[2:3], s[8:9]
	s_cbranch_execz .LBB105_50
.LBB105_36:
	global_load_dword v5, v[1:2], off offset:2048
	s_or_b64 exec, exec, s[2:3]
                                        ; implicit-def: $vgpr6
	s_and_saveexec_b64 s[2:3], s[10:11]
	s_cbranch_execnz .LBB105_51
.LBB105_37:
	s_or_b64 exec, exec, s[2:3]
                                        ; implicit-def: $vgpr7
	s_and_saveexec_b64 s[2:3], s[12:13]
	s_cbranch_execz .LBB105_52
.LBB105_38:
	v_add_co_u32_e32 v7, vcc, 0x1000, v1
	v_addc_co_u32_e32 v8, vcc, 0, v2, vcc
	global_load_dword v7, v[7:8], off
	s_or_b64 exec, exec, s[2:3]
                                        ; implicit-def: $vgpr8
	s_and_saveexec_b64 s[2:3], s[14:15]
	s_cbranch_execnz .LBB105_53
.LBB105_39:
	s_or_b64 exec, exec, s[2:3]
                                        ; implicit-def: $vgpr9
	s_and_saveexec_b64 s[2:3], s[16:17]
	s_cbranch_execz .LBB105_54
.LBB105_40:
	v_add_co_u32_e32 v9, vcc, 0x1000, v1
	v_addc_co_u32_e32 v10, vcc, 0, v2, vcc
	global_load_dword v9, v[9:10], off offset:2048
	s_or_b64 exec, exec, s[2:3]
                                        ; implicit-def: $vgpr10
	s_and_saveexec_b64 s[2:3], s[18:19]
	s_cbranch_execnz .LBB105_55
.LBB105_41:
	s_or_b64 exec, exec, s[2:3]
                                        ; implicit-def: $vgpr11
	s_and_saveexec_b64 s[2:3], s[20:21]
	s_cbranch_execz .LBB105_56
.LBB105_42:
	v_add_co_u32_e32 v11, vcc, 0x2000, v1
	v_addc_co_u32_e32 v12, vcc, 0, v2, vcc
	global_load_dword v11, v[11:12], off
	s_or_b64 exec, exec, s[2:3]
                                        ; implicit-def: $vgpr12
	s_and_saveexec_b64 s[2:3], s[22:23]
	s_cbranch_execnz .LBB105_57
.LBB105_43:
	s_or_b64 exec, exec, s[2:3]
                                        ; implicit-def: $vgpr13
	s_and_saveexec_b64 s[2:3], s[24:25]
	s_cbranch_execz .LBB105_58
.LBB105_44:
	v_add_co_u32_e32 v13, vcc, 0x2000, v1
	v_addc_co_u32_e32 v14, vcc, 0, v2, vcc
	global_load_dword v13, v[13:14], off offset:2048
	s_or_b64 exec, exec, s[2:3]
                                        ; implicit-def: $vgpr14
	s_and_saveexec_b64 s[2:3], s[26:27]
	s_cbranch_execnz .LBB105_59
.LBB105_45:
	s_or_b64 exec, exec, s[2:3]
                                        ; implicit-def: $vgpr15
	s_and_saveexec_b64 s[2:3], s[28:29]
	s_cbranch_execz .LBB105_60
.LBB105_46:
	v_add_co_u32_e32 v15, vcc, 0x3000, v1
	v_addc_co_u32_e32 v16, vcc, 0, v2, vcc
	global_load_dword v15, v[15:16], off
	s_or_b64 exec, exec, s[2:3]
                                        ; implicit-def: $vgpr16
	s_and_saveexec_b64 s[2:3], s[30:31]
	s_cbranch_execz .LBB105_62
	s_branch .LBB105_61
.LBB105_47:
	s_mov_b64 s[10:11], 0
                                        ; implicit-def: $sgpr12_sgpr13
                                        ; implicit-def: $vgpr57
                                        ; implicit-def: $vgpr9_vgpr10
                                        ; implicit-def: $vgpr1_vgpr2
                                        ; implicit-def: $vgpr3_vgpr4
                                        ; implicit-def: $vgpr5_vgpr6
                                        ; implicit-def: $vgpr7_vgpr8
                                        ; implicit-def: $vgpr37_vgpr38
                                        ; implicit-def: $vgpr39_vgpr40
                                        ; implicit-def: $vgpr41_vgpr42
                                        ; implicit-def: $vgpr43_vgpr44
                                        ; implicit-def: $vgpr45_vgpr46
                                        ; implicit-def: $vgpr47_vgpr48
                                        ; implicit-def: $vgpr49_vgpr50
                                        ; implicit-def: $vgpr51_vgpr52
                                        ; implicit-def: $vgpr55_vgpr56
                                        ; implicit-def: $vgpr35_vgpr36
                                        ; implicit-def: $vgpr33_vgpr34
                                        ; implicit-def: $vgpr31_vgpr32
                                        ; implicit-def: $vgpr29_vgpr30
                                        ; implicit-def: $vgpr27_vgpr28
                                        ; implicit-def: $vgpr25_vgpr26
                                        ; implicit-def: $vgpr23_vgpr24
                                        ; implicit-def: $vgpr21_vgpr22
                                        ; implicit-def: $vgpr19_vgpr20
                                        ; implicit-def: $vgpr17_vgpr18
                                        ; implicit-def: $vgpr15_vgpr16
                                        ; implicit-def: $vgpr13_vgpr14
                                        ; implicit-def: $vgpr11_vgpr12
	s_and_b64 vcc, exec, s[2:3]
	s_cbranch_vccz .LBB105_100
	s_branch .LBB105_95
.LBB105_48:
	s_or_b64 exec, exec, s[42:43]
                                        ; implicit-def: $vgpr4
	s_and_saveexec_b64 s[2:3], s[36:37]
	s_cbranch_execz .LBB105_35
.LBB105_49:
	global_load_dword v4, v[1:2], off offset:1024
	s_or_b64 exec, exec, s[2:3]
                                        ; implicit-def: $vgpr5
	s_and_saveexec_b64 s[2:3], s[8:9]
	s_cbranch_execnz .LBB105_36
.LBB105_50:
	s_or_b64 exec, exec, s[2:3]
                                        ; implicit-def: $vgpr6
	s_and_saveexec_b64 s[2:3], s[10:11]
	s_cbranch_execz .LBB105_37
.LBB105_51:
	global_load_dword v6, v[1:2], off offset:3072
	s_or_b64 exec, exec, s[2:3]
                                        ; implicit-def: $vgpr7
	s_and_saveexec_b64 s[2:3], s[12:13]
	s_cbranch_execnz .LBB105_38
.LBB105_52:
	s_or_b64 exec, exec, s[2:3]
                                        ; implicit-def: $vgpr8
	s_and_saveexec_b64 s[2:3], s[14:15]
	s_cbranch_execz .LBB105_39
.LBB105_53:
	v_add_co_u32_e32 v8, vcc, 0x1000, v1
	v_addc_co_u32_e32 v9, vcc, 0, v2, vcc
	global_load_dword v8, v[8:9], off offset:1024
	s_or_b64 exec, exec, s[2:3]
                                        ; implicit-def: $vgpr9
	s_and_saveexec_b64 s[2:3], s[16:17]
	s_cbranch_execnz .LBB105_40
.LBB105_54:
	s_or_b64 exec, exec, s[2:3]
                                        ; implicit-def: $vgpr10
	s_and_saveexec_b64 s[2:3], s[18:19]
	s_cbranch_execz .LBB105_41
.LBB105_55:
	v_add_co_u32_e32 v10, vcc, 0x1000, v1
	v_addc_co_u32_e32 v11, vcc, 0, v2, vcc
	global_load_dword v10, v[10:11], off offset:3072
	s_or_b64 exec, exec, s[2:3]
                                        ; implicit-def: $vgpr11
	s_and_saveexec_b64 s[2:3], s[20:21]
	s_cbranch_execnz .LBB105_42
.LBB105_56:
	s_or_b64 exec, exec, s[2:3]
                                        ; implicit-def: $vgpr12
	s_and_saveexec_b64 s[2:3], s[22:23]
	s_cbranch_execz .LBB105_43
.LBB105_57:
	v_add_co_u32_e32 v12, vcc, 0x2000, v1
	v_addc_co_u32_e32 v13, vcc, 0, v2, vcc
	global_load_dword v12, v[12:13], off offset:1024
	s_or_b64 exec, exec, s[2:3]
                                        ; implicit-def: $vgpr13
	s_and_saveexec_b64 s[2:3], s[24:25]
	s_cbranch_execnz .LBB105_44
.LBB105_58:
	s_or_b64 exec, exec, s[2:3]
                                        ; implicit-def: $vgpr14
	s_and_saveexec_b64 s[2:3], s[26:27]
	s_cbranch_execz .LBB105_45
.LBB105_59:
	v_add_co_u32_e32 v14, vcc, 0x2000, v1
	v_addc_co_u32_e32 v15, vcc, 0, v2, vcc
	global_load_dword v14, v[14:15], off offset:3072
	s_or_b64 exec, exec, s[2:3]
                                        ; implicit-def: $vgpr15
	s_and_saveexec_b64 s[2:3], s[28:29]
	s_cbranch_execnz .LBB105_46
.LBB105_60:
	s_or_b64 exec, exec, s[2:3]
                                        ; implicit-def: $vgpr16
	s_and_saveexec_b64 s[2:3], s[30:31]
	s_cbranch_execz .LBB105_62
.LBB105_61:
	v_add_co_u32_e32 v16, vcc, 0x3000, v1
	v_addc_co_u32_e32 v17, vcc, 0, v2, vcc
	global_load_dword v16, v[16:17], off offset:1024
.LBB105_62:
	s_or_b64 exec, exec, s[2:3]
	v_mul_u32_u24_e32 v73, 15, v0
                                        ; implicit-def: $vgpr17
	s_and_saveexec_b64 s[2:3], s[34:35]
	s_cbranch_execz .LBB105_64
; %bb.63:
	v_add_co_u32_e32 v1, vcc, 0x3000, v1
	v_addc_co_u32_e32 v2, vcc, 0, v2, vcc
	global_load_dword v17, v[1:2], off offset:2048
.LBB105_64:
	s_or_b64 exec, exec, s[2:3]
	s_waitcnt vmcnt(0)
	ds_write2st64_b32 v70, v3, v4 offset1:4
	ds_write2st64_b32 v70, v5, v6 offset0:8 offset1:12
	ds_write2st64_b32 v70, v7, v8 offset0:16 offset1:20
	;; [unrolled: 1-line block ×6, first 2 shown]
	ds_write_b32 v70, v17 offset:14336
	v_mov_b32_e32 v9, 0
	v_mov_b32_e32 v1, 0
	;; [unrolled: 1-line block ×27, first 2 shown]
	v_cmp_gt_u32_e32 vcc, s7, v73
	s_mov_b64 s[2:3], 0
	v_mov_b32_e32 v10, 0
	v_mov_b32_e32 v2, 0
	;; [unrolled: 1-line block ×27, first 2 shown]
	s_mov_b64 s[10:11], 0
	s_waitcnt lgkmcnt(0)
	s_barrier
                                        ; implicit-def: $sgpr12_sgpr13
                                        ; implicit-def: $vgpr57
	s_and_saveexec_b64 s[8:9], vcc
	s_cbranch_execz .LBB105_94
; %bb.65:
	ds_read_b32 v1, v72
	v_cmp_ne_u32_e32 vcc, v74, v68
	v_mov_b32_e32 v2, s56
	v_cndmask_b32_e64 v10, 0, 1, vcc
	v_cmp_eq_u32_e32 vcc, v74, v68
	s_waitcnt lgkmcnt(0)
	v_cndmask_b32_e32 v9, v2, v1, vcc
	v_add_u32_e32 v1, 1, v73
	v_cmp_gt_u32_e32 vcc, s7, v1
	v_mov_b32_e32 v1, 0
	v_mov_b32_e32 v3, 0
	;; [unrolled: 1-line block ×50, first 2 shown]
	s_mov_b64 s[14:15], 0
                                        ; implicit-def: $sgpr12_sgpr13
                                        ; implicit-def: $vgpr57
	s_and_saveexec_b64 s[10:11], vcc
	s_cbranch_execz .LBB105_93
; %bb.66:
	ds_read2_b32 v[32:33], v72 offset0:1 offset1:2
	v_cmp_ne_u32_e32 vcc, v68, v69
	v_mov_b32_e32 v1, s56
	v_cndmask_b32_e64 v2, 0, 1, vcc
	v_cmp_eq_u32_e32 vcc, v68, v69
	v_add_u32_e32 v3, 2, v73
	s_waitcnt lgkmcnt(0)
	v_cndmask_b32_e32 v1, v1, v32, vcc
	v_cmp_gt_u32_e32 vcc, s7, v3
	v_mov_b32_e32 v3, 0
	v_mov_b32_e32 v5, 0
	v_mov_b32_e32 v7, 0
	v_mov_b32_e32 v37, 0
	v_mov_b32_e32 v39, 0
	v_mov_b32_e32 v41, 0
	v_mov_b32_e32 v43, 0
	v_mov_b32_e32 v45, 0
	v_mov_b32_e32 v47, 0
	v_mov_b32_e32 v49, 0
	v_mov_b32_e32 v51, 0
	v_mov_b32_e32 v55, 0
	v_mov_b32_e32 v31, 0
	v_mov_b32_e32 v29, 0
	v_mov_b32_e32 v27, 0
	v_mov_b32_e32 v25, 0
	v_mov_b32_e32 v23, 0
	v_mov_b32_e32 v21, 0
	v_mov_b32_e32 v19, 0
	v_mov_b32_e32 v17, 0
	v_mov_b32_e32 v15, 0
	v_mov_b32_e32 v13, 0
	v_mov_b32_e32 v11, 0
	v_mov_b32_e32 v4, 0
	v_mov_b32_e32 v6, 0
	v_mov_b32_e32 v8, 0
	v_mov_b32_e32 v38, 0
	v_mov_b32_e32 v40, 0
	v_mov_b32_e32 v42, 0
	v_mov_b32_e32 v44, 0
	v_mov_b32_e32 v46, 0
	v_mov_b32_e32 v48, 0
	v_mov_b32_e32 v50, 0
	v_mov_b32_e32 v52, 0
	v_mov_b32_e32 v56, 0
	v_mov_b32_e32 v32, 0
	v_mov_b32_e32 v30, 0
	v_mov_b32_e32 v28, 0
	v_mov_b32_e32 v26, 0
	v_mov_b32_e32 v24, 0
	v_mov_b32_e32 v22, 0
	v_mov_b32_e32 v20, 0
	v_mov_b32_e32 v18, 0
	v_mov_b32_e32 v16, 0
	v_mov_b32_e32 v14, 0
	v_mov_b32_e32 v12, 0
	s_mov_b64 s[16:17], 0
                                        ; implicit-def: $sgpr12_sgpr13
                                        ; implicit-def: $vgpr57
	s_and_saveexec_b64 s[14:15], vcc
	s_cbranch_execz .LBB105_92
; %bb.67:
	v_mov_b32_e32 v3, s56
	v_cmp_eq_u32_e32 vcc, v69, v66
	v_cndmask_b32_e32 v3, v3, v33, vcc
	v_cmp_ne_u32_e32 vcc, v69, v66
	v_add_u32_e32 v5, 3, v73
	v_cndmask_b32_e64 v4, 0, 1, vcc
	v_cmp_gt_u32_e32 vcc, s7, v5
	v_mov_b32_e32 v5, 0
	v_mov_b32_e32 v7, 0
	;; [unrolled: 1-line block ×42, first 2 shown]
	s_mov_b64 s[18:19], 0
                                        ; implicit-def: $sgpr12_sgpr13
                                        ; implicit-def: $vgpr57
	s_and_saveexec_b64 s[16:17], vcc
	s_cbranch_execz .LBB105_91
; %bb.68:
	ds_read2_b32 v[28:29], v72 offset0:3 offset1:4
	v_cmp_ne_u32_e32 vcc, v66, v67
	v_mov_b32_e32 v5, s56
	v_cndmask_b32_e64 v6, 0, 1, vcc
	v_cmp_eq_u32_e32 vcc, v66, v67
	v_add_u32_e32 v7, 4, v73
	s_waitcnt lgkmcnt(0)
	v_cndmask_b32_e32 v5, v5, v28, vcc
	v_cmp_gt_u32_e32 vcc, s7, v7
	v_mov_b32_e32 v7, 0
	v_mov_b32_e32 v37, 0
	;; [unrolled: 1-line block ×38, first 2 shown]
	s_mov_b64 s[20:21], 0
                                        ; implicit-def: $sgpr12_sgpr13
                                        ; implicit-def: $vgpr57
	s_and_saveexec_b64 s[18:19], vcc
	s_cbranch_execz .LBB105_90
; %bb.69:
	v_mov_b32_e32 v7, s56
	v_cmp_eq_u32_e32 vcc, v67, v64
	v_cndmask_b32_e32 v7, v7, v29, vcc
	v_cmp_ne_u32_e32 vcc, v67, v64
	v_add_u32_e32 v11, 5, v73
	v_cndmask_b32_e64 v8, 0, 1, vcc
	v_cmp_gt_u32_e32 vcc, s7, v11
	v_mov_b32_e32 v37, 0
	v_mov_b32_e32 v39, 0
	v_mov_b32_e32 v41, 0
	v_mov_b32_e32 v43, 0
	v_mov_b32_e32 v45, 0
	v_mov_b32_e32 v47, 0
	v_mov_b32_e32 v49, 0
	v_mov_b32_e32 v51, 0
	v_mov_b32_e32 v55, 0
	v_mov_b32_e32 v25, 0
	v_mov_b32_e32 v23, 0
	v_mov_b32_e32 v21, 0
	v_mov_b32_e32 v19, 0
	v_mov_b32_e32 v17, 0
	v_mov_b32_e32 v15, 0
	v_mov_b32_e32 v13, 0
	v_mov_b32_e32 v11, 0
	v_mov_b32_e32 v38, 0
	v_mov_b32_e32 v40, 0
	v_mov_b32_e32 v42, 0
	v_mov_b32_e32 v44, 0
	v_mov_b32_e32 v46, 0
	v_mov_b32_e32 v48, 0
	v_mov_b32_e32 v50, 0
	v_mov_b32_e32 v52, 0
	v_mov_b32_e32 v56, 0
	v_mov_b32_e32 v26, 0
	v_mov_b32_e32 v24, 0
	v_mov_b32_e32 v22, 0
	v_mov_b32_e32 v20, 0
	v_mov_b32_e32 v18, 0
	v_mov_b32_e32 v16, 0
	v_mov_b32_e32 v14, 0
	v_mov_b32_e32 v12, 0
	s_mov_b64 s[22:23], 0
                                        ; implicit-def: $sgpr12_sgpr13
                                        ; implicit-def: $vgpr57
	s_and_saveexec_b64 s[20:21], vcc
	s_cbranch_execz .LBB105_89
; %bb.70:
	ds_read2_b32 v[24:25], v72 offset0:5 offset1:6
	v_cmp_ne_u32_e32 vcc, v64, v65
	v_mov_b32_e32 v11, s56
	v_cndmask_b32_e64 v38, 0, 1, vcc
	v_cmp_eq_u32_e32 vcc, v64, v65
	s_waitcnt lgkmcnt(0)
	v_cndmask_b32_e32 v37, v11, v24, vcc
	v_add_u32_e32 v11, 6, v73
	v_cmp_gt_u32_e32 vcc, s7, v11
	v_mov_b32_e32 v39, 0
	v_mov_b32_e32 v41, 0
	;; [unrolled: 1-line block ×30, first 2 shown]
	s_mov_b64 s[24:25], 0
                                        ; implicit-def: $sgpr12_sgpr13
                                        ; implicit-def: $vgpr57
	s_and_saveexec_b64 s[22:23], vcc
	s_cbranch_execz .LBB105_88
; %bb.71:
	v_mov_b32_e32 v11, s56
	v_cmp_eq_u32_e32 vcc, v65, v62
	v_cndmask_b32_e32 v39, v11, v25, vcc
	v_cmp_ne_u32_e32 vcc, v65, v62
	v_add_u32_e32 v11, 7, v73
	v_cndmask_b32_e64 v40, 0, 1, vcc
	v_cmp_gt_u32_e32 vcc, s7, v11
	v_mov_b32_e32 v41, 0
	v_mov_b32_e32 v43, 0
	;; [unrolled: 1-line block ×26, first 2 shown]
	s_mov_b64 s[26:27], 0
                                        ; implicit-def: $sgpr12_sgpr13
                                        ; implicit-def: $vgpr57
	s_and_saveexec_b64 s[24:25], vcc
	s_cbranch_execz .LBB105_87
; %bb.72:
	ds_read2_b32 v[20:21], v72 offset0:7 offset1:8
	v_cmp_ne_u32_e32 vcc, v62, v63
	v_mov_b32_e32 v11, s56
	v_cndmask_b32_e64 v42, 0, 1, vcc
	v_cmp_eq_u32_e32 vcc, v62, v63
	s_waitcnt lgkmcnt(0)
	v_cndmask_b32_e32 v41, v11, v20, vcc
	v_add_u32_e32 v11, 8, v73
	v_cmp_gt_u32_e32 vcc, s7, v11
	v_mov_b32_e32 v43, 0
	v_mov_b32_e32 v45, 0
	;; [unrolled: 1-line block ×22, first 2 shown]
	s_mov_b64 s[28:29], 0
                                        ; implicit-def: $sgpr12_sgpr13
                                        ; implicit-def: $vgpr57
	s_and_saveexec_b64 s[26:27], vcc
	s_cbranch_execz .LBB105_86
; %bb.73:
	v_mov_b32_e32 v11, s56
	v_cmp_eq_u32_e32 vcc, v63, v60
	v_cndmask_b32_e32 v43, v11, v21, vcc
	v_cmp_ne_u32_e32 vcc, v63, v60
	v_add_u32_e32 v11, 9, v73
	v_cndmask_b32_e64 v44, 0, 1, vcc
	v_cmp_gt_u32_e32 vcc, s7, v11
	v_mov_b32_e32 v45, 0
	v_mov_b32_e32 v47, 0
	;; [unrolled: 1-line block ×18, first 2 shown]
	s_mov_b64 s[30:31], 0
                                        ; implicit-def: $sgpr12_sgpr13
                                        ; implicit-def: $vgpr57
	s_and_saveexec_b64 s[28:29], vcc
	s_cbranch_execz .LBB105_85
; %bb.74:
	ds_read2_b32 v[16:17], v72 offset0:9 offset1:10
	v_cmp_ne_u32_e32 vcc, v60, v61
	v_mov_b32_e32 v11, s56
	v_cndmask_b32_e64 v46, 0, 1, vcc
	v_cmp_eq_u32_e32 vcc, v60, v61
	s_waitcnt lgkmcnt(0)
	v_cndmask_b32_e32 v45, v11, v16, vcc
	v_add_u32_e32 v11, 10, v73
	v_cmp_gt_u32_e32 vcc, s7, v11
	v_mov_b32_e32 v47, 0
	v_mov_b32_e32 v49, 0
	;; [unrolled: 1-line block ×14, first 2 shown]
	s_mov_b64 s[34:35], 0
                                        ; implicit-def: $sgpr12_sgpr13
                                        ; implicit-def: $vgpr57
	s_and_saveexec_b64 s[30:31], vcc
	s_cbranch_execz .LBB105_84
; %bb.75:
	v_mov_b32_e32 v11, s56
	v_cmp_eq_u32_e32 vcc, v61, v58
	v_cndmask_b32_e32 v47, v11, v17, vcc
	v_cmp_ne_u32_e32 vcc, v61, v58
	v_add_u32_e32 v11, 11, v73
	v_cndmask_b32_e64 v48, 0, 1, vcc
	v_cmp_gt_u32_e32 vcc, s7, v11
	v_mov_b32_e32 v49, 0
	v_mov_b32_e32 v51, 0
	;; [unrolled: 1-line block ×10, first 2 shown]
	s_mov_b64 s[36:37], 0
                                        ; implicit-def: $sgpr12_sgpr13
                                        ; implicit-def: $vgpr57
	s_and_saveexec_b64 s[34:35], vcc
	s_cbranch_execz .LBB105_83
; %bb.76:
	ds_read2_b32 v[12:13], v72 offset0:11 offset1:12
	v_cmp_ne_u32_e32 vcc, v58, v59
	v_mov_b32_e32 v11, s56
	v_cndmask_b32_e64 v50, 0, 1, vcc
	v_cmp_eq_u32_e32 vcc, v58, v59
	s_waitcnt lgkmcnt(0)
	v_cndmask_b32_e32 v49, v11, v12, vcc
	v_add_u32_e32 v11, 12, v73
	v_cmp_gt_u32_e32 vcc, s7, v11
	v_mov_b32_e32 v51, 0
	v_mov_b32_e32 v55, 0
	;; [unrolled: 1-line block ×6, first 2 shown]
	s_mov_b64 s[42:43], 0
                                        ; implicit-def: $sgpr12_sgpr13
                                        ; implicit-def: $vgpr57
	s_and_saveexec_b64 s[36:37], vcc
	s_cbranch_execz .LBB105_82
; %bb.77:
	v_mov_b32_e32 v11, s56
	v_cmp_eq_u32_e32 vcc, v59, v53
	v_cndmask_b32_e32 v51, v11, v13, vcc
	v_cmp_ne_u32_e32 vcc, v59, v53
	v_add_u32_e32 v11, 13, v73
	v_mov_b32_e32 v55, 0
	v_cndmask_b32_e64 v52, 0, 1, vcc
	v_cmp_gt_u32_e32 vcc, s7, v11
	v_mov_b32_e32 v56, 0
	s_mov_b64 s[48:49], 0
                                        ; implicit-def: $sgpr12_sgpr13
                                        ; implicit-def: $vgpr57
	s_and_saveexec_b64 s[42:43], vcc
	s_cbranch_execz .LBB105_81
; %bb.78:
	ds_read2_b32 v[11:12], v72 offset0:13 offset1:14
	v_cmp_ne_u32_e32 vcc, v53, v54
	v_mov_b32_e32 v13, s56
	v_cndmask_b32_e64 v56, 0, 1, vcc
	v_cmp_eq_u32_e32 vcc, v53, v54
	s_waitcnt lgkmcnt(0)
	v_cndmask_b32_e32 v55, v13, v11, vcc
	v_add_u32_e32 v11, 14, v73
	v_cmp_gt_u32_e32 vcc, s7, v11
                                        ; implicit-def: $sgpr12_sgpr13
                                        ; implicit-def: $vgpr57
	s_and_saveexec_b64 s[50:51], vcc
	s_xor_b64 s[50:51], exec, s[50:51]
; %bb.79:
	v_mov_b32_e32 v11, s56
	v_cmp_ne_u32_e64 s[12:13], v54, v71
	s_mov_b64 s[48:49], exec
	v_cndmask_b32_e64 v57, v12, v11, s[12:13]
; %bb.80:
	s_or_b64 exec, exec, s[50:51]
	s_and_b64 s[48:49], s[48:49], exec
.LBB105_81:
	s_or_b64 exec, exec, s[42:43]
	v_mov_b32_e32 v11, v55
	s_and_b64 s[42:43], s[48:49], exec
	v_mov_b32_e32 v12, v56
.LBB105_82:
	s_or_b64 exec, exec, s[36:37]
	v_mov_b32_e32 v13, v51
	s_and_b64 s[36:37], s[42:43], exec
	v_mov_b32_e32 v14, v52
.LBB105_83:
	s_or_b64 exec, exec, s[34:35]
	v_mov_b32_e32 v15, v49
	s_and_b64 s[34:35], s[36:37], exec
	v_mov_b32_e32 v16, v50
.LBB105_84:
	s_or_b64 exec, exec, s[30:31]
	v_mov_b32_e32 v17, v47
	s_and_b64 s[30:31], s[34:35], exec
	v_mov_b32_e32 v18, v48
.LBB105_85:
	s_or_b64 exec, exec, s[28:29]
	v_mov_b32_e32 v19, v45
	s_and_b64 s[28:29], s[30:31], exec
	v_mov_b32_e32 v20, v46
.LBB105_86:
	s_or_b64 exec, exec, s[26:27]
	v_mov_b32_e32 v21, v43
	s_and_b64 s[26:27], s[28:29], exec
	v_mov_b32_e32 v22, v44
.LBB105_87:
	s_or_b64 exec, exec, s[24:25]
	v_mov_b32_e32 v23, v41
	s_and_b64 s[24:25], s[26:27], exec
	v_mov_b32_e32 v24, v42
.LBB105_88:
	s_or_b64 exec, exec, s[22:23]
	v_mov_b32_e32 v25, v39
	s_and_b64 s[22:23], s[24:25], exec
	v_mov_b32_e32 v26, v40
.LBB105_89:
	s_or_b64 exec, exec, s[20:21]
	v_mov_b32_e32 v27, v37
	s_and_b64 s[20:21], s[22:23], exec
	v_mov_b32_e32 v28, v38
.LBB105_90:
	s_or_b64 exec, exec, s[18:19]
	v_mov_b32_e32 v30, v8
	s_and_b64 s[18:19], s[20:21], exec
	v_mov_b32_e32 v29, v7
.LBB105_91:
	s_or_b64 exec, exec, s[16:17]
	v_mov_b32_e32 v32, v6
	s_and_b64 s[16:17], s[18:19], exec
	v_mov_b32_e32 v31, v5
.LBB105_92:
	s_or_b64 exec, exec, s[14:15]
	v_mov_b32_e32 v34, v4
	s_and_b64 s[14:15], s[16:17], exec
	v_mov_b32_e32 v33, v3
.LBB105_93:
	s_or_b64 exec, exec, s[10:11]
	v_mov_b32_e32 v36, v2
	s_and_b64 s[10:11], s[14:15], exec
	v_mov_b32_e32 v35, v1
.LBB105_94:
	s_or_b64 exec, exec, s[8:9]
	s_and_b64 vcc, exec, s[2:3]
	s_cbranch_vccz .LBB105_100
.LBB105_95:
	v_mov_b32_e32 v1, s41
	v_add_co_u32_e32 v5, vcc, s40, v70
	v_addc_co_u32_e32 v6, vcc, 0, v1, vcc
	v_add_co_u32_e32 v1, vcc, 0x1000, v5
	v_addc_co_u32_e32 v2, vcc, 0, v6, vcc
	;; [unrolled: 2-line block ×3, first 2 shown]
	global_load_dword v7, v70, s[40:41]
	global_load_dword v8, v70, s[40:41] offset:1024
	global_load_dword v9, v70, s[40:41] offset:2048
	;; [unrolled: 1-line block ×3, first 2 shown]
	global_load_dword v11, v[1:2], off
	global_load_dword v12, v[1:2], off offset:1024
	global_load_dword v13, v[1:2], off offset:2048
	;; [unrolled: 1-line block ×3, first 2 shown]
	global_load_dword v15, v[3:4], off
	global_load_dword v16, v[3:4], off offset:1024
	global_load_dword v17, v[3:4], off offset:2048
	;; [unrolled: 1-line block ×3, first 2 shown]
	v_add_co_u32_e32 v1, vcc, 0x3000, v5
	v_addc_co_u32_e32 v2, vcc, 0, v6, vcc
	global_load_dword v3, v[1:2], off
	global_load_dword v4, v[1:2], off offset:1024
	global_load_dword v5, v[1:2], off offset:2048
	v_mad_u32_u24 v1, v0, 56, v70
	s_movk_i32 s2, 0xffc8
	v_mad_i32_i24 v6, v0, s2, v1
	s_movk_i32 s3, 0xff
	s_movk_i32 s9, 0x1000
	s_movk_i32 s8, 0x2000
	s_movk_i32 s7, 0x3000
	v_cmp_ne_u32_e32 vcc, s3, v0
	s_waitcnt vmcnt(13)
	ds_write2st64_b32 v70, v7, v8 offset1:4
	s_waitcnt vmcnt(11)
	ds_write2st64_b32 v70, v9, v10 offset0:8 offset1:12
	s_waitcnt vmcnt(9)
	ds_write2st64_b32 v70, v11, v12 offset0:16 offset1:20
	;; [unrolled: 2-line block ×6, first 2 shown]
	s_waitcnt vmcnt(0)
	ds_write_b32 v70, v5 offset:14336
	s_waitcnt lgkmcnt(0)
	s_barrier
	ds_read_b32 v2, v1
	ds_read2_b32 v[3:4], v1 offset0:1 offset1:2
	ds_read2_b32 v[7:8], v1 offset0:3 offset1:4
	;; [unrolled: 1-line block ×7, first 2 shown]
	s_load_dword s2, s[40:41], 0x3c00
	s_waitcnt lgkmcnt(0)
	ds_write_b32 v6, v2 offset:16384
	s_waitcnt lgkmcnt(0)
	s_barrier
	v_mov_b32_e32 v33, s2
	s_and_saveexec_b64 s[2:3], vcc
; %bb.96:
	v_mul_i32_i24_e32 v5, 0xffffffc8, v0
	v_add_u32_e32 v5, v1, v5
	ds_read_b32 v33, v5 offset:16388
; %bb.97:
	s_or_b64 exec, exec, s[2:3]
	v_mov_b32_e32 v5, s39
	v_add_co_u32_e32 v21, vcc, s38, v70
	v_addc_co_u32_e32 v22, vcc, 0, v5, vcc
	v_add_co_u32_e32 v5, vcc, s9, v21
	v_addc_co_u32_e32 v6, vcc, 0, v22, vcc
	;; [unrolled: 2-line block ×3, first 2 shown]
	v_add_co_u32_e32 v21, vcc, s7, v21
	s_waitcnt lgkmcnt(0)
	s_barrier
	global_load_dword v23, v70, s[38:39]
	global_load_dword v24, v70, s[38:39] offset:1024
	global_load_dword v25, v70, s[38:39] offset:2048
	;; [unrolled: 1-line block ×3, first 2 shown]
	global_load_dword v27, v[9:10], off offset:1024
	global_load_dword v28, v[9:10], off offset:2048
	;; [unrolled: 1-line block ×3, first 2 shown]
	v_addc_co_u32_e32 v22, vcc, 0, v22, vcc
	global_load_dword v30, v[5:6], off offset:1024
	global_load_dword v31, v[5:6], off offset:2048
	;; [unrolled: 1-line block ×3, first 2 shown]
	global_load_dword v34, v[9:10], off offset:-4096
	global_load_dword v35, v[9:10], off
	global_load_dword v36, v[21:22], off
	global_load_dword v37, v[21:22], off offset:1024
	global_load_dword v38, v[21:22], off offset:2048
	v_cmp_eq_u32_e32 vcc, v2, v3
	v_mov_b32_e32 v9, 0
	v_mov_b32_e32 v10, 1
	;; [unrolled: 1-line block ×3, first 2 shown]
	s_waitcnt vmcnt(13)
	ds_write2st64_b32 v70, v23, v24 offset1:4
	s_waitcnt vmcnt(11)
	ds_write2st64_b32 v70, v25, v26 offset0:8 offset1:12
	s_waitcnt vmcnt(5)
	ds_write2st64_b32 v70, v31, v32 offset0:24 offset1:28
	;; [unrolled: 2-line block ×4, first 2 shown]
	ds_write2st64_b32 v70, v28, v29 offset0:40 offset1:44
	s_waitcnt vmcnt(1)
	ds_write2st64_b32 v70, v36, v37 offset0:48 offset1:52
	s_waitcnt vmcnt(0)
	ds_write_b32 v70, v38 offset:14336
	s_waitcnt lgkmcnt(0)
	s_barrier
	ds_read2_b32 v[5:6], v1 offset0:1 offset1:2
	ds_read2_b32 v[31:32], v1 offset0:3 offset1:4
	;; [unrolled: 1-line block ×7, first 2 shown]
	s_and_saveexec_b64 s[2:3], vcc
; %bb.98:
	ds_read_b32 v2, v1
	v_mov_b32_e32 v9, 0
	v_mov_b32_e32 v10, 0
; %bb.99:
	s_or_b64 exec, exec, s[2:3]
	v_mov_b32_e32 v34, s56
	v_cmp_eq_u32_e32 vcc, v3, v4
	s_waitcnt lgkmcnt(6)
	v_cndmask_b32_e32 v1, v34, v5, vcc
	v_cmp_ne_u32_e32 vcc, v3, v4
	s_waitcnt lgkmcnt(0)
	v_or_b32_e32 v9, v9, v2
	v_cndmask_b32_e64 v2, 0, 1, vcc
	v_cmp_eq_u32_e32 vcc, v4, v7
	v_cndmask_b32_e32 v3, v34, v6, vcc
	v_cmp_ne_u32_e32 vcc, v4, v7
	v_cndmask_b32_e64 v4, 0, 1, vcc
	v_cmp_eq_u32_e32 vcc, v7, v8
	v_cndmask_b32_e32 v5, v34, v31, vcc
	v_cmp_ne_u32_e32 vcc, v7, v8
	;; [unrolled: 4-line block ×12, first 2 shown]
	v_cmp_ne_u32_e64 s[12:13], v12, v33
	v_cndmask_b32_e64 v56, 0, 1, vcc
	v_cndmask_b32_e64 v57, v22, v34, s[12:13]
	v_mov_b32_e32 v36, v2
	v_mov_b32_e32 v34, v4
	;; [unrolled: 1-line block ×13, first 2 shown]
	s_mov_b64 s[10:11], -1
	v_mov_b32_e32 v35, v1
	v_mov_b32_e32 v33, v3
	;; [unrolled: 1-line block ×13, first 2 shown]
.LBB105_100:
	v_mov_b32_e32 v53, 0
	v_mov_b32_e32 v54, 0
	s_and_saveexec_b64 s[2:3], s[10:11]
	s_cbranch_execz .LBB105_102
; %bb.101:
	v_cndmask_b32_e64 v58, 0, 1, s[12:13]
	v_mov_b32_e32 v53, v57
	v_mov_b32_e32 v11, v55
	;; [unrolled: 1-line block ×28, first 2 shown]
.LBB105_102:
	s_or_b64 exec, exec, s[2:3]
	s_mov_b32 s30, 0
	s_cmp_lg_u32 s6, 0
	v_or_b32_e32 v43, v24, v22
	v_or3_b32 v42, v12, v54, v14
	v_lshrrev_b32_e32 v41, 2, v0
	v_cmp_gt_u32_e32 vcc, 64, v0
	s_barrier
	s_cbranch_scc0 .LBB105_132
; %bb.103:
	s_mov_b32 s31, 1
	v_cmp_gt_u64_e64 s[2:3], s[30:31], v[35:36]
	v_cmp_gt_u64_e64 s[40:41], s[30:31], v[33:34]
	v_cndmask_b32_e64 v1, 0, v9, s[2:3]
	v_add_u32_e32 v1, v1, v35
	v_cndmask_b32_e64 v1, 0, v1, s[40:41]
	v_cmp_gt_u64_e64 s[8:9], s[30:31], v[31:32]
	v_add_u32_e32 v1, v1, v33
	v_cndmask_b32_e64 v1, 0, v1, s[8:9]
	v_cmp_gt_u64_e64 s[10:11], s[30:31], v[29:30]
	;; [unrolled: 3-line block ×12, first 2 shown]
	v_or3_b32 v2, v43, v26, v28
	v_add_u32_e32 v1, v1, v11
	v_or3_b32 v2, v2, v30, v32
	v_cndmask_b32_e64 v1, 0, v1, s[30:31]
	v_or3_b32 v2, v2, v34, v36
	v_add_u32_e32 v44, v1, v53
	v_or3_b32 v1, v42, v16, v18
	v_or3_b32 v1, v1, v20, v2
	v_and_b32_e32 v2, 0xff, v1
	v_mov_b32_e32 v1, 0
	v_cmp_eq_u64_e64 s[30:31], 0, v[1:2]
	v_and_b32_e32 v1, 56, v41
	v_cndmask_b32_e64 v45, 1, v10, s[30:31]
	v_lshl_add_u32 v1, v0, 3, v1
	ds_write_b32 v1, v44
	ds_write_b8 v1, v45 offset:4
	s_waitcnt lgkmcnt(0)
	s_barrier
	s_and_saveexec_b64 s[48:49], vcc
	s_cbranch_execz .LBB105_115
; %bb.104:
	v_and_b32_e32 v1, 0xf8, v0
	v_lshlrev_b32_e32 v2, 5, v0
	v_add_u32_e32 v5, v1, v2
	ds_read2_b32 v[1:2], v5 offset0:2 offset1:4
	ds_read_b64 v[3:4], v5
	ds_read_u8 v40, v5 offset:12
	ds_read_u8 v8, v5 offset:20
	ds_read_b32 v6, v5 offset:24
	ds_read_u8 v37, v5 offset:28
	s_waitcnt lgkmcnt(4)
	v_and_b32_e32 v7, 1, v4
	s_waitcnt lgkmcnt(3)
	v_cmp_eq_u16_e64 s[36:37], 0, v40
	s_waitcnt lgkmcnt(2)
	v_or_b32_e32 v39, v8, v40
	v_cndmask_b32_e64 v38, 0, v3, s[36:37]
	v_cmp_eq_u16_e64 s[34:35], 0, v39
	v_add_u32_e32 v38, v38, v1
	v_cmp_eq_u16_e64 s[30:31], 0, v8
	v_cndmask_b32_e64 v39, 1, v7, s[34:35]
	s_waitcnt lgkmcnt(0)
	v_cmp_eq_u16_e64 s[34:35], 0, v37
	v_and_b32_e32 v37, 1, v37
	v_cndmask_b32_e64 v38, 0, v38, s[30:31]
	v_cmp_eq_u32_e64 s[38:39], 1, v37
	v_add_u32_e32 v38, v38, v2
	v_cndmask_b32_e64 v46, v39, 1, s[38:39]
	v_mbcnt_lo_u32_b32 v39, -1, 0
	v_cndmask_b32_e64 v38, 0, v38, s[34:35]
	v_and_b32_e32 v37, 0xffffff00, v4
	v_mbcnt_hi_u32_b32 v39, -1, v39
	v_add_u32_e32 v38, v38, v6
	v_and_b32_e32 v49, 15, v39
	v_or_b32_sdwa v47, v37, v46 dst_sel:DWORD dst_unused:UNUSED_PAD src0_sel:DWORD src1_sel:WORD_0
	v_mov_b32_dpp v48, v38 row_shr:1 row_mask:0xf bank_mask:0xf
	v_cmp_ne_u32_e64 s[42:43], 0, v49
	v_mov_b32_dpp v50, v47 row_shr:1 row_mask:0xf bank_mask:0xf
	s_and_saveexec_b64 s[50:51], s[42:43]
; %bb.105:
	v_and_b32_e32 v47, 1, v46
	v_and_b32_e32 v50, 1, v50
	v_cmp_eq_u32_e64 s[42:43], 1, v47
	v_cndmask_b32_e64 v50, v50, 1, s[42:43]
	v_cmp_eq_u16_e64 s[42:43], 0, v46
	v_cndmask_b32_e64 v46, 0, v48, s[42:43]
	v_add_u32_e32 v38, v46, v38
	v_or_b32_sdwa v47, v37, v50 dst_sel:DWORD dst_unused:UNUSED_PAD src0_sel:DWORD src1_sel:WORD_0
	v_mov_b32_e32 v46, v50
; %bb.106:
	s_or_b64 exec, exec, s[50:51]
	v_mov_b32_dpp v50, v38 row_shr:2 row_mask:0xf bank_mask:0xf
	v_mov_b32_dpp v51, v47 row_shr:2 row_mask:0xf bank_mask:0xf
	v_cmp_lt_u32_e64 s[42:43], 1, v49
	v_mov_b32_e32 v48, v47
	s_and_saveexec_b64 s[50:51], s[42:43]
	s_cbranch_execz .LBB105_108
; %bb.107:
	v_and_b32_e32 v46, 1, v47
	v_and_b32_e32 v48, 1, v51
	v_cmp_eq_u32_e64 s[42:43], 1, v46
	v_cndmask_b32_e64 v46, v48, 1, s[42:43]
	v_mov_b32_e32 v48, 0
	v_cmp_eq_u16_sdwa s[42:43], v47, v48 src0_sel:BYTE_0 src1_sel:DWORD
	v_cndmask_b32_e64 v47, 0, v50, s[42:43]
	v_add_u32_e32 v38, v47, v38
	v_or_b32_sdwa v47, v37, v46 dst_sel:DWORD dst_unused:UNUSED_PAD src0_sel:DWORD src1_sel:WORD_0
	v_mov_b32_e32 v48, v46
.LBB105_108:
	s_or_b64 exec, exec, s[50:51]
	v_mov_b32_dpp v50, v38 row_shr:4 row_mask:0xf bank_mask:0xf
	v_mov_b32_dpp v51, v47 row_shr:4 row_mask:0xf bank_mask:0xf
	v_cmp_lt_u32_e64 s[42:43], 3, v49
	s_and_saveexec_b64 s[50:51], s[42:43]
	s_cbranch_execz .LBB105_110
; %bb.109:
	v_and_b32_e32 v46, 1, v48
	v_and_b32_e32 v47, 1, v51
	v_cmp_eq_u32_e64 s[42:43], 1, v46
	v_cndmask_b32_e64 v46, v47, 1, s[42:43]
	v_mov_b32_e32 v47, 0
	v_cmp_eq_u16_sdwa s[42:43], v48, v47 src0_sel:BYTE_0 src1_sel:DWORD
	v_cndmask_b32_e64 v47, 0, v50, s[42:43]
	v_add_u32_e32 v38, v47, v38
	v_or_b32_sdwa v47, v37, v46 dst_sel:DWORD dst_unused:UNUSED_PAD src0_sel:DWORD src1_sel:WORD_0
	v_mov_b32_e32 v48, v46
.LBB105_110:
	s_or_b64 exec, exec, s[50:51]
	v_mov_b32_dpp v50, v38 row_shr:8 row_mask:0xf bank_mask:0xf
	v_mov_b32_dpp v51, v47 row_shr:8 row_mask:0xf bank_mask:0xf
	v_cmp_lt_u32_e64 s[42:43], 7, v49
	s_and_saveexec_b64 s[50:51], s[42:43]
	s_cbranch_execz .LBB105_112
; %bb.111:
	v_and_b32_e32 v46, 1, v48
	v_and_b32_e32 v47, 1, v51
	v_cmp_eq_u32_e64 s[42:43], 1, v46
	v_cndmask_b32_e64 v46, v47, 1, s[42:43]
	v_mov_b32_e32 v47, 0
	v_cmp_eq_u16_sdwa s[42:43], v48, v47 src0_sel:BYTE_0 src1_sel:DWORD
	v_cndmask_b32_e64 v47, 0, v50, s[42:43]
	v_add_u32_e32 v38, v47, v38
	v_or_b32_sdwa v47, v37, v46 dst_sel:DWORD dst_unused:UNUSED_PAD src0_sel:DWORD src1_sel:WORD_0
	v_mov_b32_e32 v48, v46
.LBB105_112:
	s_or_b64 exec, exec, s[50:51]
	v_and_b32_e32 v51, 16, v39
	v_mov_b32_dpp v49, v38 row_bcast:15 row_mask:0xf bank_mask:0xf
	v_mov_b32_dpp v50, v47 row_bcast:15 row_mask:0xf bank_mask:0xf
	v_cmp_ne_u32_e64 s[42:43], 0, v51
	s_and_saveexec_b64 s[50:51], s[42:43]
	s_cbranch_execz .LBB105_114
; %bb.113:
	v_and_b32_e32 v46, 1, v48
	v_and_b32_e32 v47, 1, v50
	v_cmp_eq_u32_e64 s[42:43], 1, v46
	v_cndmask_b32_e64 v46, v47, 1, s[42:43]
	v_mov_b32_e32 v47, 0
	v_cmp_eq_u16_sdwa s[42:43], v48, v47 src0_sel:BYTE_0 src1_sel:DWORD
	v_cndmask_b32_e64 v47, 0, v49, s[42:43]
	v_add_u32_e32 v38, v47, v38
	v_or_b32_sdwa v47, v37, v46 dst_sel:DWORD dst_unused:UNUSED_PAD src0_sel:DWORD src1_sel:WORD_0
	v_mov_b32_e32 v48, v46
.LBB105_114:
	s_or_b64 exec, exec, s[50:51]
	v_mov_b32_dpp v47, v47 row_bcast:31 row_mask:0xf bank_mask:0xf
	v_and_b32_e32 v50, 1, v48
	v_and_b32_e32 v47, 1, v47
	v_cmp_eq_u32_e64 s[42:43], 1, v50
	v_mov_b32_e32 v50, 0
	v_cndmask_b32_e64 v47, v47, 1, s[42:43]
	v_cmp_eq_u16_sdwa s[50:51], v48, v50 src0_sel:BYTE_0 src1_sel:DWORD
	v_cmp_lt_u32_e64 s[42:43], 31, v39
	v_mov_b32_dpp v49, v38 row_bcast:31 row_mask:0xf bank_mask:0xf
	v_cndmask_b32_e64 v46, v46, v47, s[42:43]
	s_and_b64 s[42:43], s[42:43], s[50:51]
	v_cndmask_b32_e64 v47, 0, v49, s[42:43]
	v_add_u32_e32 v38, v47, v38
	v_add_u32_e32 v47, -1, v39
	v_and_b32_e32 v48, 64, v39
	v_cmp_lt_i32_e64 s[42:43], v47, v48
	v_cndmask_b32_e64 v39, v47, v39, s[42:43]
	v_lshlrev_b32_e32 v39, 2, v39
	ds_bpermute_b32 v38, v39, v38
	v_or_b32_sdwa v37, v37, v46 dst_sel:DWORD dst_unused:UNUSED_PAD src0_sel:DWORD src1_sel:WORD_0
	ds_bpermute_b32 v37, v39, v37
	v_cmp_eq_u16_sdwa s[42:43], v4, v50 src0_sel:BYTE_0 src1_sel:DWORD
	v_and_b32_e32 v40, 1, v40
	s_waitcnt lgkmcnt(1)
	v_cndmask_b32_e64 v4, 0, v38, s[42:43]
	v_add_u32_e32 v3, v4, v3
	s_waitcnt lgkmcnt(0)
	v_and_b32_e32 v4, 1, v37
	v_cmp_eq_u32_e64 s[42:43], 1, v7
	v_cndmask_b32_e64 v4, v4, 1, s[42:43]
	v_cmp_eq_u32_e64 s[42:43], 0, v0
	v_cndmask_b32_e64 v3, v3, v44, s[42:43]
	v_cndmask_b32_e64 v7, 0, v3, s[36:37]
	;; [unrolled: 1-line block ×3, first 2 shown]
	v_add_u32_e32 v1, v7, v1
	v_cmp_eq_u32_e64 s[36:37], 1, v40
	ds_write_b8 v5, v4 offset:4
	v_cndmask_b32_e64 v4, v4, 1, s[36:37]
	ds_write2_b32 v5, v3, v1 offset1:2
	ds_write_b8 v5, v4 offset:12
	v_cndmask_b32_e64 v1, 0, v1, s[30:31]
	v_and_b32_e32 v8, 1, v8
	v_add_u32_e32 v1, v1, v2
	v_cmp_eq_u32_e64 s[30:31], 1, v8
	v_cndmask_b32_e64 v3, 0, v1, s[34:35]
	v_cndmask_b32_e64 v2, v4, 1, s[30:31]
	v_add_u32_e32 v3, v3, v6
	ds_write_b8 v5, v2 offset:20
	v_cndmask_b32_e64 v2, v2, 1, s[38:39]
	ds_write2_b32 v5, v1, v3 offset0:4 offset1:6
	ds_write_b8 v5, v2 offset:28
.LBB105_115:
	s_or_b64 exec, exec, s[48:49]
	v_cmp_eq_u32_e64 s[30:31], 0, v0
	v_cmp_ne_u32_e64 s[34:35], 0, v0
	s_waitcnt lgkmcnt(0)
	s_barrier
	s_and_saveexec_b64 s[36:37], s[34:35]
	s_cbranch_execz .LBB105_117
; %bb.116:
	v_add_u32_e32 v1, -1, v0
	v_lshrrev_b32_e32 v2, 2, v1
	v_and_b32_e32 v2, 0x3ffffff8, v2
	v_lshl_add_u32 v1, v1, 3, v2
	ds_read_b32 v44, v1
	ds_read_u8 v45, v1 offset:4
.LBB105_117:
	s_or_b64 exec, exec, s[36:37]
	s_and_saveexec_b64 s[36:37], vcc
	s_cbranch_execz .LBB105_137
; %bb.118:
	v_mov_b32_e32 v4, 0
	ds_read_b64 v[1:2], v4 offset:2096
	v_mbcnt_lo_u32_b32 v3, -1, 0
	v_mbcnt_hi_u32_b32 v40, -1, v3
	s_mov_b32 s43, 0
	v_cmp_eq_u32_e64 s[34:35], 0, v40
	s_and_saveexec_b64 s[38:39], s[34:35]
	s_cbranch_execz .LBB105_120
; %bb.119:
	s_add_i32 s42, s6, 64
	s_lshl_b64 s[42:43], s[42:43], 4
	s_add_u32 s42, s44, s42
	s_addc_u32 s43, s45, s43
	v_mov_b32_e32 v5, s42
	v_mov_b32_e32 v3, 1
	;; [unrolled: 1-line block ×3, first 2 shown]
	s_waitcnt lgkmcnt(0)
	;;#ASMSTART
	global_store_dwordx4 v[5:6], v[1:4] off	
s_waitcnt vmcnt(0)
	;;#ASMEND
.LBB105_120:
	s_or_b64 exec, exec, s[38:39]
	v_xad_u32 v37, v40, -1, s6
	v_add_u32_e32 v3, 64, v37
	v_lshlrev_b64 v[5:6], 4, v[3:4]
	v_mov_b32_e32 v3, s45
	v_add_co_u32_e32 v38, vcc, s44, v5
	v_addc_co_u32_e32 v39, vcc, v3, v6, vcc
	;;#ASMSTART
	global_load_dwordx4 v[5:8], v[38:39] off glc	
s_waitcnt vmcnt(0)
	;;#ASMEND
	v_cmp_eq_u16_sdwa s[42:43], v7, v4 src0_sel:BYTE_0 src1_sel:DWORD
	s_and_saveexec_b64 s[38:39], s[42:43]
	s_cbranch_execz .LBB105_124
; %bb.121:
	s_mov_b64 s[42:43], 0
	v_mov_b32_e32 v3, 0
.LBB105_122:                            ; =>This Inner Loop Header: Depth=1
	;;#ASMSTART
	global_load_dwordx4 v[5:8], v[38:39] off glc	
s_waitcnt vmcnt(0)
	;;#ASMEND
	v_cmp_ne_u16_sdwa s[48:49], v7, v3 src0_sel:BYTE_0 src1_sel:DWORD
	s_or_b64 s[42:43], s[48:49], s[42:43]
	s_andn2_b64 exec, exec, s[42:43]
	s_cbranch_execnz .LBB105_122
; %bb.123:
	s_or_b64 exec, exec, s[42:43]
.LBB105_124:
	s_or_b64 exec, exec, s[38:39]
	v_mov_b32_e32 v46, 2
	v_lshlrev_b64 v[3:4], v40, -1
	v_cmp_eq_u16_sdwa s[38:39], v7, v46 src0_sel:BYTE_0 src1_sel:DWORD
	v_and_b32_e32 v8, s39, v4
	v_or_b32_e32 v8, 0x80000000, v8
	v_and_b32_e32 v47, s38, v3
	v_ffbl_b32_e32 v8, v8
	v_and_b32_e32 v57, 63, v40
	v_add_u32_e32 v8, 32, v8
	v_ffbl_b32_e32 v47, v47
	v_cmp_ne_u32_e32 vcc, 63, v57
	v_min_u32_e32 v8, v47, v8
	v_addc_co_u32_e32 v47, vcc, 0, v40, vcc
	v_and_b32_e32 v39, 0xff, v6
	v_lshlrev_b32_e32 v47, 2, v47
	ds_bpermute_b32 v49, v47, v39
	ds_bpermute_b32 v50, v47, v5
	s_mov_b32 s38, 0
	v_and_b32_e32 v6, 1, v6
	v_mov_b32_e32 v38, v5
	s_mov_b32 s39, 1
	s_waitcnt lgkmcnt(1)
	v_and_b32_e32 v49, 1, v49
	v_cmp_eq_u32_e32 vcc, 1, v6
	v_cndmask_b32_e64 v6, v49, 1, vcc
	v_cmp_gt_u64_e32 vcc, s[38:39], v[38:39]
	v_add_u32_e32 v48, 1, v40
	v_and_b32_e32 v49, 0xffff, v6
	s_waitcnt lgkmcnt(0)
	v_cndmask_b32_e32 v38, 0, v50, vcc
	v_cmp_gt_u32_e32 vcc, v48, v8
	v_cndmask_b32_e32 v6, v6, v39, vcc
	v_cndmask_b32_e64 v38, v38, 0, vcc
	v_cndmask_b32_e32 v39, v49, v39, vcc
	v_cmp_gt_u32_e32 vcc, 62, v57
	v_cndmask_b32_e64 v49, 0, 2, vcc
	v_add_lshl_u32 v49, v49, v40, 2
	ds_bpermute_b32 v51, v49, v39
	v_add_u32_e32 v5, v38, v5
	ds_bpermute_b32 v38, v49, v5
	v_and_b32_e32 v52, 1, v6
	v_cmp_eq_u32_e32 vcc, 1, v52
	s_waitcnt lgkmcnt(1)
	v_and_b32_e32 v51, 1, v51
	v_add_u32_e32 v50, 2, v40
	v_cndmask_b32_e64 v51, v51, 1, vcc
	v_cmp_eq_u16_e32 vcc, 0, v6
	v_and_b32_e32 v52, 0xffff, v51
	s_waitcnt lgkmcnt(0)
	v_cndmask_b32_e32 v38, 0, v38, vcc
	v_cmp_gt_u32_e32 vcc, v50, v8
	v_cndmask_b32_e32 v6, v51, v6, vcc
	v_cndmask_b32_e64 v38, v38, 0, vcc
	v_cndmask_b32_e32 v39, v52, v39, vcc
	v_cmp_gt_u32_e32 vcc, 60, v57
	v_cndmask_b32_e64 v51, 0, 4, vcc
	v_add_lshl_u32 v51, v51, v40, 2
	ds_bpermute_b32 v55, v51, v39
	v_add_u32_e32 v5, v38, v5
	ds_bpermute_b32 v38, v51, v5
	v_and_b32_e32 v56, 1, v6
	v_cmp_eq_u32_e32 vcc, 1, v56
	s_waitcnt lgkmcnt(1)
	v_and_b32_e32 v55, 1, v55
	v_add_u32_e32 v52, 4, v40
	v_cndmask_b32_e64 v55, v55, 1, vcc
	v_cmp_eq_u16_e32 vcc, 0, v6
	;; [unrolled: 20-line block ×3, first 2 shown]
	v_and_b32_e32 v59, 0xffff, v58
	s_waitcnt lgkmcnt(0)
	v_cndmask_b32_e32 v38, 0, v38, vcc
	v_cmp_gt_u32_e32 vcc, v56, v8
	v_cndmask_b32_e32 v6, v58, v6, vcc
	v_cndmask_b32_e64 v38, v38, 0, vcc
	v_cndmask_b32_e32 v39, v59, v39, vcc
	v_cmp_gt_u32_e32 vcc, 48, v57
	v_cndmask_b32_e64 v57, 0, 16, vcc
	v_add_lshl_u32 v57, v57, v40, 2
	ds_bpermute_b32 v58, v57, v39
	v_add_u32_e32 v5, v38, v5
	ds_bpermute_b32 v59, v57, v5
	v_and_b32_e32 v38, 1, v6
	v_cmp_eq_u32_e32 vcc, 1, v38
	s_waitcnt lgkmcnt(1)
	v_and_b32_e32 v58, 1, v58
	v_mov_b32_e32 v38, 0
	v_add_u32_e32 v60, 16, v40
	v_cndmask_b32_e64 v58, v58, 1, vcc
	v_cmp_eq_u16_sdwa vcc, v6, v38 src0_sel:BYTE_0 src1_sel:DWORD
	s_waitcnt lgkmcnt(0)
	v_cndmask_b32_e32 v59, 0, v59, vcc
	v_cmp_gt_u32_e32 vcc, v60, v8
	v_and_b32_e32 v62, 0xffff, v58
	v_cndmask_b32_e32 v6, v58, v6, vcc
	v_cndmask_b32_e64 v58, v59, 0, vcc
	v_add_u32_e32 v5, v58, v5
	v_mov_b32_e32 v58, 0x80
	v_lshl_or_b32 v61, v40, 2, v58
	ds_bpermute_b32 v58, v61, v5
	v_cndmask_b32_e32 v39, v62, v39, vcc
	ds_bpermute_b32 v39, v61, v39
	v_cmp_eq_u16_sdwa vcc, v6, v38 src0_sel:BYTE_0 src1_sel:DWORD
	v_add_u32_e32 v62, 32, v40
	s_waitcnt lgkmcnt(1)
	v_cndmask_b32_e32 v40, 0, v58, vcc
	v_and_b32_e32 v58, 1, v6
	s_waitcnt lgkmcnt(0)
	v_and_b32_e32 v39, 1, v39
	v_cmp_eq_u32_e32 vcc, 1, v58
	v_cndmask_b32_e64 v39, v39, 1, vcc
	v_cmp_gt_u32_e32 vcc, v62, v8
	v_cndmask_b32_e64 v8, v40, 0, vcc
	v_cndmask_b32_e32 v6, v39, v6, vcc
	v_add_u32_e32 v5, v8, v5
	s_branch .LBB105_128
.LBB105_125:                            ;   in Loop: Header=BB105_128 Depth=1
	s_or_b64 exec, exec, s[48:49]
.LBB105_126:                            ;   in Loop: Header=BB105_128 Depth=1
	s_or_b64 exec, exec, s[42:43]
	v_cmp_eq_u16_sdwa s[42:43], v7, v46 src0_sel:BYTE_0 src1_sel:DWORD
	v_and_b32_e32 v40, 0xff, v6
	v_and_b32_e32 v8, s43, v4
	v_or_b32_e32 v8, 0x80000000, v8
	ds_bpermute_b32 v64, v47, v40
	v_and_b32_e32 v63, s42, v3
	v_ffbl_b32_e32 v8, v8
	v_add_u32_e32 v8, 32, v8
	v_ffbl_b32_e32 v63, v63
	v_min_u32_e32 v8, v63, v8
	ds_bpermute_b32 v63, v47, v5
	v_and_b32_e32 v6, 1, v6
	v_mov_b32_e32 v39, v5
	s_waitcnt lgkmcnt(1)
	v_and_b32_e32 v64, 1, v64
	v_cmp_eq_u32_e32 vcc, 1, v6
	v_cndmask_b32_e64 v6, v64, 1, vcc
	v_cmp_gt_u64_e32 vcc, s[38:39], v[39:40]
	v_and_b32_e32 v64, 0xffff, v6
	s_waitcnt lgkmcnt(0)
	v_cndmask_b32_e32 v39, 0, v63, vcc
	v_cmp_gt_u32_e32 vcc, v48, v8
	v_cndmask_b32_e32 v6, v6, v40, vcc
	v_cndmask_b32_e32 v40, v64, v40, vcc
	ds_bpermute_b32 v63, v49, v40
	v_cndmask_b32_e64 v39, v39, 0, vcc
	v_add_u32_e32 v5, v39, v5
	ds_bpermute_b32 v39, v49, v5
	v_and_b32_e32 v64, 1, v6
	s_waitcnt lgkmcnt(1)
	v_and_b32_e32 v63, 1, v63
	v_cmp_eq_u32_e32 vcc, 1, v64
	v_cndmask_b32_e64 v63, v63, 1, vcc
	v_cmp_eq_u16_e32 vcc, 0, v6
	v_and_b32_e32 v64, 0xffff, v63
	s_waitcnt lgkmcnt(0)
	v_cndmask_b32_e32 v39, 0, v39, vcc
	v_cmp_gt_u32_e32 vcc, v50, v8
	v_cndmask_b32_e32 v40, v64, v40, vcc
	v_cndmask_b32_e32 v6, v63, v6, vcc
	ds_bpermute_b32 v63, v51, v40
	v_cndmask_b32_e64 v39, v39, 0, vcc
	v_add_u32_e32 v5, v39, v5
	ds_bpermute_b32 v39, v51, v5
	v_and_b32_e32 v64, 1, v6
	s_waitcnt lgkmcnt(1)
	v_and_b32_e32 v63, 1, v63
	v_cmp_eq_u32_e32 vcc, 1, v64
	v_cndmask_b32_e64 v63, v63, 1, vcc
	v_cmp_eq_u16_e32 vcc, 0, v6
	;; [unrolled: 16-line block ×3, first 2 shown]
	v_and_b32_e32 v64, 0xffff, v63
	s_waitcnt lgkmcnt(0)
	v_cndmask_b32_e32 v39, 0, v39, vcc
	v_cmp_gt_u32_e32 vcc, v56, v8
	v_cndmask_b32_e32 v40, v64, v40, vcc
	v_cndmask_b32_e32 v6, v63, v6, vcc
	ds_bpermute_b32 v63, v57, v40
	v_cndmask_b32_e64 v39, v39, 0, vcc
	v_add_u32_e32 v5, v39, v5
	ds_bpermute_b32 v39, v57, v5
	v_and_b32_e32 v64, 1, v6
	s_waitcnt lgkmcnt(1)
	v_and_b32_e32 v63, 1, v63
	v_cmp_eq_u32_e32 vcc, 1, v64
	v_cndmask_b32_e64 v63, v63, 1, vcc
	v_cmp_eq_u16_sdwa vcc, v6, v38 src0_sel:BYTE_0 src1_sel:DWORD
	s_waitcnt lgkmcnt(0)
	v_cndmask_b32_e32 v39, 0, v39, vcc
	v_cmp_gt_u32_e32 vcc, v60, v8
	v_cndmask_b32_e64 v39, v39, 0, vcc
	v_cndmask_b32_e32 v6, v63, v6, vcc
	v_add_u32_e32 v5, v39, v5
	v_and_b32_e32 v63, 0xffff, v63
	ds_bpermute_b32 v39, v61, v5
	v_cndmask_b32_e32 v40, v63, v40, vcc
	ds_bpermute_b32 v40, v61, v40
	v_cmp_eq_u16_sdwa vcc, v6, v38 src0_sel:BYTE_0 src1_sel:DWORD
	v_and_b32_e32 v63, 1, v6
	s_waitcnt lgkmcnt(1)
	v_cndmask_b32_e32 v39, 0, v39, vcc
	v_cmp_eq_u32_e32 vcc, 1, v63
	s_waitcnt lgkmcnt(0)
	v_cndmask_b32_e64 v40, v40, 1, vcc
	v_cmp_gt_u32_e32 vcc, v62, v8
	v_cndmask_b32_e64 v8, v39, 0, vcc
	v_cndmask_b32_e32 v6, v40, v6, vcc
	v_add_u32_e32 v5, v8, v5
	v_cmp_eq_u16_sdwa vcc, v58, v38 src0_sel:BYTE_0 src1_sel:DWORD
	v_and_b32_e32 v8, 1, v58
	v_cndmask_b32_e32 v5, 0, v5, vcc
	v_and_b32_e32 v6, 1, v6
	v_cmp_eq_u32_e32 vcc, 1, v8
	v_subrev_u32_e32 v37, 64, v37
	v_add_u32_e32 v5, v5, v59
	v_cndmask_b32_e64 v6, v6, 1, vcc
	s_mov_b64 s[42:43], 0
.LBB105_127:                            ;   in Loop: Header=BB105_128 Depth=1
	s_and_b64 vcc, exec, s[42:43]
	s_cbranch_vccnz .LBB105_133
.LBB105_128:                            ; =>This Loop Header: Depth=1
                                        ;     Child Loop BB105_131 Depth 2
	v_cmp_ne_u16_sdwa s[42:43], v7, v46 src0_sel:BYTE_0 src1_sel:DWORD
	v_mov_b32_e32 v58, v6
	v_mov_b32_e32 v59, v5
	s_cmp_lg_u64 s[42:43], exec
	s_mov_b64 s[42:43], -1
                                        ; implicit-def: $vgpr6
                                        ; implicit-def: $vgpr5
                                        ; implicit-def: $vgpr7
	s_cbranch_scc1 .LBB105_127
; %bb.129:                              ;   in Loop: Header=BB105_128 Depth=1
	v_lshlrev_b64 v[5:6], 4, v[37:38]
	v_mov_b32_e32 v7, s45
	v_add_co_u32_e32 v39, vcc, s44, v5
	v_addc_co_u32_e32 v40, vcc, v7, v6, vcc
	;;#ASMSTART
	global_load_dwordx4 v[5:8], v[39:40] off glc	
s_waitcnt vmcnt(0)
	;;#ASMEND
	v_cmp_eq_u16_sdwa s[48:49], v7, v38 src0_sel:BYTE_0 src1_sel:DWORD
	s_and_saveexec_b64 s[42:43], s[48:49]
	s_cbranch_execz .LBB105_126
; %bb.130:                              ;   in Loop: Header=BB105_128 Depth=1
	s_mov_b64 s[48:49], 0
.LBB105_131:                            ;   Parent Loop BB105_128 Depth=1
                                        ; =>  This Inner Loop Header: Depth=2
	;;#ASMSTART
	global_load_dwordx4 v[5:8], v[39:40] off glc	
s_waitcnt vmcnt(0)
	;;#ASMEND
	v_cmp_ne_u16_sdwa s[50:51], v7, v38 src0_sel:BYTE_0 src1_sel:DWORD
	s_or_b64 s[48:49], s[50:51], s[48:49]
	s_andn2_b64 exec, exec, s[48:49]
	s_cbranch_execnz .LBB105_131
	s_branch .LBB105_125
.LBB105_132:
                                        ; implicit-def: $vgpr37
                                        ; implicit-def: $vgpr38
                                        ; implicit-def: $vgpr39
                                        ; implicit-def: $vgpr40
                                        ; implicit-def: $vgpr44
                                        ; implicit-def: $vgpr45
                                        ; implicit-def: $vgpr46
                                        ; implicit-def: $vgpr47
                                        ; implicit-def: $vgpr48
                                        ; implicit-def: $vgpr49
                                        ; implicit-def: $vgpr50
                                        ; implicit-def: $vgpr51
                                        ; implicit-def: $vgpr52
                                        ; implicit-def: $vgpr55
                                        ; implicit-def: $vgpr56
	s_cbranch_execnz .LBB105_138
	s_branch .LBB105_157
.LBB105_133:
	s_and_saveexec_b64 s[38:39], s[34:35]
	s_cbranch_execz .LBB105_135
; %bb.134:
	s_mov_b32 s7, 0
	v_mov_b32_e32 v4, 0
	s_add_i32 s6, s6, 64
	v_cmp_eq_u32_sdwa vcc, v2, v4 src0_sel:BYTE_0 src1_sel:DWORD
	s_lshl_b64 s[6:7], s[6:7], 4
	v_cndmask_b32_e32 v3, 0, v59, vcc
	v_and_b32_e32 v2, 1, v2
	s_add_u32 s6, s44, s6
	v_add_u32_e32 v1, v3, v1
	s_addc_u32 s7, s45, s7
	v_and_b32_e32 v3, 1, v58
	v_cmp_eq_u32_e32 vcc, 1, v2
	v_mov_b32_e32 v5, s6
	v_cndmask_b32_e64 v2, v3, 1, vcc
	v_mov_b32_e32 v3, 2
	v_mov_b32_e32 v6, s7
	;;#ASMSTART
	global_store_dwordx4 v[5:6], v[1:4] off	
s_waitcnt vmcnt(0)
	;;#ASMEND
.LBB105_135:
	s_or_b64 exec, exec, s[38:39]
	s_and_b64 exec, exec, s[30:31]
	s_cbranch_execz .LBB105_137
; %bb.136:
	v_mov_b32_e32 v1, 0
	ds_write_b32 v1, v59
	ds_write_b8 v1, v58 offset:4
.LBB105_137:
	s_or_b64 exec, exec, s[36:37]
	v_mov_b32_e32 v1, 0
	s_waitcnt lgkmcnt(0)
	s_barrier
	ds_read_b32 v2, v1
	v_cmp_eq_u16_sdwa vcc, v45, v1 src0_sel:BYTE_0 src1_sel:DWORD
	s_waitcnt lgkmcnt(0)
	v_cndmask_b32_e32 v3, 0, v2, vcc
	v_add_u32_e32 v3, v3, v44
	v_cndmask_b32_e64 v37, v3, v2, s[30:31]
	v_and_b32_e32 v2, 0xff, v10
	v_cmp_eq_u64_e32 vcc, 0, v[1:2]
	v_cndmask_b32_e32 v1, 0, v37, vcc
	v_add_u32_e32 v38, v1, v9
	v_cndmask_b32_e64 v1, 0, v38, s[2:3]
	v_add_u32_e32 v39, v1, v35
	v_cndmask_b32_e64 v1, 0, v39, s[40:41]
	;; [unrolled: 2-line block ×13, first 2 shown]
	v_add_u32_e32 v56, v1, v11
	s_branch .LBB105_157
.LBB105_138:
	s_cmp_eq_u64 s[54:55], 0
	v_mov_b32_e32 v5, s56
	s_cbranch_scc1 .LBB105_140
; %bb.139:
	v_mov_b32_e32 v1, 0
	global_load_dword v5, v1, s[54:55]
.LBB105_140:
	s_mov_b32 s28, 0
	s_mov_b32 s29, 1
	v_cmp_gt_u64_e32 vcc, s[28:29], v[35:36]
	v_cmp_gt_u64_e64 s[2:3], s[28:29], v[33:34]
	v_cndmask_b32_e32 v1, 0, v9, vcc
	v_add_u32_e32 v1, v1, v35
	v_cndmask_b32_e64 v1, 0, v1, s[2:3]
	v_cmp_gt_u64_e64 s[6:7], s[28:29], v[31:32]
	v_add_u32_e32 v1, v1, v33
	v_cndmask_b32_e64 v1, 0, v1, s[6:7]
	v_cmp_gt_u64_e64 s[8:9], s[28:29], v[29:30]
	;; [unrolled: 3-line block ×12, first 2 shown]
	v_or3_b32 v2, v43, v26, v28
	v_add_u32_e32 v1, v1, v11
	v_or3_b32 v2, v2, v30, v32
	v_cndmask_b32_e64 v1, 0, v1, s[28:29]
	v_or3_b32 v2, v2, v34, v36
	v_add_u32_e32 v6, v1, v53
	v_or3_b32 v1, v42, v16, v18
	v_or3_b32 v1, v1, v20, v2
	v_and_b32_e32 v2, 0xff, v1
	v_mov_b32_e32 v1, 0
	v_cmp_eq_u64_e64 s[28:29], 0, v[1:2]
	v_and_b32_e32 v1, 56, v41
	v_cndmask_b32_e64 v7, 1, v10, s[28:29]
	v_lshl_add_u32 v1, v0, 3, v1
	v_cmp_gt_u32_e64 s[28:29], 64, v0
	ds_write_b32 v1, v6
	ds_write_b8 v1, v7 offset:4
	s_waitcnt vmcnt(0) lgkmcnt(0)
	s_barrier
	s_and_saveexec_b64 s[40:41], s[28:29]
	s_cbranch_execz .LBB105_152
; %bb.141:
	v_and_b32_e32 v1, 0xf8, v0
	v_lshlrev_b32_e32 v2, 5, v0
	v_add_u32_e32 v8, v1, v2
	ds_read2_b32 v[1:2], v8 offset0:2 offset1:4
	ds_read_b64 v[3:4], v8
	ds_read_u8 v24, v8 offset:12
	ds_read_u8 v16, v8 offset:20
	ds_read_b32 v12, v8 offset:24
	ds_read_u8 v18, v8 offset:28
	s_waitcnt lgkmcnt(4)
	v_and_b32_e32 v14, 1, v4
	s_waitcnt lgkmcnt(3)
	v_cmp_eq_u16_e64 s[34:35], 0, v24
	s_waitcnt lgkmcnt(2)
	v_or_b32_e32 v22, v16, v24
	v_cndmask_b32_e64 v20, 0, v3, s[34:35]
	v_cmp_eq_u16_e64 s[30:31], 0, v22
	v_add_u32_e32 v20, v20, v1
	v_cmp_eq_u16_e64 s[28:29], 0, v16
	v_cndmask_b32_e64 v22, 1, v14, s[30:31]
	s_waitcnt lgkmcnt(0)
	v_cmp_eq_u16_e64 s[30:31], 0, v18
	v_and_b32_e32 v18, 1, v18
	v_cndmask_b32_e64 v20, 0, v20, s[28:29]
	v_cmp_eq_u32_e64 s[36:37], 1, v18
	v_add_u32_e32 v20, v20, v2
	v_cndmask_b32_e64 v26, v22, 1, s[36:37]
	v_mbcnt_lo_u32_b32 v22, -1, 0
	v_cndmask_b32_e64 v20, 0, v20, s[30:31]
	v_and_b32_e32 v18, 0xffffff00, v4
	v_mbcnt_hi_u32_b32 v22, -1, v22
	v_add_u32_e32 v20, v20, v12
	v_and_b32_e32 v32, 15, v22
	v_or_b32_sdwa v28, v18, v26 dst_sel:DWORD dst_unused:UNUSED_PAD src0_sel:DWORD src1_sel:WORD_0
	v_mov_b32_dpp v30, v20 row_shr:1 row_mask:0xf bank_mask:0xf
	v_cmp_ne_u32_e64 s[38:39], 0, v32
	v_mov_b32_dpp v34, v28 row_shr:1 row_mask:0xf bank_mask:0xf
	s_and_saveexec_b64 s[42:43], s[38:39]
; %bb.142:
	v_and_b32_e32 v28, 1, v26
	v_and_b32_e32 v34, 1, v34
	v_cmp_eq_u32_e64 s[38:39], 1, v28
	v_cndmask_b32_e64 v34, v34, 1, s[38:39]
	v_cmp_eq_u16_e64 s[38:39], 0, v26
	v_cndmask_b32_e64 v26, 0, v30, s[38:39]
	v_add_u32_e32 v20, v26, v20
	v_or_b32_sdwa v28, v18, v34 dst_sel:DWORD dst_unused:UNUSED_PAD src0_sel:DWORD src1_sel:WORD_0
	v_mov_b32_e32 v26, v34
; %bb.143:
	s_or_b64 exec, exec, s[42:43]
	v_mov_b32_dpp v34, v20 row_shr:2 row_mask:0xf bank_mask:0xf
	v_mov_b32_dpp v36, v28 row_shr:2 row_mask:0xf bank_mask:0xf
	v_cmp_lt_u32_e64 s[38:39], 1, v32
	v_mov_b32_e32 v30, v28
	s_and_saveexec_b64 s[42:43], s[38:39]
	s_cbranch_execz .LBB105_145
; %bb.144:
	v_and_b32_e32 v26, 1, v28
	v_and_b32_e32 v30, 1, v36
	v_cmp_eq_u32_e64 s[38:39], 1, v26
	v_cndmask_b32_e64 v26, v30, 1, s[38:39]
	v_mov_b32_e32 v30, 0
	v_cmp_eq_u16_sdwa s[38:39], v28, v30 src0_sel:BYTE_0 src1_sel:DWORD
	v_cndmask_b32_e64 v28, 0, v34, s[38:39]
	v_add_u32_e32 v20, v28, v20
	v_or_b32_sdwa v28, v18, v26 dst_sel:DWORD dst_unused:UNUSED_PAD src0_sel:DWORD src1_sel:WORD_0
	v_mov_b32_e32 v30, v26
.LBB105_145:
	s_or_b64 exec, exec, s[42:43]
	v_mov_b32_dpp v34, v20 row_shr:4 row_mask:0xf bank_mask:0xf
	v_mov_b32_dpp v36, v28 row_shr:4 row_mask:0xf bank_mask:0xf
	v_cmp_lt_u32_e64 s[38:39], 3, v32
	s_and_saveexec_b64 s[42:43], s[38:39]
	s_cbranch_execz .LBB105_147
; %bb.146:
	v_and_b32_e32 v26, 1, v30
	v_and_b32_e32 v28, 1, v36
	v_cmp_eq_u32_e64 s[38:39], 1, v26
	v_cndmask_b32_e64 v26, v28, 1, s[38:39]
	v_mov_b32_e32 v28, 0
	v_cmp_eq_u16_sdwa s[38:39], v30, v28 src0_sel:BYTE_0 src1_sel:DWORD
	v_cndmask_b32_e64 v28, 0, v34, s[38:39]
	v_add_u32_e32 v20, v28, v20
	v_or_b32_sdwa v28, v18, v26 dst_sel:DWORD dst_unused:UNUSED_PAD src0_sel:DWORD src1_sel:WORD_0
	v_mov_b32_e32 v30, v26
.LBB105_147:
	s_or_b64 exec, exec, s[42:43]
	v_mov_b32_dpp v34, v20 row_shr:8 row_mask:0xf bank_mask:0xf
	v_mov_b32_dpp v36, v28 row_shr:8 row_mask:0xf bank_mask:0xf
	v_cmp_lt_u32_e64 s[38:39], 7, v32
	s_and_saveexec_b64 s[42:43], s[38:39]
	s_cbranch_execz .LBB105_149
; %bb.148:
	v_and_b32_e32 v26, 1, v30
	v_and_b32_e32 v28, 1, v36
	v_cmp_eq_u32_e64 s[38:39], 1, v26
	v_cndmask_b32_e64 v26, v28, 1, s[38:39]
	v_mov_b32_e32 v28, 0
	v_cmp_eq_u16_sdwa s[38:39], v30, v28 src0_sel:BYTE_0 src1_sel:DWORD
	v_cndmask_b32_e64 v28, 0, v34, s[38:39]
	v_add_u32_e32 v20, v28, v20
	v_or_b32_sdwa v28, v18, v26 dst_sel:DWORD dst_unused:UNUSED_PAD src0_sel:DWORD src1_sel:WORD_0
	v_mov_b32_e32 v30, v26
.LBB105_149:
	s_or_b64 exec, exec, s[42:43]
	v_and_b32_e32 v36, 16, v22
	v_mov_b32_dpp v32, v20 row_bcast:15 row_mask:0xf bank_mask:0xf
	v_mov_b32_dpp v34, v28 row_bcast:15 row_mask:0xf bank_mask:0xf
	v_cmp_ne_u32_e64 s[38:39], 0, v36
	s_and_saveexec_b64 s[42:43], s[38:39]
	s_cbranch_execz .LBB105_151
; %bb.150:
	v_and_b32_e32 v26, 1, v30
	v_and_b32_e32 v28, 1, v34
	v_cmp_eq_u32_e64 s[38:39], 1, v26
	v_cndmask_b32_e64 v26, v28, 1, s[38:39]
	v_mov_b32_e32 v28, 0
	v_cmp_eq_u16_sdwa s[38:39], v30, v28 src0_sel:BYTE_0 src1_sel:DWORD
	v_cndmask_b32_e64 v28, 0, v32, s[38:39]
	v_add_u32_e32 v20, v28, v20
	v_or_b32_sdwa v28, v18, v26 dst_sel:DWORD dst_unused:UNUSED_PAD src0_sel:DWORD src1_sel:WORD_0
	v_mov_b32_e32 v30, v26
.LBB105_151:
	s_or_b64 exec, exec, s[42:43]
	v_mov_b32_dpp v28, v28 row_bcast:31 row_mask:0xf bank_mask:0xf
	v_and_b32_e32 v34, 1, v30
	v_and_b32_e32 v28, 1, v28
	v_cmp_eq_u32_e64 s[38:39], 1, v34
	v_mov_b32_e32 v34, 0
	v_cndmask_b32_e64 v28, v28, 1, s[38:39]
	v_cmp_eq_u16_sdwa s[42:43], v30, v34 src0_sel:BYTE_0 src1_sel:DWORD
	v_cmp_lt_u32_e64 s[38:39], 31, v22
	v_mov_b32_dpp v32, v20 row_bcast:31 row_mask:0xf bank_mask:0xf
	v_cndmask_b32_e64 v26, v26, v28, s[38:39]
	s_and_b64 s[38:39], s[38:39], s[42:43]
	v_cndmask_b32_e64 v28, 0, v32, s[38:39]
	v_add_u32_e32 v20, v28, v20
	v_add_u32_e32 v28, -1, v22
	v_and_b32_e32 v30, 64, v22
	v_cmp_lt_i32_e64 s[38:39], v28, v30
	v_cndmask_b32_e64 v22, v28, v22, s[38:39]
	v_lshlrev_b32_e32 v22, 2, v22
	ds_bpermute_b32 v20, v22, v20
	v_or_b32_sdwa v18, v18, v26 dst_sel:DWORD dst_unused:UNUSED_PAD src0_sel:DWORD src1_sel:WORD_0
	ds_bpermute_b32 v18, v22, v18
	v_cmp_eq_u16_sdwa s[38:39], v4, v34 src0_sel:BYTE_0 src1_sel:DWORD
	v_and_b32_e32 v24, 1, v24
	s_waitcnt lgkmcnt(1)
	v_cndmask_b32_e64 v4, 0, v20, s[38:39]
	v_add_u32_e32 v3, v4, v3
	s_waitcnt lgkmcnt(0)
	v_and_b32_e32 v4, 1, v18
	v_cmp_eq_u32_e64 s[38:39], 1, v14
	v_cndmask_b32_e64 v4, v4, 1, s[38:39]
	v_cmp_eq_u32_e64 s[38:39], 0, v0
	v_cndmask_b32_e64 v3, v3, v6, s[38:39]
	v_cndmask_b32_e64 v6, 0, v3, s[34:35]
	v_cndmask_b32_e64 v4, v4, v7, s[38:39]
	v_add_u32_e32 v1, v6, v1
	v_cmp_eq_u32_e64 s[34:35], 1, v24
	ds_write_b8 v8, v4 offset:4
	v_cndmask_b32_e64 v4, v4, 1, s[34:35]
	ds_write2_b32 v8, v3, v1 offset1:2
	ds_write_b8 v8, v4 offset:12
	v_cndmask_b32_e64 v1, 0, v1, s[28:29]
	v_and_b32_e32 v16, 1, v16
	v_add_u32_e32 v1, v1, v2
	v_cmp_eq_u32_e64 s[28:29], 1, v16
	v_cndmask_b32_e64 v3, 0, v1, s[30:31]
	v_cndmask_b32_e64 v2, v4, 1, s[28:29]
	v_add_u32_e32 v3, v3, v12
	ds_write_b8 v8, v2 offset:20
	v_cndmask_b32_e64 v2, v2, 1, s[36:37]
	ds_write2_b32 v8, v1, v3 offset0:4 offset1:6
	ds_write_b8 v8, v2 offset:28
.LBB105_152:
	s_or_b64 exec, exec, s[40:41]
	v_cmp_eq_u32_e64 s[28:29], 0, v0
	v_cmp_ne_u32_e64 s[30:31], 0, v0
	v_mov_b32_e32 v37, v5
	s_waitcnt lgkmcnt(0)
	s_barrier
	s_and_saveexec_b64 s[34:35], s[30:31]
	s_cbranch_execz .LBB105_154
; %bb.153:
	v_add_u32_e32 v1, -1, v0
	v_lshrrev_b32_e32 v2, 2, v1
	v_and_b32_e32 v2, 0x3ffffff8, v2
	v_lshl_add_u32 v1, v1, 3, v2
	ds_read_u8 v2, v1 offset:4
	ds_read_b32 v1, v1
	s_waitcnt lgkmcnt(1)
	v_cmp_eq_u16_e64 s[30:31], 0, v2
	v_cndmask_b32_e64 v2, 0, v5, s[30:31]
	s_waitcnt lgkmcnt(0)
	v_add_u32_e32 v37, v2, v1
.LBB105_154:
	s_or_b64 exec, exec, s[34:35]
	v_and_b32_e32 v2, 0xff, v10
	v_mov_b32_e32 v1, 0
	v_cmp_eq_u64_e64 s[30:31], 0, v[1:2]
	v_cndmask_b32_e64 v2, 0, v37, s[30:31]
	v_add_u32_e32 v38, v2, v9
	v_cndmask_b32_e32 v2, 0, v38, vcc
	v_add_u32_e32 v39, v2, v35
	v_cndmask_b32_e64 v2, 0, v39, s[2:3]
	v_add_u32_e32 v40, v2, v33
	v_cndmask_b32_e64 v2, 0, v40, s[6:7]
	;; [unrolled: 2-line block ×12, first 2 shown]
	s_and_saveexec_b64 s[2:3], s[28:29]
	s_cbranch_execz .LBB105_156
; %bb.155:
	ds_read_u8 v3, v1 offset:2100
	ds_read_b32 v4, v1 offset:2096
	v_mov_b32_e32 v7, v1
	s_add_u32 s6, s44, 0x400
	s_addc_u32 s7, s45, 0
	s_waitcnt lgkmcnt(1)
	v_and_b32_e32 v6, 0xffff, v3
	v_cmp_eq_u64_e32 vcc, 0, v[6:7]
	v_mov_b32_e32 v7, 2
	v_cndmask_b32_e32 v3, 0, v5, vcc
	s_waitcnt lgkmcnt(0)
	v_add_u32_e32 v5, v3, v4
	v_mov_b32_e32 v3, s6
	v_mov_b32_e32 v8, v1
	;; [unrolled: 1-line block ×3, first 2 shown]
	;;#ASMSTART
	global_store_dwordx4 v[3:4], v[5:8] off	
s_waitcnt vmcnt(0)
	;;#ASMEND
.LBB105_156:
	s_or_b64 exec, exec, s[2:3]
	v_add_u32_e32 v56, v2, v11
.LBB105_157:
	s_load_dwordx2 s[2:3], s[4:5], 0x18
	s_lshl_b64 s[4:5], s[52:53], 3
	s_waitcnt lgkmcnt(0)
	s_add_u32 s2, s2, s4
	s_addc_u32 s3, s3, s5
	s_and_b64 vcc, exec, s[0:1]
	s_cbranch_vccz .LBB105_211
; %bb.158:
	s_add_i32 s33, s33, s46
	v_mul_u32_u24_e32 v1, 15, v0
	v_cmp_gt_u32_e32 vcc, s33, v1
	s_and_saveexec_b64 s[0:1], vcc
	s_cbranch_execz .LBB105_182
; %bb.159:
	v_add_u32_e32 v2, 1, v1
	v_cmp_gt_u32_e32 vcc, s33, v2
	s_and_saveexec_b64 s[4:5], vcc
	s_cbranch_execz .LBB105_181
; %bb.160:
	v_add_u32_e32 v2, 2, v1
	;; [unrolled: 5-line block ×11, first 2 shown]
	v_cmp_gt_u32_e32 vcc, s33, v2
	s_and_saveexec_b64 s[24:25], vcc
; %bb.170:
	v_add_u32_e32 v2, 12, v1
	v_cmp_gt_u32_e32 vcc, s33, v2
	s_and_saveexec_b64 s[26:27], vcc
	s_or_b64 exec, exec, s[26:27]
; %bb.171:
	s_or_b64 exec, exec, s[24:25]
.LBB105_172:
	s_or_b64 exec, exec, s[22:23]
.LBB105_173:
	s_or_b64 exec, exec, s[20:21]
.LBB105_174:
	s_or_b64 exec, exec, s[18:19]
.LBB105_175:
	s_or_b64 exec, exec, s[16:17]
.LBB105_176:
	s_or_b64 exec, exec, s[14:15]
.LBB105_177:
	s_or_b64 exec, exec, s[12:13]
.LBB105_178:
	s_or_b64 exec, exec, s[10:11]
.LBB105_179:
	s_or_b64 exec, exec, s[8:9]
.LBB105_180:
	s_or_b64 exec, exec, s[6:7]
.LBB105_181:
	s_or_b64 exec, exec, s[4:5]
.LBB105_182:
	s_or_b64 exec, exec, s[0:1]
	v_lshlrev_b32_e32 v17, 2, v1
	s_movk_i32 s0, 0xffc8
	v_mad_i32_i24 v1, v0, s0, v17
	s_barrier
	ds_write2_b32 v17, v37, v38 offset1:1
	ds_write2_b32 v17, v39, v40 offset0:2 offset1:3
	ds_write2_b32 v17, v44, v45 offset0:4 offset1:5
	;; [unrolled: 1-line block ×6, first 2 shown]
	ds_write_b32 v17, v56 offset:56
	s_waitcnt lgkmcnt(0)
	s_barrier
	ds_read2st64_b32 v[15:16], v1 offset0:4 offset1:8
	ds_read2st64_b32 v[13:14], v1 offset0:12 offset1:16
	;; [unrolled: 1-line block ×7, first 2 shown]
	v_lshlrev_b32_e32 v3, 3, v0
	v_mov_b32_e32 v4, s3
	v_add_co_u32_e32 v3, vcc, s2, v3
	v_addc_co_u32_e32 v4, vcc, 0, v4, vcc
	v_cmp_gt_u32_e32 vcc, s33, v0
	s_and_saveexec_b64 s[0:1], vcc
	s_cbranch_execz .LBB105_184
; %bb.183:
	v_mul_i32_i24_e32 v18, 0xffffffc8, v0
	v_add_u32_e32 v17, v17, v18
	ds_read_b32 v17, v17
	s_waitcnt lgkmcnt(0)
	v_cvt_f64_i32_e32 v[17:18], v17
	global_store_dwordx2 v[3:4], v[17:18], off
.LBB105_184:
	s_or_b64 exec, exec, s[0:1]
	v_or_b32_e32 v17, 0x100, v0
	v_cmp_gt_u32_e32 vcc, s33, v17
	s_and_saveexec_b64 s[0:1], vcc
	s_cbranch_execz .LBB105_186
; %bb.185:
	s_waitcnt lgkmcnt(6)
	v_cvt_f64_i32_e32 v[17:18], v15
	global_store_dwordx2 v[3:4], v[17:18], off offset:2048
.LBB105_186:
	s_or_b64 exec, exec, s[0:1]
	s_waitcnt lgkmcnt(6)
	v_or_b32_e32 v15, 0x200, v0
	v_cmp_gt_u32_e32 vcc, s33, v15
	s_and_saveexec_b64 s[0:1], vcc
	s_cbranch_execz .LBB105_188
; %bb.187:
	v_cvt_f64_i32_e32 v[15:16], v16
	v_add_co_u32_e32 v17, vcc, 0x1000, v3
	v_addc_co_u32_e32 v18, vcc, 0, v4, vcc
	global_store_dwordx2 v[17:18], v[15:16], off
.LBB105_188:
	s_or_b64 exec, exec, s[0:1]
	v_or_b32_e32 v15, 0x300, v0
	v_cmp_gt_u32_e32 vcc, s33, v15
	s_and_saveexec_b64 s[0:1], vcc
	s_cbranch_execz .LBB105_190
; %bb.189:
	s_waitcnt lgkmcnt(5)
	v_cvt_f64_i32_e32 v[15:16], v13
	v_add_co_u32_e32 v17, vcc, 0x1000, v3
	v_addc_co_u32_e32 v18, vcc, 0, v4, vcc
	global_store_dwordx2 v[17:18], v[15:16], off offset:2048
.LBB105_190:
	s_or_b64 exec, exec, s[0:1]
	s_waitcnt lgkmcnt(5)
	v_or_b32_e32 v13, 0x400, v0
	v_cmp_gt_u32_e32 vcc, s33, v13
	s_and_saveexec_b64 s[0:1], vcc
	s_cbranch_execz .LBB105_192
; %bb.191:
	v_cvt_f64_i32_e32 v[13:14], v14
	v_add_co_u32_e32 v15, vcc, 0x2000, v3
	v_addc_co_u32_e32 v16, vcc, 0, v4, vcc
	global_store_dwordx2 v[15:16], v[13:14], off
.LBB105_192:
	s_or_b64 exec, exec, s[0:1]
	v_or_b32_e32 v13, 0x500, v0
	v_cmp_gt_u32_e32 vcc, s33, v13
	s_and_saveexec_b64 s[0:1], vcc
	s_cbranch_execz .LBB105_194
; %bb.193:
	s_waitcnt lgkmcnt(4)
	v_cvt_f64_i32_e32 v[13:14], v11
	v_add_co_u32_e32 v15, vcc, 0x2000, v3
	v_addc_co_u32_e32 v16, vcc, 0, v4, vcc
	global_store_dwordx2 v[15:16], v[13:14], off offset:2048
.LBB105_194:
	s_or_b64 exec, exec, s[0:1]
	s_waitcnt lgkmcnt(4)
	v_or_b32_e32 v11, 0x600, v0
	v_cmp_gt_u32_e32 vcc, s33, v11
	s_and_saveexec_b64 s[0:1], vcc
	s_cbranch_execz .LBB105_196
; %bb.195:
	v_cvt_f64_i32_e32 v[11:12], v12
	v_add_co_u32_e32 v13, vcc, 0x3000, v3
	v_addc_co_u32_e32 v14, vcc, 0, v4, vcc
	global_store_dwordx2 v[13:14], v[11:12], off
.LBB105_196:
	s_or_b64 exec, exec, s[0:1]
	v_or_b32_e32 v11, 0x700, v0
	v_cmp_gt_u32_e32 vcc, s33, v11
	s_and_saveexec_b64 s[0:1], vcc
	s_cbranch_execz .LBB105_198
; %bb.197:
	s_waitcnt lgkmcnt(3)
	v_cvt_f64_i32_e32 v[11:12], v9
	v_add_co_u32_e32 v13, vcc, 0x3000, v3
	v_addc_co_u32_e32 v14, vcc, 0, v4, vcc
	global_store_dwordx2 v[13:14], v[11:12], off offset:2048
.LBB105_198:
	s_or_b64 exec, exec, s[0:1]
	s_waitcnt lgkmcnt(3)
	v_or_b32_e32 v9, 0x800, v0
	v_cmp_gt_u32_e32 vcc, s33, v9
	s_and_saveexec_b64 s[0:1], vcc
	s_cbranch_execz .LBB105_200
; %bb.199:
	v_cvt_f64_i32_e32 v[9:10], v10
	v_add_co_u32_e32 v11, vcc, 0x4000, v3
	v_addc_co_u32_e32 v12, vcc, 0, v4, vcc
	global_store_dwordx2 v[11:12], v[9:10], off
.LBB105_200:
	s_or_b64 exec, exec, s[0:1]
	v_or_b32_e32 v9, 0x900, v0
	v_cmp_gt_u32_e32 vcc, s33, v9
	s_and_saveexec_b64 s[0:1], vcc
	s_cbranch_execz .LBB105_202
; %bb.201:
	s_waitcnt lgkmcnt(2)
	v_cvt_f64_i32_e32 v[9:10], v7
	v_add_co_u32_e32 v11, vcc, 0x4000, v3
	v_addc_co_u32_e32 v12, vcc, 0, v4, vcc
	global_store_dwordx2 v[11:12], v[9:10], off offset:2048
.LBB105_202:
	s_or_b64 exec, exec, s[0:1]
	s_waitcnt lgkmcnt(2)
	v_or_b32_e32 v7, 0xa00, v0
	v_cmp_gt_u32_e32 vcc, s33, v7
	s_and_saveexec_b64 s[0:1], vcc
	s_cbranch_execz .LBB105_204
; %bb.203:
	v_cvt_f64_i32_e32 v[7:8], v8
	v_add_co_u32_e32 v9, vcc, 0x5000, v3
	v_addc_co_u32_e32 v10, vcc, 0, v4, vcc
	global_store_dwordx2 v[9:10], v[7:8], off
.LBB105_204:
	s_or_b64 exec, exec, s[0:1]
	v_or_b32_e32 v7, 0xb00, v0
	v_cmp_gt_u32_e32 vcc, s33, v7
	s_and_saveexec_b64 s[0:1], vcc
	s_cbranch_execz .LBB105_206
; %bb.205:
	s_waitcnt lgkmcnt(1)
	v_cvt_f64_i32_e32 v[7:8], v5
	v_add_co_u32_e32 v9, vcc, 0x5000, v3
	v_addc_co_u32_e32 v10, vcc, 0, v4, vcc
	global_store_dwordx2 v[9:10], v[7:8], off offset:2048
.LBB105_206:
	s_or_b64 exec, exec, s[0:1]
	s_waitcnt lgkmcnt(1)
	v_or_b32_e32 v5, 0xc00, v0
	v_cmp_gt_u32_e32 vcc, s33, v5
	s_and_saveexec_b64 s[0:1], vcc
	s_cbranch_execz .LBB105_208
; %bb.207:
	v_cvt_f64_i32_e32 v[5:6], v6
	v_add_co_u32_e32 v7, vcc, 0x6000, v3
	v_addc_co_u32_e32 v8, vcc, 0, v4, vcc
	global_store_dwordx2 v[7:8], v[5:6], off
.LBB105_208:
	s_or_b64 exec, exec, s[0:1]
	v_or_b32_e32 v5, 0xd00, v0
	v_cmp_gt_u32_e32 vcc, s33, v5
	s_and_saveexec_b64 s[0:1], vcc
	s_cbranch_execz .LBB105_210
; %bb.209:
	s_waitcnt lgkmcnt(0)
	v_cvt_f64_i32_e32 v[5:6], v1
	v_add_co_u32_e32 v3, vcc, 0x6000, v3
	v_addc_co_u32_e32 v4, vcc, 0, v4, vcc
	global_store_dwordx2 v[3:4], v[5:6], off offset:2048
.LBB105_210:
	s_or_b64 exec, exec, s[0:1]
	s_waitcnt lgkmcnt(0)
	v_or_b32_e32 v1, 0xe00, v0
	v_cmp_gt_u32_e64 s[0:1], s33, v1
	s_branch .LBB105_213
.LBB105_211:
	s_mov_b64 s[0:1], 0
                                        ; implicit-def: $vgpr2
	s_cbranch_execz .LBB105_213
; %bb.212:
	v_mul_u32_u24_e32 v1, 60, v0
	s_waitcnt vmcnt(0)
	s_barrier
	ds_write2_b32 v1, v37, v38 offset1:1
	ds_write2_b32 v1, v39, v40 offset0:2 offset1:3
	ds_write2_b32 v1, v44, v45 offset0:4 offset1:5
	;; [unrolled: 1-line block ×6, first 2 shown]
	ds_write_b32 v1, v56 offset:56
	v_mul_i32_i24_e32 v1, 0xffffffc8, v0
	v_mad_u32_u24 v1, v0, 60, v1
	s_waitcnt lgkmcnt(0)
	s_barrier
	ds_read2st64_b32 v[3:4], v1 offset1:4
	ds_read2st64_b32 v[5:6], v1 offset0:8 offset1:12
	ds_read2st64_b32 v[7:8], v1 offset0:16 offset1:20
	;; [unrolled: 1-line block ×6, first 2 shown]
	ds_read_b32 v2, v1 offset:14336
	s_waitcnt lgkmcnt(7)
	v_cvt_f64_i32_e32 v[17:18], v3
	v_lshlrev_b32_e32 v1, 3, v0
	v_cvt_f64_i32_e32 v[3:4], v4
	v_mov_b32_e32 v19, s3
	v_add_co_u32_e32 v23, vcc, s2, v1
	v_addc_co_u32_e32 v24, vcc, 0, v19, vcc
	s_movk_i32 s4, 0x1000
	global_store_dwordx2 v1, v[17:18], s[2:3]
	global_store_dwordx2 v1, v[3:4], s[2:3] offset:2048
	s_waitcnt lgkmcnt(6)
	v_cvt_f64_i32_e32 v[3:4], v5
	v_add_co_u32_e32 v17, vcc, s4, v23
	v_addc_co_u32_e32 v18, vcc, 0, v24, vcc
	s_movk_i32 s4, 0x2000
	v_cvt_f64_i32_e32 v[5:6], v6
	v_add_co_u32_e32 v19, vcc, s4, v23
	s_waitcnt lgkmcnt(5)
	v_cvt_f64_i32_e32 v[21:22], v7
	v_addc_co_u32_e32 v20, vcc, 0, v24, vcc
	v_cvt_f64_i32_e32 v[7:8], v8
	s_movk_i32 s4, 0x3000
	global_store_dwordx2 v[19:20], v[3:4], off offset:-4096
	global_store_dwordx2 v[17:18], v[5:6], off offset:2048
	global_store_dwordx2 v[19:20], v[21:22], off
	global_store_dwordx2 v[19:20], v[7:8], off offset:2048
	s_waitcnt lgkmcnt(4)
	v_cvt_f64_i32_e32 v[3:4], v9
	v_add_co_u32_e32 v5, vcc, s4, v23
	v_addc_co_u32_e32 v6, vcc, 0, v24, vcc
	s_movk_i32 s4, 0x4000
	v_cvt_f64_i32_e32 v[9:10], v10
	v_add_co_u32_e32 v7, vcc, s4, v23
	s_waitcnt lgkmcnt(3)
	v_cvt_f64_i32_e32 v[17:18], v11
	v_addc_co_u32_e32 v8, vcc, 0, v24, vcc
	v_cvt_f64_i32_e32 v[11:12], v12
	global_store_dwordx2 v[7:8], v[3:4], off offset:-4096
	global_store_dwordx2 v[5:6], v[9:10], off offset:2048
	global_store_dwordx2 v[7:8], v[17:18], off
	global_store_dwordx2 v[7:8], v[11:12], off offset:2048
	s_waitcnt lgkmcnt(2)
	v_cvt_f64_i32_e32 v[3:4], v13
	s_movk_i32 s4, 0x5000
	v_cvt_f64_i32_e32 v[7:8], v14
	v_add_co_u32_e32 v5, vcc, s4, v23
	v_addc_co_u32_e32 v6, vcc, 0, v24, vcc
	global_store_dwordx2 v[5:6], v[3:4], off
	global_store_dwordx2 v[5:6], v[7:8], off offset:2048
	s_waitcnt lgkmcnt(1)
	v_cvt_f64_i32_e32 v[3:4], v15
	v_cvt_f64_i32_e32 v[7:8], v16
	v_add_co_u32_e32 v5, vcc, 0x6000, v23
	v_addc_co_u32_e32 v6, vcc, 0, v24, vcc
	s_or_b64 s[0:1], s[0:1], exec
	global_store_dwordx2 v[5:6], v[3:4], off
	global_store_dwordx2 v[5:6], v[7:8], off offset:2048
.LBB105_213:
	s_and_saveexec_b64 s[4:5], s[0:1]
	s_cbranch_execz .LBB105_215
; %bb.214:
	v_lshlrev_b32_e32 v0, 3, v0
	v_mov_b32_e32 v1, s3
	v_add_co_u32_e32 v3, vcc, s2, v0
	v_addc_co_u32_e32 v4, vcc, 0, v1, vcc
	s_waitcnt lgkmcnt(0)
	v_cvt_f64_i32_e32 v[0:1], v2
	v_add_co_u32_e32 v2, vcc, 0x7000, v3
	v_addc_co_u32_e32 v3, vcc, 0, v4, vcc
	global_store_dwordx2 v[2:3], v[0:1], off
	s_endpgm
.LBB105_215:
	s_endpgm
	.section	.rodata,"a",@progbits
	.p2align	6, 0x0
	.amdhsa_kernel _ZN7rocprim6detail25device_scan_by_key_kernelILNS0_25lookback_scan_determinismE0ELb1ENS0_26wrapped_scan_by_key_configINS_14default_configEiiEEPiN6hipcub22TransformInputIteratorIiNS7_6CastOpIiEES6_lEEPdiNS7_8EqualityENS7_3SumENS0_19lookback_scan_stateINS_5tupleIJibEEELb0ELb1EEEiEEvT2_T3_T4_T5_T6_T7_T8_mmmPKNSG_IJT9_bEEE
		.amdhsa_group_segment_fixed_size 17408
		.amdhsa_private_segment_fixed_size 0
		.amdhsa_kernarg_size 80
		.amdhsa_user_sgpr_count 6
		.amdhsa_user_sgpr_private_segment_buffer 1
		.amdhsa_user_sgpr_dispatch_ptr 0
		.amdhsa_user_sgpr_queue_ptr 0
		.amdhsa_user_sgpr_kernarg_segment_ptr 1
		.amdhsa_user_sgpr_dispatch_id 0
		.amdhsa_user_sgpr_flat_scratch_init 0
		.amdhsa_user_sgpr_private_segment_size 0
		.amdhsa_uses_dynamic_stack 0
		.amdhsa_system_sgpr_private_segment_wavefront_offset 0
		.amdhsa_system_sgpr_workgroup_id_x 1
		.amdhsa_system_sgpr_workgroup_id_y 0
		.amdhsa_system_sgpr_workgroup_id_z 0
		.amdhsa_system_sgpr_workgroup_info 0
		.amdhsa_system_vgpr_workitem_id 0
		.amdhsa_next_free_vgpr 75
		.amdhsa_next_free_sgpr 98
		.amdhsa_reserve_vcc 1
		.amdhsa_reserve_flat_scratch 0
		.amdhsa_float_round_mode_32 0
		.amdhsa_float_round_mode_16_64 0
		.amdhsa_float_denorm_mode_32 3
		.amdhsa_float_denorm_mode_16_64 3
		.amdhsa_dx10_clamp 1
		.amdhsa_ieee_mode 1
		.amdhsa_fp16_overflow 0
		.amdhsa_exception_fp_ieee_invalid_op 0
		.amdhsa_exception_fp_denorm_src 0
		.amdhsa_exception_fp_ieee_div_zero 0
		.amdhsa_exception_fp_ieee_overflow 0
		.amdhsa_exception_fp_ieee_underflow 0
		.amdhsa_exception_fp_ieee_inexact 0
		.amdhsa_exception_int_div_zero 0
	.end_amdhsa_kernel
	.section	.text._ZN7rocprim6detail25device_scan_by_key_kernelILNS0_25lookback_scan_determinismE0ELb1ENS0_26wrapped_scan_by_key_configINS_14default_configEiiEEPiN6hipcub22TransformInputIteratorIiNS7_6CastOpIiEES6_lEEPdiNS7_8EqualityENS7_3SumENS0_19lookback_scan_stateINS_5tupleIJibEEELb0ELb1EEEiEEvT2_T3_T4_T5_T6_T7_T8_mmmPKNSG_IJT9_bEEE,"axG",@progbits,_ZN7rocprim6detail25device_scan_by_key_kernelILNS0_25lookback_scan_determinismE0ELb1ENS0_26wrapped_scan_by_key_configINS_14default_configEiiEEPiN6hipcub22TransformInputIteratorIiNS7_6CastOpIiEES6_lEEPdiNS7_8EqualityENS7_3SumENS0_19lookback_scan_stateINS_5tupleIJibEEELb0ELb1EEEiEEvT2_T3_T4_T5_T6_T7_T8_mmmPKNSG_IJT9_bEEE,comdat
.Lfunc_end105:
	.size	_ZN7rocprim6detail25device_scan_by_key_kernelILNS0_25lookback_scan_determinismE0ELb1ENS0_26wrapped_scan_by_key_configINS_14default_configEiiEEPiN6hipcub22TransformInputIteratorIiNS7_6CastOpIiEES6_lEEPdiNS7_8EqualityENS7_3SumENS0_19lookback_scan_stateINS_5tupleIJibEEELb0ELb1EEEiEEvT2_T3_T4_T5_T6_T7_T8_mmmPKNSG_IJT9_bEEE, .Lfunc_end105-_ZN7rocprim6detail25device_scan_by_key_kernelILNS0_25lookback_scan_determinismE0ELb1ENS0_26wrapped_scan_by_key_configINS_14default_configEiiEEPiN6hipcub22TransformInputIteratorIiNS7_6CastOpIiEES6_lEEPdiNS7_8EqualityENS7_3SumENS0_19lookback_scan_stateINS_5tupleIJibEEELb0ELb1EEEiEEvT2_T3_T4_T5_T6_T7_T8_mmmPKNSG_IJT9_bEEE
                                        ; -- End function
	.set _ZN7rocprim6detail25device_scan_by_key_kernelILNS0_25lookback_scan_determinismE0ELb1ENS0_26wrapped_scan_by_key_configINS_14default_configEiiEEPiN6hipcub22TransformInputIteratorIiNS7_6CastOpIiEES6_lEEPdiNS7_8EqualityENS7_3SumENS0_19lookback_scan_stateINS_5tupleIJibEEELb0ELb1EEEiEEvT2_T3_T4_T5_T6_T7_T8_mmmPKNSG_IJT9_bEEE.num_vgpr, 75
	.set _ZN7rocprim6detail25device_scan_by_key_kernelILNS0_25lookback_scan_determinismE0ELb1ENS0_26wrapped_scan_by_key_configINS_14default_configEiiEEPiN6hipcub22TransformInputIteratorIiNS7_6CastOpIiEES6_lEEPdiNS7_8EqualityENS7_3SumENS0_19lookback_scan_stateINS_5tupleIJibEEELb0ELb1EEEiEEvT2_T3_T4_T5_T6_T7_T8_mmmPKNSG_IJT9_bEEE.num_agpr, 0
	.set _ZN7rocprim6detail25device_scan_by_key_kernelILNS0_25lookback_scan_determinismE0ELb1ENS0_26wrapped_scan_by_key_configINS_14default_configEiiEEPiN6hipcub22TransformInputIteratorIiNS7_6CastOpIiEES6_lEEPdiNS7_8EqualityENS7_3SumENS0_19lookback_scan_stateINS_5tupleIJibEEELb0ELb1EEEiEEvT2_T3_T4_T5_T6_T7_T8_mmmPKNSG_IJT9_bEEE.numbered_sgpr, 57
	.set _ZN7rocprim6detail25device_scan_by_key_kernelILNS0_25lookback_scan_determinismE0ELb1ENS0_26wrapped_scan_by_key_configINS_14default_configEiiEEPiN6hipcub22TransformInputIteratorIiNS7_6CastOpIiEES6_lEEPdiNS7_8EqualityENS7_3SumENS0_19lookback_scan_stateINS_5tupleIJibEEELb0ELb1EEEiEEvT2_T3_T4_T5_T6_T7_T8_mmmPKNSG_IJT9_bEEE.num_named_barrier, 0
	.set _ZN7rocprim6detail25device_scan_by_key_kernelILNS0_25lookback_scan_determinismE0ELb1ENS0_26wrapped_scan_by_key_configINS_14default_configEiiEEPiN6hipcub22TransformInputIteratorIiNS7_6CastOpIiEES6_lEEPdiNS7_8EqualityENS7_3SumENS0_19lookback_scan_stateINS_5tupleIJibEEELb0ELb1EEEiEEvT2_T3_T4_T5_T6_T7_T8_mmmPKNSG_IJT9_bEEE.private_seg_size, 0
	.set _ZN7rocprim6detail25device_scan_by_key_kernelILNS0_25lookback_scan_determinismE0ELb1ENS0_26wrapped_scan_by_key_configINS_14default_configEiiEEPiN6hipcub22TransformInputIteratorIiNS7_6CastOpIiEES6_lEEPdiNS7_8EqualityENS7_3SumENS0_19lookback_scan_stateINS_5tupleIJibEEELb0ELb1EEEiEEvT2_T3_T4_T5_T6_T7_T8_mmmPKNSG_IJT9_bEEE.uses_vcc, 1
	.set _ZN7rocprim6detail25device_scan_by_key_kernelILNS0_25lookback_scan_determinismE0ELb1ENS0_26wrapped_scan_by_key_configINS_14default_configEiiEEPiN6hipcub22TransformInputIteratorIiNS7_6CastOpIiEES6_lEEPdiNS7_8EqualityENS7_3SumENS0_19lookback_scan_stateINS_5tupleIJibEEELb0ELb1EEEiEEvT2_T3_T4_T5_T6_T7_T8_mmmPKNSG_IJT9_bEEE.uses_flat_scratch, 0
	.set _ZN7rocprim6detail25device_scan_by_key_kernelILNS0_25lookback_scan_determinismE0ELb1ENS0_26wrapped_scan_by_key_configINS_14default_configEiiEEPiN6hipcub22TransformInputIteratorIiNS7_6CastOpIiEES6_lEEPdiNS7_8EqualityENS7_3SumENS0_19lookback_scan_stateINS_5tupleIJibEEELb0ELb1EEEiEEvT2_T3_T4_T5_T6_T7_T8_mmmPKNSG_IJT9_bEEE.has_dyn_sized_stack, 0
	.set _ZN7rocprim6detail25device_scan_by_key_kernelILNS0_25lookback_scan_determinismE0ELb1ENS0_26wrapped_scan_by_key_configINS_14default_configEiiEEPiN6hipcub22TransformInputIteratorIiNS7_6CastOpIiEES6_lEEPdiNS7_8EqualityENS7_3SumENS0_19lookback_scan_stateINS_5tupleIJibEEELb0ELb1EEEiEEvT2_T3_T4_T5_T6_T7_T8_mmmPKNSG_IJT9_bEEE.has_recursion, 0
	.set _ZN7rocprim6detail25device_scan_by_key_kernelILNS0_25lookback_scan_determinismE0ELb1ENS0_26wrapped_scan_by_key_configINS_14default_configEiiEEPiN6hipcub22TransformInputIteratorIiNS7_6CastOpIiEES6_lEEPdiNS7_8EqualityENS7_3SumENS0_19lookback_scan_stateINS_5tupleIJibEEELb0ELb1EEEiEEvT2_T3_T4_T5_T6_T7_T8_mmmPKNSG_IJT9_bEEE.has_indirect_call, 0
	.section	.AMDGPU.csdata,"",@progbits
; Kernel info:
; codeLenInByte = 12864
; TotalNumSgprs: 61
; NumVgprs: 75
; ScratchSize: 0
; MemoryBound: 0
; FloatMode: 240
; IeeeMode: 1
; LDSByteSize: 17408 bytes/workgroup (compile time only)
; SGPRBlocks: 12
; VGPRBlocks: 18
; NumSGPRsForWavesPerEU: 102
; NumVGPRsForWavesPerEU: 75
; Occupancy: 3
; WaveLimiterHint : 1
; COMPUTE_PGM_RSRC2:SCRATCH_EN: 0
; COMPUTE_PGM_RSRC2:USER_SGPR: 6
; COMPUTE_PGM_RSRC2:TRAP_HANDLER: 0
; COMPUTE_PGM_RSRC2:TGID_X_EN: 1
; COMPUTE_PGM_RSRC2:TGID_Y_EN: 0
; COMPUTE_PGM_RSRC2:TGID_Z_EN: 0
; COMPUTE_PGM_RSRC2:TIDIG_COMP_CNT: 0
	.section	.text._ZN7rocprim6detail25device_scan_by_key_kernelILNS0_25lookback_scan_determinismE0ELb1ENS0_26wrapped_scan_by_key_configINS_14default_configEiiEEPiN6hipcub22TransformInputIteratorIsNS7_6CastOpIsEEPslEEPfsNS7_8EqualityENS7_3SumENS0_19lookback_scan_stateINS_5tupleIJibEEELb1ELb1EEEiEEvT2_T3_T4_T5_T6_T7_T8_mmmPKNSH_IJT9_bEEE,"axG",@progbits,_ZN7rocprim6detail25device_scan_by_key_kernelILNS0_25lookback_scan_determinismE0ELb1ENS0_26wrapped_scan_by_key_configINS_14default_configEiiEEPiN6hipcub22TransformInputIteratorIsNS7_6CastOpIsEEPslEEPfsNS7_8EqualityENS7_3SumENS0_19lookback_scan_stateINS_5tupleIJibEEELb1ELb1EEEiEEvT2_T3_T4_T5_T6_T7_T8_mmmPKNSH_IJT9_bEEE,comdat
	.protected	_ZN7rocprim6detail25device_scan_by_key_kernelILNS0_25lookback_scan_determinismE0ELb1ENS0_26wrapped_scan_by_key_configINS_14default_configEiiEEPiN6hipcub22TransformInputIteratorIsNS7_6CastOpIsEEPslEEPfsNS7_8EqualityENS7_3SumENS0_19lookback_scan_stateINS_5tupleIJibEEELb1ELb1EEEiEEvT2_T3_T4_T5_T6_T7_T8_mmmPKNSH_IJT9_bEEE ; -- Begin function _ZN7rocprim6detail25device_scan_by_key_kernelILNS0_25lookback_scan_determinismE0ELb1ENS0_26wrapped_scan_by_key_configINS_14default_configEiiEEPiN6hipcub22TransformInputIteratorIsNS7_6CastOpIsEEPslEEPfsNS7_8EqualityENS7_3SumENS0_19lookback_scan_stateINS_5tupleIJibEEELb1ELb1EEEiEEvT2_T3_T4_T5_T6_T7_T8_mmmPKNSH_IJT9_bEEE
	.globl	_ZN7rocprim6detail25device_scan_by_key_kernelILNS0_25lookback_scan_determinismE0ELb1ENS0_26wrapped_scan_by_key_configINS_14default_configEiiEEPiN6hipcub22TransformInputIteratorIsNS7_6CastOpIsEEPslEEPfsNS7_8EqualityENS7_3SumENS0_19lookback_scan_stateINS_5tupleIJibEEELb1ELb1EEEiEEvT2_T3_T4_T5_T6_T7_T8_mmmPKNSH_IJT9_bEEE
	.p2align	8
	.type	_ZN7rocprim6detail25device_scan_by_key_kernelILNS0_25lookback_scan_determinismE0ELb1ENS0_26wrapped_scan_by_key_configINS_14default_configEiiEEPiN6hipcub22TransformInputIteratorIsNS7_6CastOpIsEEPslEEPfsNS7_8EqualityENS7_3SumENS0_19lookback_scan_stateINS_5tupleIJibEEELb1ELb1EEEiEEvT2_T3_T4_T5_T6_T7_T8_mmmPKNSH_IJT9_bEEE,@function
_ZN7rocprim6detail25device_scan_by_key_kernelILNS0_25lookback_scan_determinismE0ELb1ENS0_26wrapped_scan_by_key_configINS_14default_configEiiEEPiN6hipcub22TransformInputIteratorIsNS7_6CastOpIsEEPslEEPfsNS7_8EqualityENS7_3SumENS0_19lookback_scan_stateINS_5tupleIJibEEELb1ELb1EEEiEEvT2_T3_T4_T5_T6_T7_T8_mmmPKNSH_IJT9_bEEE: ; @_ZN7rocprim6detail25device_scan_by_key_kernelILNS0_25lookback_scan_determinismE0ELb1ENS0_26wrapped_scan_by_key_configINS_14default_configEiiEEPiN6hipcub22TransformInputIteratorIsNS7_6CastOpIsEEPslEEPfsNS7_8EqualityENS7_3SumENS0_19lookback_scan_stateINS_5tupleIJibEEELb1ELb1EEEiEEvT2_T3_T4_T5_T6_T7_T8_mmmPKNSH_IJT9_bEEE
; %bb.0:
	s_endpgm
	.section	.rodata,"a",@progbits
	.p2align	6, 0x0
	.amdhsa_kernel _ZN7rocprim6detail25device_scan_by_key_kernelILNS0_25lookback_scan_determinismE0ELb1ENS0_26wrapped_scan_by_key_configINS_14default_configEiiEEPiN6hipcub22TransformInputIteratorIsNS7_6CastOpIsEEPslEEPfsNS7_8EqualityENS7_3SumENS0_19lookback_scan_stateINS_5tupleIJibEEELb1ELb1EEEiEEvT2_T3_T4_T5_T6_T7_T8_mmmPKNSH_IJT9_bEEE
		.amdhsa_group_segment_fixed_size 0
		.amdhsa_private_segment_fixed_size 0
		.amdhsa_kernarg_size 80
		.amdhsa_user_sgpr_count 6
		.amdhsa_user_sgpr_private_segment_buffer 1
		.amdhsa_user_sgpr_dispatch_ptr 0
		.amdhsa_user_sgpr_queue_ptr 0
		.amdhsa_user_sgpr_kernarg_segment_ptr 1
		.amdhsa_user_sgpr_dispatch_id 0
		.amdhsa_user_sgpr_flat_scratch_init 0
		.amdhsa_user_sgpr_private_segment_size 0
		.amdhsa_uses_dynamic_stack 0
		.amdhsa_system_sgpr_private_segment_wavefront_offset 0
		.amdhsa_system_sgpr_workgroup_id_x 1
		.amdhsa_system_sgpr_workgroup_id_y 0
		.amdhsa_system_sgpr_workgroup_id_z 0
		.amdhsa_system_sgpr_workgroup_info 0
		.amdhsa_system_vgpr_workitem_id 0
		.amdhsa_next_free_vgpr 1
		.amdhsa_next_free_sgpr 0
		.amdhsa_reserve_vcc 0
		.amdhsa_reserve_flat_scratch 0
		.amdhsa_float_round_mode_32 0
		.amdhsa_float_round_mode_16_64 0
		.amdhsa_float_denorm_mode_32 3
		.amdhsa_float_denorm_mode_16_64 3
		.amdhsa_dx10_clamp 1
		.amdhsa_ieee_mode 1
		.amdhsa_fp16_overflow 0
		.amdhsa_exception_fp_ieee_invalid_op 0
		.amdhsa_exception_fp_denorm_src 0
		.amdhsa_exception_fp_ieee_div_zero 0
		.amdhsa_exception_fp_ieee_overflow 0
		.amdhsa_exception_fp_ieee_underflow 0
		.amdhsa_exception_fp_ieee_inexact 0
		.amdhsa_exception_int_div_zero 0
	.end_amdhsa_kernel
	.section	.text._ZN7rocprim6detail25device_scan_by_key_kernelILNS0_25lookback_scan_determinismE0ELb1ENS0_26wrapped_scan_by_key_configINS_14default_configEiiEEPiN6hipcub22TransformInputIteratorIsNS7_6CastOpIsEEPslEEPfsNS7_8EqualityENS7_3SumENS0_19lookback_scan_stateINS_5tupleIJibEEELb1ELb1EEEiEEvT2_T3_T4_T5_T6_T7_T8_mmmPKNSH_IJT9_bEEE,"axG",@progbits,_ZN7rocprim6detail25device_scan_by_key_kernelILNS0_25lookback_scan_determinismE0ELb1ENS0_26wrapped_scan_by_key_configINS_14default_configEiiEEPiN6hipcub22TransformInputIteratorIsNS7_6CastOpIsEEPslEEPfsNS7_8EqualityENS7_3SumENS0_19lookback_scan_stateINS_5tupleIJibEEELb1ELb1EEEiEEvT2_T3_T4_T5_T6_T7_T8_mmmPKNSH_IJT9_bEEE,comdat
.Lfunc_end106:
	.size	_ZN7rocprim6detail25device_scan_by_key_kernelILNS0_25lookback_scan_determinismE0ELb1ENS0_26wrapped_scan_by_key_configINS_14default_configEiiEEPiN6hipcub22TransformInputIteratorIsNS7_6CastOpIsEEPslEEPfsNS7_8EqualityENS7_3SumENS0_19lookback_scan_stateINS_5tupleIJibEEELb1ELb1EEEiEEvT2_T3_T4_T5_T6_T7_T8_mmmPKNSH_IJT9_bEEE, .Lfunc_end106-_ZN7rocprim6detail25device_scan_by_key_kernelILNS0_25lookback_scan_determinismE0ELb1ENS0_26wrapped_scan_by_key_configINS_14default_configEiiEEPiN6hipcub22TransformInputIteratorIsNS7_6CastOpIsEEPslEEPfsNS7_8EqualityENS7_3SumENS0_19lookback_scan_stateINS_5tupleIJibEEELb1ELb1EEEiEEvT2_T3_T4_T5_T6_T7_T8_mmmPKNSH_IJT9_bEEE
                                        ; -- End function
	.set _ZN7rocprim6detail25device_scan_by_key_kernelILNS0_25lookback_scan_determinismE0ELb1ENS0_26wrapped_scan_by_key_configINS_14default_configEiiEEPiN6hipcub22TransformInputIteratorIsNS7_6CastOpIsEEPslEEPfsNS7_8EqualityENS7_3SumENS0_19lookback_scan_stateINS_5tupleIJibEEELb1ELb1EEEiEEvT2_T3_T4_T5_T6_T7_T8_mmmPKNSH_IJT9_bEEE.num_vgpr, 0
	.set _ZN7rocprim6detail25device_scan_by_key_kernelILNS0_25lookback_scan_determinismE0ELb1ENS0_26wrapped_scan_by_key_configINS_14default_configEiiEEPiN6hipcub22TransformInputIteratorIsNS7_6CastOpIsEEPslEEPfsNS7_8EqualityENS7_3SumENS0_19lookback_scan_stateINS_5tupleIJibEEELb1ELb1EEEiEEvT2_T3_T4_T5_T6_T7_T8_mmmPKNSH_IJT9_bEEE.num_agpr, 0
	.set _ZN7rocprim6detail25device_scan_by_key_kernelILNS0_25lookback_scan_determinismE0ELb1ENS0_26wrapped_scan_by_key_configINS_14default_configEiiEEPiN6hipcub22TransformInputIteratorIsNS7_6CastOpIsEEPslEEPfsNS7_8EqualityENS7_3SumENS0_19lookback_scan_stateINS_5tupleIJibEEELb1ELb1EEEiEEvT2_T3_T4_T5_T6_T7_T8_mmmPKNSH_IJT9_bEEE.numbered_sgpr, 0
	.set _ZN7rocprim6detail25device_scan_by_key_kernelILNS0_25lookback_scan_determinismE0ELb1ENS0_26wrapped_scan_by_key_configINS_14default_configEiiEEPiN6hipcub22TransformInputIteratorIsNS7_6CastOpIsEEPslEEPfsNS7_8EqualityENS7_3SumENS0_19lookback_scan_stateINS_5tupleIJibEEELb1ELb1EEEiEEvT2_T3_T4_T5_T6_T7_T8_mmmPKNSH_IJT9_bEEE.num_named_barrier, 0
	.set _ZN7rocprim6detail25device_scan_by_key_kernelILNS0_25lookback_scan_determinismE0ELb1ENS0_26wrapped_scan_by_key_configINS_14default_configEiiEEPiN6hipcub22TransformInputIteratorIsNS7_6CastOpIsEEPslEEPfsNS7_8EqualityENS7_3SumENS0_19lookback_scan_stateINS_5tupleIJibEEELb1ELb1EEEiEEvT2_T3_T4_T5_T6_T7_T8_mmmPKNSH_IJT9_bEEE.private_seg_size, 0
	.set _ZN7rocprim6detail25device_scan_by_key_kernelILNS0_25lookback_scan_determinismE0ELb1ENS0_26wrapped_scan_by_key_configINS_14default_configEiiEEPiN6hipcub22TransformInputIteratorIsNS7_6CastOpIsEEPslEEPfsNS7_8EqualityENS7_3SumENS0_19lookback_scan_stateINS_5tupleIJibEEELb1ELb1EEEiEEvT2_T3_T4_T5_T6_T7_T8_mmmPKNSH_IJT9_bEEE.uses_vcc, 0
	.set _ZN7rocprim6detail25device_scan_by_key_kernelILNS0_25lookback_scan_determinismE0ELb1ENS0_26wrapped_scan_by_key_configINS_14default_configEiiEEPiN6hipcub22TransformInputIteratorIsNS7_6CastOpIsEEPslEEPfsNS7_8EqualityENS7_3SumENS0_19lookback_scan_stateINS_5tupleIJibEEELb1ELb1EEEiEEvT2_T3_T4_T5_T6_T7_T8_mmmPKNSH_IJT9_bEEE.uses_flat_scratch, 0
	.set _ZN7rocprim6detail25device_scan_by_key_kernelILNS0_25lookback_scan_determinismE0ELb1ENS0_26wrapped_scan_by_key_configINS_14default_configEiiEEPiN6hipcub22TransformInputIteratorIsNS7_6CastOpIsEEPslEEPfsNS7_8EqualityENS7_3SumENS0_19lookback_scan_stateINS_5tupleIJibEEELb1ELb1EEEiEEvT2_T3_T4_T5_T6_T7_T8_mmmPKNSH_IJT9_bEEE.has_dyn_sized_stack, 0
	.set _ZN7rocprim6detail25device_scan_by_key_kernelILNS0_25lookback_scan_determinismE0ELb1ENS0_26wrapped_scan_by_key_configINS_14default_configEiiEEPiN6hipcub22TransformInputIteratorIsNS7_6CastOpIsEEPslEEPfsNS7_8EqualityENS7_3SumENS0_19lookback_scan_stateINS_5tupleIJibEEELb1ELb1EEEiEEvT2_T3_T4_T5_T6_T7_T8_mmmPKNSH_IJT9_bEEE.has_recursion, 0
	.set _ZN7rocprim6detail25device_scan_by_key_kernelILNS0_25lookback_scan_determinismE0ELb1ENS0_26wrapped_scan_by_key_configINS_14default_configEiiEEPiN6hipcub22TransformInputIteratorIsNS7_6CastOpIsEEPslEEPfsNS7_8EqualityENS7_3SumENS0_19lookback_scan_stateINS_5tupleIJibEEELb1ELb1EEEiEEvT2_T3_T4_T5_T6_T7_T8_mmmPKNSH_IJT9_bEEE.has_indirect_call, 0
	.section	.AMDGPU.csdata,"",@progbits
; Kernel info:
; codeLenInByte = 4
; TotalNumSgprs: 4
; NumVgprs: 0
; ScratchSize: 0
; MemoryBound: 0
; FloatMode: 240
; IeeeMode: 1
; LDSByteSize: 0 bytes/workgroup (compile time only)
; SGPRBlocks: 0
; VGPRBlocks: 0
; NumSGPRsForWavesPerEU: 4
; NumVGPRsForWavesPerEU: 1
; Occupancy: 10
; WaveLimiterHint : 0
; COMPUTE_PGM_RSRC2:SCRATCH_EN: 0
; COMPUTE_PGM_RSRC2:USER_SGPR: 6
; COMPUTE_PGM_RSRC2:TRAP_HANDLER: 0
; COMPUTE_PGM_RSRC2:TGID_X_EN: 1
; COMPUTE_PGM_RSRC2:TGID_Y_EN: 0
; COMPUTE_PGM_RSRC2:TGID_Z_EN: 0
; COMPUTE_PGM_RSRC2:TIDIG_COMP_CNT: 0
	.section	.text._ZN7rocprim6detail25device_scan_by_key_kernelILNS0_25lookback_scan_determinismE0ELb1ENS0_26wrapped_scan_by_key_configINS_14default_configEiiEEPiN6hipcub22TransformInputIteratorIsNS7_6CastOpIsEEPslEEPfsNS7_8EqualityENS7_3SumENS0_19lookback_scan_stateINS_5tupleIJibEEELb0ELb1EEEiEEvT2_T3_T4_T5_T6_T7_T8_mmmPKNSH_IJT9_bEEE,"axG",@progbits,_ZN7rocprim6detail25device_scan_by_key_kernelILNS0_25lookback_scan_determinismE0ELb1ENS0_26wrapped_scan_by_key_configINS_14default_configEiiEEPiN6hipcub22TransformInputIteratorIsNS7_6CastOpIsEEPslEEPfsNS7_8EqualityENS7_3SumENS0_19lookback_scan_stateINS_5tupleIJibEEELb0ELb1EEEiEEvT2_T3_T4_T5_T6_T7_T8_mmmPKNSH_IJT9_bEEE,comdat
	.protected	_ZN7rocprim6detail25device_scan_by_key_kernelILNS0_25lookback_scan_determinismE0ELb1ENS0_26wrapped_scan_by_key_configINS_14default_configEiiEEPiN6hipcub22TransformInputIteratorIsNS7_6CastOpIsEEPslEEPfsNS7_8EqualityENS7_3SumENS0_19lookback_scan_stateINS_5tupleIJibEEELb0ELb1EEEiEEvT2_T3_T4_T5_T6_T7_T8_mmmPKNSH_IJT9_bEEE ; -- Begin function _ZN7rocprim6detail25device_scan_by_key_kernelILNS0_25lookback_scan_determinismE0ELb1ENS0_26wrapped_scan_by_key_configINS_14default_configEiiEEPiN6hipcub22TransformInputIteratorIsNS7_6CastOpIsEEPslEEPfsNS7_8EqualityENS7_3SumENS0_19lookback_scan_stateINS_5tupleIJibEEELb0ELb1EEEiEEvT2_T3_T4_T5_T6_T7_T8_mmmPKNSH_IJT9_bEEE
	.globl	_ZN7rocprim6detail25device_scan_by_key_kernelILNS0_25lookback_scan_determinismE0ELb1ENS0_26wrapped_scan_by_key_configINS_14default_configEiiEEPiN6hipcub22TransformInputIteratorIsNS7_6CastOpIsEEPslEEPfsNS7_8EqualityENS7_3SumENS0_19lookback_scan_stateINS_5tupleIJibEEELb0ELb1EEEiEEvT2_T3_T4_T5_T6_T7_T8_mmmPKNSH_IJT9_bEEE
	.p2align	8
	.type	_ZN7rocprim6detail25device_scan_by_key_kernelILNS0_25lookback_scan_determinismE0ELb1ENS0_26wrapped_scan_by_key_configINS_14default_configEiiEEPiN6hipcub22TransformInputIteratorIsNS7_6CastOpIsEEPslEEPfsNS7_8EqualityENS7_3SumENS0_19lookback_scan_stateINS_5tupleIJibEEELb0ELb1EEEiEEvT2_T3_T4_T5_T6_T7_T8_mmmPKNSH_IJT9_bEEE,@function
_ZN7rocprim6detail25device_scan_by_key_kernelILNS0_25lookback_scan_determinismE0ELb1ENS0_26wrapped_scan_by_key_configINS_14default_configEiiEEPiN6hipcub22TransformInputIteratorIsNS7_6CastOpIsEEPslEEPfsNS7_8EqualityENS7_3SumENS0_19lookback_scan_stateINS_5tupleIJibEEELb0ELb1EEEiEEvT2_T3_T4_T5_T6_T7_T8_mmmPKNSH_IJT9_bEEE: ; @_ZN7rocprim6detail25device_scan_by_key_kernelILNS0_25lookback_scan_determinismE0ELb1ENS0_26wrapped_scan_by_key_configINS_14default_configEiiEEPiN6hipcub22TransformInputIteratorIsNS7_6CastOpIsEEPslEEPfsNS7_8EqualityENS7_3SumENS0_19lookback_scan_stateINS_5tupleIJibEEELb0ELb1EEEiEEvT2_T3_T4_T5_T6_T7_T8_mmmPKNSH_IJT9_bEEE
; %bb.0:
	s_load_dword s7, s[4:5], 0x20
	s_load_dwordx4 s[0:3], s[4:5], 0x0
	s_load_dwordx8 s[44:51], s[4:5], 0x28
	s_load_dwordx2 s[54:55], s[4:5], 0x48
	s_mul_i32 s8, s6, 0xf00
	s_mov_b32 s9, 0
	s_lshl_b64 s[52:53], s[8:9], 2
	s_waitcnt lgkmcnt(0)
	s_add_u32 s40, s0, s52
	s_addc_u32 s41, s1, s53
	s_lshl_b64 s[0:1], s[8:9], 1
	s_add_u32 s38, s2, s0
	s_addc_u32 s39, s3, s1
	s_add_u32 s0, s48, s6
	s_addc_u32 s1, s49, 0
	s_add_u32 s8, s50, -1
	s_addc_u32 s9, s51, -1
	v_mov_b32_e32 v1, s8
	v_mov_b32_e32 v2, s9
	v_cmp_ge_u64_e64 s[0:1], s[0:1], v[1:2]
	s_sext_i32_i16 s47, s7
	s_mov_b64 s[2:3], -1
	s_and_b64 vcc, exec, s[0:1]
	s_mul_i32 s33, s8, 0xfffff100
	v_lshlrev_b32_e32 v70, 2, v0
	s_cbranch_vccz .LBB107_80
; %bb.1:
	s_load_dword s42, s[40:41], 0x0
	s_add_i32 s7, s33, s46
	v_mov_b32_e32 v2, s41
	v_add_co_u32_e32 v1, vcc, s40, v70
	v_addc_co_u32_e32 v2, vcc, 0, v2, vcc
	v_cmp_gt_u32_e64 s[2:3], s7, v0
	s_waitcnt lgkmcnt(0)
	v_mov_b32_e32 v3, s42
	s_and_saveexec_b64 s[8:9], s[2:3]
	s_cbranch_execz .LBB107_3
; %bb.2:
	global_load_dword v3, v[1:2], off
.LBB107_3:
	s_or_b64 exec, exec, s[8:9]
	v_or_b32_e32 v4, 0x100, v0
	v_cmp_gt_u32_e64 s[36:37], s7, v4
	v_mov_b32_e32 v4, s42
	s_and_saveexec_b64 s[8:9], s[36:37]
	s_cbranch_execz .LBB107_5
; %bb.4:
	global_load_dword v4, v[1:2], off offset:1024
.LBB107_5:
	s_or_b64 exec, exec, s[8:9]
	v_or_b32_e32 v5, 0x200, v0
	v_cmp_gt_u32_e64 s[8:9], s7, v5
	v_mov_b32_e32 v5, s42
	s_and_saveexec_b64 s[10:11], s[8:9]
	s_cbranch_execz .LBB107_7
; %bb.6:
	global_load_dword v5, v[1:2], off offset:2048
.LBB107_7:
	;; [unrolled: 9-line block ×3, first 2 shown]
	s_or_b64 exec, exec, s[12:13]
	v_or_b32_e32 v7, 0x400, v0
	v_cmp_gt_u32_e64 s[12:13], s7, v7
	v_mov_b32_e32 v7, s42
	s_and_saveexec_b64 s[14:15], s[12:13]
	s_cbranch_execz .LBB107_11
; %bb.10:
	v_add_co_u32_e32 v7, vcc, 0x1000, v1
	v_addc_co_u32_e32 v8, vcc, 0, v2, vcc
	global_load_dword v7, v[7:8], off
.LBB107_11:
	s_or_b64 exec, exec, s[14:15]
	v_or_b32_e32 v8, 0x500, v0
	v_cmp_gt_u32_e64 s[14:15], s7, v8
	v_mov_b32_e32 v8, s42
	s_and_saveexec_b64 s[16:17], s[14:15]
	s_cbranch_execz .LBB107_13
; %bb.12:
	v_add_co_u32_e32 v8, vcc, 0x1000, v1
	v_addc_co_u32_e32 v9, vcc, 0, v2, vcc
	global_load_dword v8, v[8:9], off offset:1024
.LBB107_13:
	s_or_b64 exec, exec, s[16:17]
	v_or_b32_e32 v9, 0x600, v0
	v_cmp_gt_u32_e64 s[16:17], s7, v9
	v_mov_b32_e32 v9, s42
	s_and_saveexec_b64 s[18:19], s[16:17]
	s_cbranch_execz .LBB107_15
; %bb.14:
	v_add_co_u32_e32 v9, vcc, 0x1000, v1
	v_addc_co_u32_e32 v10, vcc, 0, v2, vcc
	global_load_dword v9, v[9:10], off offset:2048
.LBB107_15:
	;; [unrolled: 11-line block ×3, first 2 shown]
	s_or_b64 exec, exec, s[20:21]
	v_or_b32_e32 v11, 0x800, v0
	v_cmp_gt_u32_e64 s[20:21], s7, v11
	v_mov_b32_e32 v11, s42
	s_and_saveexec_b64 s[22:23], s[20:21]
	s_cbranch_execz .LBB107_19
; %bb.18:
	v_add_co_u32_e32 v11, vcc, 0x2000, v1
	v_addc_co_u32_e32 v12, vcc, 0, v2, vcc
	global_load_dword v11, v[11:12], off
.LBB107_19:
	s_or_b64 exec, exec, s[22:23]
	v_or_b32_e32 v12, 0x900, v0
	v_cmp_gt_u32_e64 s[22:23], s7, v12
	v_mov_b32_e32 v12, s42
	s_and_saveexec_b64 s[24:25], s[22:23]
	s_cbranch_execz .LBB107_21
; %bb.20:
	v_add_co_u32_e32 v12, vcc, 0x2000, v1
	v_addc_co_u32_e32 v13, vcc, 0, v2, vcc
	global_load_dword v12, v[12:13], off offset:1024
.LBB107_21:
	s_or_b64 exec, exec, s[24:25]
	v_or_b32_e32 v13, 0xa00, v0
	v_cmp_gt_u32_e64 s[24:25], s7, v13
	v_mov_b32_e32 v13, s42
	s_and_saveexec_b64 s[26:27], s[24:25]
	s_cbranch_execz .LBB107_23
; %bb.22:
	v_add_co_u32_e32 v13, vcc, 0x2000, v1
	v_addc_co_u32_e32 v14, vcc, 0, v2, vcc
	global_load_dword v13, v[13:14], off offset:2048
.LBB107_23:
	;; [unrolled: 11-line block ×3, first 2 shown]
	s_or_b64 exec, exec, s[28:29]
	v_or_b32_e32 v15, 0xc00, v0
	v_cmp_gt_u32_e64 s[28:29], s7, v15
	v_mov_b32_e32 v15, s42
	s_and_saveexec_b64 s[30:31], s[28:29]
	s_cbranch_execz .LBB107_27
; %bb.26:
	v_add_co_u32_e32 v15, vcc, 0x3000, v1
	v_addc_co_u32_e32 v16, vcc, 0, v2, vcc
	global_load_dword v15, v[15:16], off
.LBB107_27:
	s_or_b64 exec, exec, s[30:31]
	v_or_b32_e32 v16, 0xd00, v0
	v_cmp_gt_u32_e64 s[30:31], s7, v16
	v_mov_b32_e32 v16, s42
	s_and_saveexec_b64 s[34:35], s[30:31]
	s_cbranch_execz .LBB107_29
; %bb.28:
	v_add_co_u32_e32 v16, vcc, 0x3000, v1
	v_addc_co_u32_e32 v17, vcc, 0, v2, vcc
	global_load_dword v16, v[16:17], off offset:1024
.LBB107_29:
	s_or_b64 exec, exec, s[34:35]
	v_or_b32_e32 v17, 0xe00, v0
	v_cmp_gt_u32_e64 s[34:35], s7, v17
	v_mov_b32_e32 v17, s42
	s_and_saveexec_b64 s[42:43], s[34:35]
	s_cbranch_execz .LBB107_31
; %bb.30:
	v_add_co_u32_e32 v1, vcc, 0x3000, v1
	v_addc_co_u32_e32 v2, vcc, 0, v2, vcc
	global_load_dword v17, v[1:2], off offset:2048
.LBB107_31:
	s_or_b64 exec, exec, s[42:43]
	v_mad_u32_u24 v72, v0, 56, v70
	s_waitcnt vmcnt(0)
	ds_write2st64_b32 v70, v3, v4 offset1:4
	ds_write2st64_b32 v70, v5, v6 offset0:8 offset1:12
	ds_write2st64_b32 v70, v7, v8 offset0:16 offset1:20
	;; [unrolled: 1-line block ×6, first 2 shown]
	ds_write_b32 v70, v17 offset:14336
	s_waitcnt lgkmcnt(0)
	s_barrier
	ds_read_b32 v74, v72
	ds_read2_b32 v[68:69], v72 offset0:1 offset1:2
	ds_read2_b32 v[66:67], v72 offset0:3 offset1:4
	;; [unrolled: 1-line block ×7, first 2 shown]
	s_load_dword s42, s[40:41], 0x0
	s_movk_i32 s43, 0xffc8
	v_mad_i32_i24 v1, v0, s43, v72
	s_movk_i32 s43, 0xff
	v_cmp_ne_u32_e32 vcc, s43, v0
	s_waitcnt lgkmcnt(0)
	v_mov_b32_e32 v71, s42
	ds_write_b32 v1, v74 offset:16384
	s_waitcnt lgkmcnt(0)
	s_barrier
	s_and_saveexec_b64 s[42:43], vcc
; %bb.32:
	v_mul_i32_i24_e32 v1, 0xffffffc8, v0
	v_add_u32_e32 v1, v72, v1
	ds_read_b32 v71, v1 offset:16388
; %bb.33:
	s_or_b64 exec, exec, s[42:43]
	v_lshlrev_b32_e32 v1, 1, v0
	v_mov_b32_e32 v2, s39
	v_add_co_u32_e32 v1, vcc, s38, v1
	v_addc_co_u32_e32 v2, vcc, 0, v2, vcc
	s_waitcnt lgkmcnt(0)
	s_barrier
                                        ; implicit-def: $vgpr3
	s_and_saveexec_b64 s[42:43], s[2:3]
	s_cbranch_execnz .LBB107_202
; %bb.34:
	s_or_b64 exec, exec, s[42:43]
                                        ; implicit-def: $vgpr4
	s_and_saveexec_b64 s[2:3], s[36:37]
	s_cbranch_execnz .LBB107_203
.LBB107_35:
	s_or_b64 exec, exec, s[2:3]
                                        ; implicit-def: $vgpr5
	s_and_saveexec_b64 s[2:3], s[8:9]
	s_cbranch_execnz .LBB107_204
.LBB107_36:
	s_or_b64 exec, exec, s[2:3]
                                        ; implicit-def: $vgpr6
	s_and_saveexec_b64 s[2:3], s[10:11]
	s_cbranch_execnz .LBB107_205
.LBB107_37:
	s_or_b64 exec, exec, s[2:3]
                                        ; implicit-def: $vgpr7
	s_and_saveexec_b64 s[2:3], s[12:13]
	s_cbranch_execnz .LBB107_206
.LBB107_38:
	s_or_b64 exec, exec, s[2:3]
                                        ; implicit-def: $vgpr8
	s_and_saveexec_b64 s[2:3], s[14:15]
	s_cbranch_execnz .LBB107_207
.LBB107_39:
	s_or_b64 exec, exec, s[2:3]
                                        ; implicit-def: $vgpr9
	s_and_saveexec_b64 s[2:3], s[16:17]
	s_cbranch_execnz .LBB107_208
.LBB107_40:
	s_or_b64 exec, exec, s[2:3]
                                        ; implicit-def: $vgpr10
	s_and_saveexec_b64 s[2:3], s[18:19]
	s_cbranch_execnz .LBB107_209
.LBB107_41:
	s_or_b64 exec, exec, s[2:3]
                                        ; implicit-def: $vgpr11
	s_and_saveexec_b64 s[2:3], s[20:21]
	s_cbranch_execnz .LBB107_210
.LBB107_42:
	s_or_b64 exec, exec, s[2:3]
                                        ; implicit-def: $vgpr12
	s_and_saveexec_b64 s[2:3], s[22:23]
	s_cbranch_execnz .LBB107_211
.LBB107_43:
	s_or_b64 exec, exec, s[2:3]
                                        ; implicit-def: $vgpr13
	s_and_saveexec_b64 s[2:3], s[24:25]
	s_cbranch_execnz .LBB107_212
.LBB107_44:
	s_or_b64 exec, exec, s[2:3]
                                        ; implicit-def: $vgpr14
	s_and_saveexec_b64 s[2:3], s[26:27]
	s_cbranch_execnz .LBB107_213
.LBB107_45:
	s_or_b64 exec, exec, s[2:3]
                                        ; implicit-def: $vgpr15
	s_and_saveexec_b64 s[2:3], s[28:29]
	s_cbranch_execnz .LBB107_214
.LBB107_46:
	s_or_b64 exec, exec, s[2:3]
                                        ; implicit-def: $vgpr16
	s_and_saveexec_b64 s[2:3], s[30:31]
	s_cbranch_execnz .LBB107_215
.LBB107_47:
	s_or_b64 exec, exec, s[2:3]
                                        ; implicit-def: $vgpr17
	s_and_saveexec_b64 s[2:3], s[34:35]
	s_cbranch_execz .LBB107_49
.LBB107_48:
	v_add_co_u32_e32 v1, vcc, 0x1000, v1
	v_addc_co_u32_e32 v2, vcc, 0, v2, vcc
	global_load_sshort v17, v[1:2], off offset:3072
.LBB107_49:
	s_or_b64 exec, exec, s[2:3]
	s_waitcnt vmcnt(0)
	ds_write2st64_b32 v70, v3, v4 offset1:4
	ds_write2st64_b32 v70, v5, v6 offset0:8 offset1:12
	ds_write2st64_b32 v70, v7, v8 offset0:16 offset1:20
	;; [unrolled: 1-line block ×6, first 2 shown]
	ds_write_b32 v70, v17 offset:14336
	v_mul_u32_u24_e32 v73, 15, v0
	v_mov_b32_e32 v9, 0
	v_mov_b32_e32 v1, 0
	;; [unrolled: 1-line block ×27, first 2 shown]
	v_cmp_gt_u32_e32 vcc, s7, v73
	s_mov_b64 s[2:3], 0
	v_mov_b32_e32 v10, 0
	v_mov_b32_e32 v2, 0
	;; [unrolled: 1-line block ×27, first 2 shown]
	s_mov_b64 s[10:11], 0
	s_waitcnt lgkmcnt(0)
	s_barrier
                                        ; implicit-def: $sgpr12_sgpr13
                                        ; implicit-def: $vgpr57
	s_and_saveexec_b64 s[8:9], vcc
	s_cbranch_execz .LBB107_79
; %bb.50:
	ds_read_b32 v1, v72
	v_cmp_ne_u32_e32 vcc, v74, v68
	v_mov_b32_e32 v2, s47
	v_cndmask_b32_e64 v10, 0, 1, vcc
	v_cmp_eq_u32_e32 vcc, v74, v68
	s_waitcnt lgkmcnt(0)
	v_cndmask_b32_e32 v9, v2, v1, vcc
	v_add_u32_e32 v1, 1, v73
	v_cmp_gt_u32_e32 vcc, s7, v1
	v_mov_b32_e32 v1, 0
	v_mov_b32_e32 v3, 0
	;; [unrolled: 1-line block ×50, first 2 shown]
	s_mov_b64 s[14:15], 0
                                        ; implicit-def: $sgpr12_sgpr13
                                        ; implicit-def: $vgpr57
	s_and_saveexec_b64 s[10:11], vcc
	s_cbranch_execz .LBB107_78
; %bb.51:
	ds_read2_b32 v[32:33], v72 offset0:1 offset1:2
	v_cmp_ne_u32_e32 vcc, v68, v69
	v_mov_b32_e32 v1, s47
	v_cndmask_b32_e64 v2, 0, 1, vcc
	v_cmp_eq_u32_e32 vcc, v68, v69
	v_add_u32_e32 v3, 2, v73
	s_waitcnt lgkmcnt(0)
	v_cndmask_b32_e32 v1, v1, v32, vcc
	v_cmp_gt_u32_e32 vcc, s7, v3
	v_mov_b32_e32 v3, 0
	v_mov_b32_e32 v5, 0
	;; [unrolled: 1-line block ×46, first 2 shown]
	s_mov_b64 s[16:17], 0
                                        ; implicit-def: $sgpr12_sgpr13
                                        ; implicit-def: $vgpr57
	s_and_saveexec_b64 s[14:15], vcc
	s_cbranch_execz .LBB107_77
; %bb.52:
	v_mov_b32_e32 v3, s47
	v_cmp_eq_u32_e32 vcc, v69, v66
	v_cndmask_b32_e32 v3, v3, v33, vcc
	v_cmp_ne_u32_e32 vcc, v69, v66
	v_add_u32_e32 v5, 3, v73
	v_cndmask_b32_e64 v4, 0, 1, vcc
	v_cmp_gt_u32_e32 vcc, s7, v5
	v_mov_b32_e32 v5, 0
	v_mov_b32_e32 v7, 0
	;; [unrolled: 1-line block ×42, first 2 shown]
	s_mov_b64 s[18:19], 0
                                        ; implicit-def: $sgpr12_sgpr13
                                        ; implicit-def: $vgpr57
	s_and_saveexec_b64 s[16:17], vcc
	s_cbranch_execz .LBB107_76
; %bb.53:
	ds_read2_b32 v[28:29], v72 offset0:3 offset1:4
	v_cmp_ne_u32_e32 vcc, v66, v67
	v_mov_b32_e32 v5, s47
	v_cndmask_b32_e64 v6, 0, 1, vcc
	v_cmp_eq_u32_e32 vcc, v66, v67
	v_add_u32_e32 v7, 4, v73
	s_waitcnt lgkmcnt(0)
	v_cndmask_b32_e32 v5, v5, v28, vcc
	v_cmp_gt_u32_e32 vcc, s7, v7
	v_mov_b32_e32 v7, 0
	v_mov_b32_e32 v37, 0
	;; [unrolled: 1-line block ×38, first 2 shown]
	s_mov_b64 s[20:21], 0
                                        ; implicit-def: $sgpr12_sgpr13
                                        ; implicit-def: $vgpr57
	s_and_saveexec_b64 s[18:19], vcc
	s_cbranch_execz .LBB107_75
; %bb.54:
	v_mov_b32_e32 v7, s47
	v_cmp_eq_u32_e32 vcc, v67, v64
	v_cndmask_b32_e32 v7, v7, v29, vcc
	v_cmp_ne_u32_e32 vcc, v67, v64
	v_add_u32_e32 v11, 5, v73
	v_cndmask_b32_e64 v8, 0, 1, vcc
	v_cmp_gt_u32_e32 vcc, s7, v11
	v_mov_b32_e32 v37, 0
	v_mov_b32_e32 v39, 0
	;; [unrolled: 1-line block ×34, first 2 shown]
	s_mov_b64 s[22:23], 0
                                        ; implicit-def: $sgpr12_sgpr13
                                        ; implicit-def: $vgpr57
	s_and_saveexec_b64 s[20:21], vcc
	s_cbranch_execz .LBB107_74
; %bb.55:
	ds_read2_b32 v[24:25], v72 offset0:5 offset1:6
	v_cmp_ne_u32_e32 vcc, v64, v65
	v_mov_b32_e32 v11, s47
	v_cndmask_b32_e64 v38, 0, 1, vcc
	v_cmp_eq_u32_e32 vcc, v64, v65
	s_waitcnt lgkmcnt(0)
	v_cndmask_b32_e32 v37, v11, v24, vcc
	v_add_u32_e32 v11, 6, v73
	v_cmp_gt_u32_e32 vcc, s7, v11
	v_mov_b32_e32 v39, 0
	v_mov_b32_e32 v41, 0
	;; [unrolled: 1-line block ×30, first 2 shown]
	s_mov_b64 s[24:25], 0
                                        ; implicit-def: $sgpr12_sgpr13
                                        ; implicit-def: $vgpr57
	s_and_saveexec_b64 s[22:23], vcc
	s_cbranch_execz .LBB107_73
; %bb.56:
	v_mov_b32_e32 v11, s47
	v_cmp_eq_u32_e32 vcc, v65, v62
	v_cndmask_b32_e32 v39, v11, v25, vcc
	v_cmp_ne_u32_e32 vcc, v65, v62
	v_add_u32_e32 v11, 7, v73
	v_cndmask_b32_e64 v40, 0, 1, vcc
	v_cmp_gt_u32_e32 vcc, s7, v11
	v_mov_b32_e32 v41, 0
	v_mov_b32_e32 v43, 0
	;; [unrolled: 1-line block ×26, first 2 shown]
	s_mov_b64 s[26:27], 0
                                        ; implicit-def: $sgpr12_sgpr13
                                        ; implicit-def: $vgpr57
	s_and_saveexec_b64 s[24:25], vcc
	s_cbranch_execz .LBB107_72
; %bb.57:
	ds_read2_b32 v[20:21], v72 offset0:7 offset1:8
	v_cmp_ne_u32_e32 vcc, v62, v63
	v_mov_b32_e32 v11, s47
	v_cndmask_b32_e64 v42, 0, 1, vcc
	v_cmp_eq_u32_e32 vcc, v62, v63
	s_waitcnt lgkmcnt(0)
	v_cndmask_b32_e32 v41, v11, v20, vcc
	v_add_u32_e32 v11, 8, v73
	v_cmp_gt_u32_e32 vcc, s7, v11
	v_mov_b32_e32 v43, 0
	v_mov_b32_e32 v45, 0
	;; [unrolled: 1-line block ×22, first 2 shown]
	s_mov_b64 s[28:29], 0
                                        ; implicit-def: $sgpr12_sgpr13
                                        ; implicit-def: $vgpr57
	s_and_saveexec_b64 s[26:27], vcc
	s_cbranch_execz .LBB107_71
; %bb.58:
	v_mov_b32_e32 v11, s47
	v_cmp_eq_u32_e32 vcc, v63, v60
	v_cndmask_b32_e32 v43, v11, v21, vcc
	v_cmp_ne_u32_e32 vcc, v63, v60
	v_add_u32_e32 v11, 9, v73
	v_cndmask_b32_e64 v44, 0, 1, vcc
	v_cmp_gt_u32_e32 vcc, s7, v11
	v_mov_b32_e32 v45, 0
	v_mov_b32_e32 v47, 0
	;; [unrolled: 1-line block ×18, first 2 shown]
	s_mov_b64 s[30:31], 0
                                        ; implicit-def: $sgpr12_sgpr13
                                        ; implicit-def: $vgpr57
	s_and_saveexec_b64 s[28:29], vcc
	s_cbranch_execz .LBB107_70
; %bb.59:
	ds_read2_b32 v[16:17], v72 offset0:9 offset1:10
	v_cmp_ne_u32_e32 vcc, v60, v61
	v_mov_b32_e32 v11, s47
	v_cndmask_b32_e64 v46, 0, 1, vcc
	v_cmp_eq_u32_e32 vcc, v60, v61
	s_waitcnt lgkmcnt(0)
	v_cndmask_b32_e32 v45, v11, v16, vcc
	v_add_u32_e32 v11, 10, v73
	v_cmp_gt_u32_e32 vcc, s7, v11
	v_mov_b32_e32 v47, 0
	v_mov_b32_e32 v49, 0
	v_mov_b32_e32 v51, 0
	v_mov_b32_e32 v55, 0
	v_mov_b32_e32 v15, 0
	v_mov_b32_e32 v13, 0
	v_mov_b32_e32 v11, 0
	v_mov_b32_e32 v48, 0
	v_mov_b32_e32 v50, 0
	v_mov_b32_e32 v52, 0
	v_mov_b32_e32 v56, 0
	v_mov_b32_e32 v16, 0
	v_mov_b32_e32 v14, 0
	v_mov_b32_e32 v12, 0
	s_mov_b64 s[34:35], 0
                                        ; implicit-def: $sgpr12_sgpr13
                                        ; implicit-def: $vgpr57
	s_and_saveexec_b64 s[30:31], vcc
	s_cbranch_execz .LBB107_69
; %bb.60:
	v_mov_b32_e32 v11, s47
	v_cmp_eq_u32_e32 vcc, v61, v58
	v_cndmask_b32_e32 v47, v11, v17, vcc
	v_cmp_ne_u32_e32 vcc, v61, v58
	v_add_u32_e32 v11, 11, v73
	v_cndmask_b32_e64 v48, 0, 1, vcc
	v_cmp_gt_u32_e32 vcc, s7, v11
	v_mov_b32_e32 v49, 0
	v_mov_b32_e32 v51, 0
	v_mov_b32_e32 v55, 0
	v_mov_b32_e32 v13, 0
	v_mov_b32_e32 v11, 0
	v_mov_b32_e32 v50, 0
	v_mov_b32_e32 v52, 0
	v_mov_b32_e32 v56, 0
	v_mov_b32_e32 v14, 0
	v_mov_b32_e32 v12, 0
	s_mov_b64 s[36:37], 0
                                        ; implicit-def: $sgpr12_sgpr13
                                        ; implicit-def: $vgpr57
	s_and_saveexec_b64 s[34:35], vcc
	s_cbranch_execz .LBB107_68
; %bb.61:
	ds_read2_b32 v[12:13], v72 offset0:11 offset1:12
	v_cmp_ne_u32_e32 vcc, v58, v59
	v_mov_b32_e32 v11, s47
	v_cndmask_b32_e64 v50, 0, 1, vcc
	v_cmp_eq_u32_e32 vcc, v58, v59
	s_waitcnt lgkmcnt(0)
	v_cndmask_b32_e32 v49, v11, v12, vcc
	v_add_u32_e32 v11, 12, v73
	v_cmp_gt_u32_e32 vcc, s7, v11
	v_mov_b32_e32 v51, 0
	v_mov_b32_e32 v55, 0
	v_mov_b32_e32 v11, 0
	v_mov_b32_e32 v52, 0
	v_mov_b32_e32 v56, 0
	v_mov_b32_e32 v12, 0
	s_mov_b64 s[42:43], 0
                                        ; implicit-def: $sgpr12_sgpr13
                                        ; implicit-def: $vgpr57
	s_and_saveexec_b64 s[36:37], vcc
	s_cbranch_execz .LBB107_67
; %bb.62:
	v_mov_b32_e32 v11, s47
	v_cmp_eq_u32_e32 vcc, v59, v53
	v_cndmask_b32_e32 v51, v11, v13, vcc
	v_cmp_ne_u32_e32 vcc, v59, v53
	v_add_u32_e32 v11, 13, v73
	v_mov_b32_e32 v55, 0
	v_cndmask_b32_e64 v52, 0, 1, vcc
	v_cmp_gt_u32_e32 vcc, s7, v11
	v_mov_b32_e32 v56, 0
	s_mov_b64 s[48:49], 0
                                        ; implicit-def: $sgpr12_sgpr13
                                        ; implicit-def: $vgpr57
	s_and_saveexec_b64 s[42:43], vcc
	s_cbranch_execz .LBB107_66
; %bb.63:
	ds_read2_b32 v[11:12], v72 offset0:13 offset1:14
	v_cmp_ne_u32_e32 vcc, v53, v54
	v_mov_b32_e32 v13, s47
	v_cndmask_b32_e64 v56, 0, 1, vcc
	v_cmp_eq_u32_e32 vcc, v53, v54
	s_waitcnt lgkmcnt(0)
	v_cndmask_b32_e32 v55, v13, v11, vcc
	v_add_u32_e32 v11, 14, v73
	v_cmp_gt_u32_e32 vcc, s7, v11
                                        ; implicit-def: $sgpr12_sgpr13
                                        ; implicit-def: $vgpr57
	s_and_saveexec_b64 s[50:51], vcc
	s_xor_b64 s[50:51], exec, s[50:51]
; %bb.64:
	v_mov_b32_e32 v11, s47
	v_cmp_ne_u32_e64 s[12:13], v54, v71
	s_mov_b64 s[48:49], exec
	v_cndmask_b32_e64 v57, v12, v11, s[12:13]
; %bb.65:
	s_or_b64 exec, exec, s[50:51]
	s_and_b64 s[48:49], s[48:49], exec
.LBB107_66:
	s_or_b64 exec, exec, s[42:43]
	v_mov_b32_e32 v11, v55
	s_and_b64 s[42:43], s[48:49], exec
	v_mov_b32_e32 v12, v56
.LBB107_67:
	s_or_b64 exec, exec, s[36:37]
	v_mov_b32_e32 v13, v51
	s_and_b64 s[36:37], s[42:43], exec
	v_mov_b32_e32 v14, v52
.LBB107_68:
	s_or_b64 exec, exec, s[34:35]
	v_mov_b32_e32 v15, v49
	s_and_b64 s[34:35], s[36:37], exec
	v_mov_b32_e32 v16, v50
.LBB107_69:
	s_or_b64 exec, exec, s[30:31]
	v_mov_b32_e32 v17, v47
	s_and_b64 s[30:31], s[34:35], exec
	v_mov_b32_e32 v18, v48
.LBB107_70:
	s_or_b64 exec, exec, s[28:29]
	v_mov_b32_e32 v19, v45
	s_and_b64 s[28:29], s[30:31], exec
	v_mov_b32_e32 v20, v46
.LBB107_71:
	s_or_b64 exec, exec, s[26:27]
	v_mov_b32_e32 v21, v43
	s_and_b64 s[26:27], s[28:29], exec
	v_mov_b32_e32 v22, v44
.LBB107_72:
	s_or_b64 exec, exec, s[24:25]
	v_mov_b32_e32 v23, v41
	s_and_b64 s[24:25], s[26:27], exec
	v_mov_b32_e32 v24, v42
.LBB107_73:
	s_or_b64 exec, exec, s[22:23]
	v_mov_b32_e32 v25, v39
	s_and_b64 s[22:23], s[24:25], exec
	v_mov_b32_e32 v26, v40
.LBB107_74:
	s_or_b64 exec, exec, s[20:21]
	v_mov_b32_e32 v27, v37
	s_and_b64 s[20:21], s[22:23], exec
	v_mov_b32_e32 v28, v38
.LBB107_75:
	s_or_b64 exec, exec, s[18:19]
	v_mov_b32_e32 v30, v8
	s_and_b64 s[18:19], s[20:21], exec
	v_mov_b32_e32 v29, v7
.LBB107_76:
	s_or_b64 exec, exec, s[16:17]
	v_mov_b32_e32 v32, v6
	s_and_b64 s[16:17], s[18:19], exec
	v_mov_b32_e32 v31, v5
.LBB107_77:
	s_or_b64 exec, exec, s[14:15]
	v_mov_b32_e32 v34, v4
	s_and_b64 s[14:15], s[16:17], exec
	v_mov_b32_e32 v33, v3
.LBB107_78:
	s_or_b64 exec, exec, s[10:11]
	v_mov_b32_e32 v36, v2
	s_and_b64 s[10:11], s[14:15], exec
	v_mov_b32_e32 v35, v1
.LBB107_79:
	s_or_b64 exec, exec, s[8:9]
	s_and_b64 vcc, exec, s[2:3]
	s_cbranch_vccnz .LBB107_81
	s_branch .LBB107_86
.LBB107_80:
	s_mov_b64 s[10:11], 0
                                        ; implicit-def: $sgpr12_sgpr13
                                        ; implicit-def: $vgpr57
                                        ; implicit-def: $vgpr9_vgpr10
                                        ; implicit-def: $vgpr1_vgpr2
                                        ; implicit-def: $vgpr3_vgpr4
                                        ; implicit-def: $vgpr5_vgpr6
                                        ; implicit-def: $vgpr7_vgpr8
                                        ; implicit-def: $vgpr37_vgpr38
                                        ; implicit-def: $vgpr39_vgpr40
                                        ; implicit-def: $vgpr41_vgpr42
                                        ; implicit-def: $vgpr43_vgpr44
                                        ; implicit-def: $vgpr45_vgpr46
                                        ; implicit-def: $vgpr47_vgpr48
                                        ; implicit-def: $vgpr49_vgpr50
                                        ; implicit-def: $vgpr51_vgpr52
                                        ; implicit-def: $vgpr55_vgpr56
                                        ; implicit-def: $vgpr35_vgpr36
                                        ; implicit-def: $vgpr33_vgpr34
                                        ; implicit-def: $vgpr31_vgpr32
                                        ; implicit-def: $vgpr29_vgpr30
                                        ; implicit-def: $vgpr27_vgpr28
                                        ; implicit-def: $vgpr25_vgpr26
                                        ; implicit-def: $vgpr23_vgpr24
                                        ; implicit-def: $vgpr21_vgpr22
                                        ; implicit-def: $vgpr19_vgpr20
                                        ; implicit-def: $vgpr17_vgpr18
                                        ; implicit-def: $vgpr15_vgpr16
                                        ; implicit-def: $vgpr13_vgpr14
                                        ; implicit-def: $vgpr11_vgpr12
	s_and_b64 vcc, exec, s[2:3]
	s_cbranch_vccz .LBB107_86
.LBB107_81:
	v_mov_b32_e32 v1, s41
	v_add_co_u32_e32 v5, vcc, s40, v70
	v_addc_co_u32_e32 v6, vcc, 0, v1, vcc
	v_add_co_u32_e32 v1, vcc, 0x1000, v5
	v_addc_co_u32_e32 v2, vcc, 0, v6, vcc
	;; [unrolled: 2-line block ×3, first 2 shown]
	global_load_dword v7, v70, s[40:41]
	global_load_dword v8, v70, s[40:41] offset:1024
	global_load_dword v9, v70, s[40:41] offset:2048
	;; [unrolled: 1-line block ×3, first 2 shown]
	global_load_dword v11, v[1:2], off
	global_load_dword v12, v[1:2], off offset:1024
	global_load_dword v13, v[1:2], off offset:2048
	;; [unrolled: 1-line block ×3, first 2 shown]
	global_load_dword v15, v[3:4], off
	global_load_dword v16, v[3:4], off offset:1024
	global_load_dword v17, v[3:4], off offset:2048
	;; [unrolled: 1-line block ×3, first 2 shown]
	v_add_co_u32_e32 v1, vcc, 0x3000, v5
	v_addc_co_u32_e32 v2, vcc, 0, v6, vcc
	global_load_dword v3, v[1:2], off
	global_load_dword v4, v[1:2], off offset:1024
	global_load_dword v5, v[1:2], off offset:2048
	v_mad_u32_u24 v1, v0, 56, v70
	s_movk_i32 s2, 0xffc8
	v_mad_i32_i24 v6, v0, s2, v1
	s_movk_i32 s3, 0xff
	s_movk_i32 s7, 0x1000
	v_cmp_ne_u32_e32 vcc, s3, v0
	s_waitcnt vmcnt(13)
	ds_write2st64_b32 v70, v7, v8 offset1:4
	s_waitcnt vmcnt(11)
	ds_write2st64_b32 v70, v9, v10 offset0:8 offset1:12
	s_waitcnt vmcnt(9)
	ds_write2st64_b32 v70, v11, v12 offset0:16 offset1:20
	;; [unrolled: 2-line block ×6, first 2 shown]
	s_waitcnt vmcnt(0)
	ds_write_b32 v70, v5 offset:14336
	s_waitcnt lgkmcnt(0)
	s_barrier
	ds_read_b32 v2, v1
	ds_read2_b32 v[3:4], v1 offset0:1 offset1:2
	ds_read2_b32 v[7:8], v1 offset0:3 offset1:4
	;; [unrolled: 1-line block ×7, first 2 shown]
	s_load_dword s2, s[40:41], 0x3c00
	s_waitcnt lgkmcnt(0)
	ds_write_b32 v6, v2 offset:16384
	s_waitcnt lgkmcnt(0)
	s_barrier
	v_mov_b32_e32 v33, s2
	s_and_saveexec_b64 s[2:3], vcc
; %bb.82:
	v_mul_i32_i24_e32 v5, 0xffffffc8, v0
	v_add_u32_e32 v5, v1, v5
	ds_read_b32 v33, v5 offset:16388
; %bb.83:
	s_or_b64 exec, exec, s[2:3]
	v_lshlrev_b32_e32 v5, 1, v0
	v_mov_b32_e32 v6, s39
	v_add_co_u32_e32 v9, vcc, s38, v5
	v_addc_co_u32_e32 v6, vcc, 0, v6, vcc
	s_waitcnt lgkmcnt(0)
	s_barrier
	global_load_sshort v10, v5, s[38:39]
	global_load_sshort v21, v5, s[38:39] offset:512
	global_load_sshort v22, v5, s[38:39] offset:1024
	;; [unrolled: 1-line block ×7, first 2 shown]
	v_add_co_u32_e32 v5, vcc, s7, v9
	v_addc_co_u32_e32 v6, vcc, 0, v6, vcc
	global_load_sshort v9, v[5:6], off
	global_load_sshort v28, v[5:6], off offset:512
	global_load_sshort v29, v[5:6], off offset:1024
	;; [unrolled: 1-line block ×6, first 2 shown]
	v_cmp_eq_u32_e32 vcc, v2, v3
	v_mov_b32_e32 v2, s47
	s_waitcnt vmcnt(13)
	ds_write2st64_b32 v70, v10, v21 offset1:4
	s_waitcnt vmcnt(11)
	ds_write2st64_b32 v70, v22, v23 offset0:8 offset1:12
	s_waitcnt vmcnt(9)
	ds_write2st64_b32 v70, v24, v25 offset0:16 offset1:20
	;; [unrolled: 2-line block ×6, first 2 shown]
	s_waitcnt vmcnt(0)
	ds_write_b32 v70, v34 offset:14336
	s_waitcnt lgkmcnt(0)
	s_barrier
	ds_read2_b32 v[5:6], v1 offset0:1 offset1:2
	ds_read2_b32 v[31:32], v1 offset0:3 offset1:4
	;; [unrolled: 1-line block ×7, first 2 shown]
	v_mov_b32_e32 v9, 0
	v_mov_b32_e32 v10, 1
	s_and_saveexec_b64 s[2:3], vcc
; %bb.84:
	ds_read_b32 v2, v1
	v_mov_b32_e32 v9, 0
	v_mov_b32_e32 v10, 0
; %bb.85:
	s_or_b64 exec, exec, s[2:3]
	v_mov_b32_e32 v34, s47
	v_cmp_eq_u32_e32 vcc, v3, v4
	s_waitcnt lgkmcnt(6)
	v_cndmask_b32_e32 v1, v34, v5, vcc
	v_cmp_ne_u32_e32 vcc, v3, v4
	s_waitcnt lgkmcnt(0)
	v_or_b32_e32 v9, v9, v2
	v_cndmask_b32_e64 v2, 0, 1, vcc
	v_cmp_eq_u32_e32 vcc, v4, v7
	v_cndmask_b32_e32 v3, v34, v6, vcc
	v_cmp_ne_u32_e32 vcc, v4, v7
	v_cndmask_b32_e64 v4, 0, 1, vcc
	v_cmp_eq_u32_e32 vcc, v7, v8
	v_cndmask_b32_e32 v5, v34, v31, vcc
	v_cmp_ne_u32_e32 vcc, v7, v8
	;; [unrolled: 4-line block ×12, first 2 shown]
	v_cmp_ne_u32_e64 s[12:13], v12, v33
	v_cndmask_b32_e64 v56, 0, 1, vcc
	v_cndmask_b32_e64 v57, v22, v34, s[12:13]
	v_mov_b32_e32 v36, v2
	v_mov_b32_e32 v34, v4
	v_mov_b32_e32 v32, v6
	v_mov_b32_e32 v30, v8
	v_mov_b32_e32 v27, v37
	v_mov_b32_e32 v25, v39
	v_mov_b32_e32 v23, v41
	v_mov_b32_e32 v21, v43
	v_mov_b32_e32 v19, v45
	v_mov_b32_e32 v17, v47
	v_mov_b32_e32 v15, v49
	v_mov_b32_e32 v13, v51
	v_mov_b32_e32 v11, v55
	s_mov_b64 s[10:11], -1
	v_mov_b32_e32 v35, v1
	v_mov_b32_e32 v33, v3
	v_mov_b32_e32 v31, v5
	v_mov_b32_e32 v29, v7
	v_mov_b32_e32 v28, v38
	v_mov_b32_e32 v26, v40
	v_mov_b32_e32 v24, v42
	v_mov_b32_e32 v22, v44
	v_mov_b32_e32 v20, v46
	v_mov_b32_e32 v18, v48
	v_mov_b32_e32 v16, v50
	v_mov_b32_e32 v14, v52
	v_mov_b32_e32 v12, v56
.LBB107_86:
	v_mov_b32_e32 v53, 0
	v_mov_b32_e32 v54, 0
	s_and_saveexec_b64 s[2:3], s[10:11]
	s_cbranch_execz .LBB107_88
; %bb.87:
	v_cndmask_b32_e64 v58, 0, 1, s[12:13]
	v_mov_b32_e32 v53, v57
	v_mov_b32_e32 v11, v55
	;; [unrolled: 1-line block ×28, first 2 shown]
.LBB107_88:
	s_or_b64 exec, exec, s[2:3]
	s_mov_b32 s30, 0
	s_cmp_lg_u32 s6, 0
	v_or_b32_e32 v43, v24, v22
	v_or3_b32 v42, v12, v54, v14
	v_lshrrev_b32_e32 v41, 2, v0
	v_cmp_gt_u32_e32 vcc, 64, v0
	s_barrier
	s_cbranch_scc0 .LBB107_118
; %bb.89:
	s_mov_b32 s31, 1
	v_cmp_gt_u64_e64 s[2:3], s[30:31], v[35:36]
	v_cmp_gt_u64_e64 s[40:41], s[30:31], v[33:34]
	v_cndmask_b32_e64 v1, 0, v9, s[2:3]
	v_add_u32_e32 v1, v1, v35
	v_cndmask_b32_e64 v1, 0, v1, s[40:41]
	v_cmp_gt_u64_e64 s[8:9], s[30:31], v[31:32]
	v_add_u32_e32 v1, v1, v33
	v_cndmask_b32_e64 v1, 0, v1, s[8:9]
	v_cmp_gt_u64_e64 s[10:11], s[30:31], v[29:30]
	;; [unrolled: 3-line block ×12, first 2 shown]
	v_or3_b32 v2, v43, v26, v28
	v_add_u32_e32 v1, v1, v11
	v_or3_b32 v2, v2, v30, v32
	v_cndmask_b32_e64 v1, 0, v1, s[30:31]
	v_or3_b32 v2, v2, v34, v36
	v_add_u32_e32 v44, v1, v53
	v_or3_b32 v1, v42, v16, v18
	v_or3_b32 v1, v1, v20, v2
	v_and_b32_e32 v2, 0xff, v1
	v_mov_b32_e32 v1, 0
	v_cmp_eq_u64_e64 s[30:31], 0, v[1:2]
	v_and_b32_e32 v1, 56, v41
	v_cndmask_b32_e64 v45, 1, v10, s[30:31]
	v_lshl_add_u32 v1, v0, 3, v1
	ds_write_b32 v1, v44
	ds_write_b8 v1, v45 offset:4
	s_waitcnt lgkmcnt(0)
	s_barrier
	s_and_saveexec_b64 s[48:49], vcc
	s_cbranch_execz .LBB107_101
; %bb.90:
	v_and_b32_e32 v1, 0xf8, v0
	v_lshlrev_b32_e32 v2, 5, v0
	v_add_u32_e32 v5, v1, v2
	ds_read2_b32 v[1:2], v5 offset0:2 offset1:4
	ds_read_b64 v[3:4], v5
	ds_read_u8 v40, v5 offset:12
	ds_read_u8 v8, v5 offset:20
	ds_read_b32 v6, v5 offset:24
	ds_read_u8 v37, v5 offset:28
	s_waitcnt lgkmcnt(4)
	v_and_b32_e32 v7, 1, v4
	s_waitcnt lgkmcnt(3)
	v_cmp_eq_u16_e64 s[36:37], 0, v40
	s_waitcnt lgkmcnt(2)
	v_or_b32_e32 v39, v8, v40
	v_cndmask_b32_e64 v38, 0, v3, s[36:37]
	v_cmp_eq_u16_e64 s[34:35], 0, v39
	v_add_u32_e32 v38, v38, v1
	v_cmp_eq_u16_e64 s[30:31], 0, v8
	v_cndmask_b32_e64 v39, 1, v7, s[34:35]
	s_waitcnt lgkmcnt(0)
	v_cmp_eq_u16_e64 s[34:35], 0, v37
	v_and_b32_e32 v37, 1, v37
	v_cndmask_b32_e64 v38, 0, v38, s[30:31]
	v_cmp_eq_u32_e64 s[38:39], 1, v37
	v_add_u32_e32 v38, v38, v2
	v_cndmask_b32_e64 v46, v39, 1, s[38:39]
	v_mbcnt_lo_u32_b32 v39, -1, 0
	v_cndmask_b32_e64 v38, 0, v38, s[34:35]
	v_and_b32_e32 v37, 0xffffff00, v4
	v_mbcnt_hi_u32_b32 v39, -1, v39
	v_add_u32_e32 v38, v38, v6
	v_and_b32_e32 v49, 15, v39
	v_or_b32_sdwa v47, v37, v46 dst_sel:DWORD dst_unused:UNUSED_PAD src0_sel:DWORD src1_sel:WORD_0
	v_mov_b32_dpp v48, v38 row_shr:1 row_mask:0xf bank_mask:0xf
	v_cmp_ne_u32_e64 s[42:43], 0, v49
	v_mov_b32_dpp v50, v47 row_shr:1 row_mask:0xf bank_mask:0xf
	s_and_saveexec_b64 s[50:51], s[42:43]
; %bb.91:
	v_and_b32_e32 v47, 1, v46
	v_and_b32_e32 v50, 1, v50
	v_cmp_eq_u32_e64 s[42:43], 1, v47
	v_cndmask_b32_e64 v50, v50, 1, s[42:43]
	v_cmp_eq_u16_e64 s[42:43], 0, v46
	v_cndmask_b32_e64 v46, 0, v48, s[42:43]
	v_add_u32_e32 v38, v46, v38
	v_or_b32_sdwa v47, v37, v50 dst_sel:DWORD dst_unused:UNUSED_PAD src0_sel:DWORD src1_sel:WORD_0
	v_mov_b32_e32 v46, v50
; %bb.92:
	s_or_b64 exec, exec, s[50:51]
	v_mov_b32_dpp v50, v38 row_shr:2 row_mask:0xf bank_mask:0xf
	v_mov_b32_dpp v51, v47 row_shr:2 row_mask:0xf bank_mask:0xf
	v_cmp_lt_u32_e64 s[42:43], 1, v49
	v_mov_b32_e32 v48, v47
	s_and_saveexec_b64 s[50:51], s[42:43]
	s_cbranch_execz .LBB107_94
; %bb.93:
	v_and_b32_e32 v46, 1, v47
	v_and_b32_e32 v48, 1, v51
	v_cmp_eq_u32_e64 s[42:43], 1, v46
	v_cndmask_b32_e64 v46, v48, 1, s[42:43]
	v_mov_b32_e32 v48, 0
	v_cmp_eq_u16_sdwa s[42:43], v47, v48 src0_sel:BYTE_0 src1_sel:DWORD
	v_cndmask_b32_e64 v47, 0, v50, s[42:43]
	v_add_u32_e32 v38, v47, v38
	v_or_b32_sdwa v47, v37, v46 dst_sel:DWORD dst_unused:UNUSED_PAD src0_sel:DWORD src1_sel:WORD_0
	v_mov_b32_e32 v48, v46
.LBB107_94:
	s_or_b64 exec, exec, s[50:51]
	v_mov_b32_dpp v50, v38 row_shr:4 row_mask:0xf bank_mask:0xf
	v_mov_b32_dpp v51, v47 row_shr:4 row_mask:0xf bank_mask:0xf
	v_cmp_lt_u32_e64 s[42:43], 3, v49
	s_and_saveexec_b64 s[50:51], s[42:43]
	s_cbranch_execz .LBB107_96
; %bb.95:
	v_and_b32_e32 v46, 1, v48
	v_and_b32_e32 v47, 1, v51
	v_cmp_eq_u32_e64 s[42:43], 1, v46
	v_cndmask_b32_e64 v46, v47, 1, s[42:43]
	v_mov_b32_e32 v47, 0
	v_cmp_eq_u16_sdwa s[42:43], v48, v47 src0_sel:BYTE_0 src1_sel:DWORD
	v_cndmask_b32_e64 v47, 0, v50, s[42:43]
	v_add_u32_e32 v38, v47, v38
	v_or_b32_sdwa v47, v37, v46 dst_sel:DWORD dst_unused:UNUSED_PAD src0_sel:DWORD src1_sel:WORD_0
	v_mov_b32_e32 v48, v46
.LBB107_96:
	s_or_b64 exec, exec, s[50:51]
	v_mov_b32_dpp v50, v38 row_shr:8 row_mask:0xf bank_mask:0xf
	v_mov_b32_dpp v51, v47 row_shr:8 row_mask:0xf bank_mask:0xf
	v_cmp_lt_u32_e64 s[42:43], 7, v49
	s_and_saveexec_b64 s[50:51], s[42:43]
	s_cbranch_execz .LBB107_98
; %bb.97:
	v_and_b32_e32 v46, 1, v48
	v_and_b32_e32 v47, 1, v51
	v_cmp_eq_u32_e64 s[42:43], 1, v46
	v_cndmask_b32_e64 v46, v47, 1, s[42:43]
	v_mov_b32_e32 v47, 0
	v_cmp_eq_u16_sdwa s[42:43], v48, v47 src0_sel:BYTE_0 src1_sel:DWORD
	v_cndmask_b32_e64 v47, 0, v50, s[42:43]
	v_add_u32_e32 v38, v47, v38
	v_or_b32_sdwa v47, v37, v46 dst_sel:DWORD dst_unused:UNUSED_PAD src0_sel:DWORD src1_sel:WORD_0
	v_mov_b32_e32 v48, v46
.LBB107_98:
	s_or_b64 exec, exec, s[50:51]
	v_and_b32_e32 v51, 16, v39
	v_mov_b32_dpp v49, v38 row_bcast:15 row_mask:0xf bank_mask:0xf
	v_mov_b32_dpp v50, v47 row_bcast:15 row_mask:0xf bank_mask:0xf
	v_cmp_ne_u32_e64 s[42:43], 0, v51
	s_and_saveexec_b64 s[50:51], s[42:43]
	s_cbranch_execz .LBB107_100
; %bb.99:
	v_and_b32_e32 v46, 1, v48
	v_and_b32_e32 v47, 1, v50
	v_cmp_eq_u32_e64 s[42:43], 1, v46
	v_cndmask_b32_e64 v46, v47, 1, s[42:43]
	v_mov_b32_e32 v47, 0
	v_cmp_eq_u16_sdwa s[42:43], v48, v47 src0_sel:BYTE_0 src1_sel:DWORD
	v_cndmask_b32_e64 v47, 0, v49, s[42:43]
	v_add_u32_e32 v38, v47, v38
	v_or_b32_sdwa v47, v37, v46 dst_sel:DWORD dst_unused:UNUSED_PAD src0_sel:DWORD src1_sel:WORD_0
	v_mov_b32_e32 v48, v46
.LBB107_100:
	s_or_b64 exec, exec, s[50:51]
	v_mov_b32_dpp v47, v47 row_bcast:31 row_mask:0xf bank_mask:0xf
	v_and_b32_e32 v50, 1, v48
	v_and_b32_e32 v47, 1, v47
	v_cmp_eq_u32_e64 s[42:43], 1, v50
	v_mov_b32_e32 v50, 0
	v_cndmask_b32_e64 v47, v47, 1, s[42:43]
	v_cmp_eq_u16_sdwa s[50:51], v48, v50 src0_sel:BYTE_0 src1_sel:DWORD
	v_cmp_lt_u32_e64 s[42:43], 31, v39
	v_mov_b32_dpp v49, v38 row_bcast:31 row_mask:0xf bank_mask:0xf
	v_cndmask_b32_e64 v46, v46, v47, s[42:43]
	s_and_b64 s[42:43], s[42:43], s[50:51]
	v_cndmask_b32_e64 v47, 0, v49, s[42:43]
	v_add_u32_e32 v38, v47, v38
	v_add_u32_e32 v47, -1, v39
	v_and_b32_e32 v48, 64, v39
	v_cmp_lt_i32_e64 s[42:43], v47, v48
	v_cndmask_b32_e64 v39, v47, v39, s[42:43]
	v_lshlrev_b32_e32 v39, 2, v39
	ds_bpermute_b32 v38, v39, v38
	v_or_b32_sdwa v37, v37, v46 dst_sel:DWORD dst_unused:UNUSED_PAD src0_sel:DWORD src1_sel:WORD_0
	ds_bpermute_b32 v37, v39, v37
	v_cmp_eq_u16_sdwa s[42:43], v4, v50 src0_sel:BYTE_0 src1_sel:DWORD
	v_and_b32_e32 v40, 1, v40
	s_waitcnt lgkmcnt(1)
	v_cndmask_b32_e64 v4, 0, v38, s[42:43]
	v_add_u32_e32 v3, v4, v3
	s_waitcnt lgkmcnt(0)
	v_and_b32_e32 v4, 1, v37
	v_cmp_eq_u32_e64 s[42:43], 1, v7
	v_cndmask_b32_e64 v4, v4, 1, s[42:43]
	v_cmp_eq_u32_e64 s[42:43], 0, v0
	v_cndmask_b32_e64 v3, v3, v44, s[42:43]
	v_cndmask_b32_e64 v7, 0, v3, s[36:37]
	;; [unrolled: 1-line block ×3, first 2 shown]
	v_add_u32_e32 v1, v7, v1
	v_cmp_eq_u32_e64 s[36:37], 1, v40
	ds_write_b8 v5, v4 offset:4
	v_cndmask_b32_e64 v4, v4, 1, s[36:37]
	ds_write2_b32 v5, v3, v1 offset1:2
	ds_write_b8 v5, v4 offset:12
	v_cndmask_b32_e64 v1, 0, v1, s[30:31]
	v_and_b32_e32 v8, 1, v8
	v_add_u32_e32 v1, v1, v2
	v_cmp_eq_u32_e64 s[30:31], 1, v8
	v_cndmask_b32_e64 v3, 0, v1, s[34:35]
	v_cndmask_b32_e64 v2, v4, 1, s[30:31]
	v_add_u32_e32 v3, v3, v6
	ds_write_b8 v5, v2 offset:20
	v_cndmask_b32_e64 v2, v2, 1, s[38:39]
	ds_write2_b32 v5, v1, v3 offset0:4 offset1:6
	ds_write_b8 v5, v2 offset:28
.LBB107_101:
	s_or_b64 exec, exec, s[48:49]
	v_cmp_eq_u32_e64 s[30:31], 0, v0
	v_cmp_ne_u32_e64 s[34:35], 0, v0
	s_waitcnt lgkmcnt(0)
	s_barrier
	s_and_saveexec_b64 s[36:37], s[34:35]
	s_cbranch_execz .LBB107_103
; %bb.102:
	v_add_u32_e32 v1, -1, v0
	v_lshrrev_b32_e32 v2, 2, v1
	v_and_b32_e32 v2, 0x3ffffff8, v2
	v_lshl_add_u32 v1, v1, 3, v2
	ds_read_b32 v44, v1
	ds_read_u8 v45, v1 offset:4
.LBB107_103:
	s_or_b64 exec, exec, s[36:37]
	s_and_saveexec_b64 s[36:37], vcc
	s_cbranch_execz .LBB107_123
; %bb.104:
	v_mov_b32_e32 v4, 0
	ds_read_b64 v[1:2], v4 offset:2096
	v_mbcnt_lo_u32_b32 v3, -1, 0
	v_mbcnt_hi_u32_b32 v40, -1, v3
	s_mov_b32 s43, 0
	v_cmp_eq_u32_e64 s[34:35], 0, v40
	s_and_saveexec_b64 s[38:39], s[34:35]
	s_cbranch_execz .LBB107_106
; %bb.105:
	s_add_i32 s42, s6, 64
	s_lshl_b64 s[42:43], s[42:43], 4
	s_add_u32 s42, s44, s42
	s_addc_u32 s43, s45, s43
	v_mov_b32_e32 v5, s42
	v_mov_b32_e32 v3, 1
	;; [unrolled: 1-line block ×3, first 2 shown]
	s_waitcnt lgkmcnt(0)
	;;#ASMSTART
	global_store_dwordx4 v[5:6], v[1:4] off	
s_waitcnt vmcnt(0)
	;;#ASMEND
.LBB107_106:
	s_or_b64 exec, exec, s[38:39]
	v_xad_u32 v37, v40, -1, s6
	v_add_u32_e32 v3, 64, v37
	v_lshlrev_b64 v[5:6], 4, v[3:4]
	v_mov_b32_e32 v3, s45
	v_add_co_u32_e32 v38, vcc, s44, v5
	v_addc_co_u32_e32 v39, vcc, v3, v6, vcc
	;;#ASMSTART
	global_load_dwordx4 v[5:8], v[38:39] off glc	
s_waitcnt vmcnt(0)
	;;#ASMEND
	v_cmp_eq_u16_sdwa s[42:43], v7, v4 src0_sel:BYTE_0 src1_sel:DWORD
	s_and_saveexec_b64 s[38:39], s[42:43]
	s_cbranch_execz .LBB107_110
; %bb.107:
	s_mov_b64 s[42:43], 0
	v_mov_b32_e32 v3, 0
.LBB107_108:                            ; =>This Inner Loop Header: Depth=1
	;;#ASMSTART
	global_load_dwordx4 v[5:8], v[38:39] off glc	
s_waitcnt vmcnt(0)
	;;#ASMEND
	v_cmp_ne_u16_sdwa s[48:49], v7, v3 src0_sel:BYTE_0 src1_sel:DWORD
	s_or_b64 s[42:43], s[48:49], s[42:43]
	s_andn2_b64 exec, exec, s[42:43]
	s_cbranch_execnz .LBB107_108
; %bb.109:
	s_or_b64 exec, exec, s[42:43]
.LBB107_110:
	s_or_b64 exec, exec, s[38:39]
	v_mov_b32_e32 v46, 2
	v_lshlrev_b64 v[3:4], v40, -1
	v_cmp_eq_u16_sdwa s[38:39], v7, v46 src0_sel:BYTE_0 src1_sel:DWORD
	v_and_b32_e32 v8, s39, v4
	v_or_b32_e32 v8, 0x80000000, v8
	v_and_b32_e32 v47, s38, v3
	v_ffbl_b32_e32 v8, v8
	v_and_b32_e32 v57, 63, v40
	v_add_u32_e32 v8, 32, v8
	v_ffbl_b32_e32 v47, v47
	v_cmp_ne_u32_e32 vcc, 63, v57
	v_min_u32_e32 v8, v47, v8
	v_addc_co_u32_e32 v47, vcc, 0, v40, vcc
	v_and_b32_e32 v39, 0xff, v6
	v_lshlrev_b32_e32 v47, 2, v47
	ds_bpermute_b32 v49, v47, v39
	ds_bpermute_b32 v50, v47, v5
	s_mov_b32 s38, 0
	v_and_b32_e32 v6, 1, v6
	v_mov_b32_e32 v38, v5
	s_mov_b32 s39, 1
	s_waitcnt lgkmcnt(1)
	v_and_b32_e32 v49, 1, v49
	v_cmp_eq_u32_e32 vcc, 1, v6
	v_cndmask_b32_e64 v6, v49, 1, vcc
	v_cmp_gt_u64_e32 vcc, s[38:39], v[38:39]
	v_add_u32_e32 v48, 1, v40
	v_and_b32_e32 v49, 0xffff, v6
	s_waitcnt lgkmcnt(0)
	v_cndmask_b32_e32 v38, 0, v50, vcc
	v_cmp_gt_u32_e32 vcc, v48, v8
	v_cndmask_b32_e32 v6, v6, v39, vcc
	v_cndmask_b32_e64 v38, v38, 0, vcc
	v_cndmask_b32_e32 v39, v49, v39, vcc
	v_cmp_gt_u32_e32 vcc, 62, v57
	v_cndmask_b32_e64 v49, 0, 2, vcc
	v_add_lshl_u32 v49, v49, v40, 2
	ds_bpermute_b32 v51, v49, v39
	v_add_u32_e32 v5, v38, v5
	ds_bpermute_b32 v38, v49, v5
	v_and_b32_e32 v52, 1, v6
	v_cmp_eq_u32_e32 vcc, 1, v52
	s_waitcnt lgkmcnt(1)
	v_and_b32_e32 v51, 1, v51
	v_add_u32_e32 v50, 2, v40
	v_cndmask_b32_e64 v51, v51, 1, vcc
	v_cmp_eq_u16_e32 vcc, 0, v6
	v_and_b32_e32 v52, 0xffff, v51
	s_waitcnt lgkmcnt(0)
	v_cndmask_b32_e32 v38, 0, v38, vcc
	v_cmp_gt_u32_e32 vcc, v50, v8
	v_cndmask_b32_e32 v6, v51, v6, vcc
	v_cndmask_b32_e64 v38, v38, 0, vcc
	v_cndmask_b32_e32 v39, v52, v39, vcc
	v_cmp_gt_u32_e32 vcc, 60, v57
	v_cndmask_b32_e64 v51, 0, 4, vcc
	v_add_lshl_u32 v51, v51, v40, 2
	ds_bpermute_b32 v55, v51, v39
	v_add_u32_e32 v5, v38, v5
	ds_bpermute_b32 v38, v51, v5
	v_and_b32_e32 v56, 1, v6
	v_cmp_eq_u32_e32 vcc, 1, v56
	s_waitcnt lgkmcnt(1)
	v_and_b32_e32 v55, 1, v55
	v_add_u32_e32 v52, 4, v40
	v_cndmask_b32_e64 v55, v55, 1, vcc
	v_cmp_eq_u16_e32 vcc, 0, v6
	;; [unrolled: 20-line block ×3, first 2 shown]
	v_and_b32_e32 v59, 0xffff, v58
	s_waitcnt lgkmcnt(0)
	v_cndmask_b32_e32 v38, 0, v38, vcc
	v_cmp_gt_u32_e32 vcc, v56, v8
	v_cndmask_b32_e32 v6, v58, v6, vcc
	v_cndmask_b32_e64 v38, v38, 0, vcc
	v_cndmask_b32_e32 v39, v59, v39, vcc
	v_cmp_gt_u32_e32 vcc, 48, v57
	v_cndmask_b32_e64 v57, 0, 16, vcc
	v_add_lshl_u32 v57, v57, v40, 2
	ds_bpermute_b32 v58, v57, v39
	v_add_u32_e32 v5, v38, v5
	ds_bpermute_b32 v59, v57, v5
	v_and_b32_e32 v38, 1, v6
	v_cmp_eq_u32_e32 vcc, 1, v38
	s_waitcnt lgkmcnt(1)
	v_and_b32_e32 v58, 1, v58
	v_mov_b32_e32 v38, 0
	v_add_u32_e32 v60, 16, v40
	v_cndmask_b32_e64 v58, v58, 1, vcc
	v_cmp_eq_u16_sdwa vcc, v6, v38 src0_sel:BYTE_0 src1_sel:DWORD
	s_waitcnt lgkmcnt(0)
	v_cndmask_b32_e32 v59, 0, v59, vcc
	v_cmp_gt_u32_e32 vcc, v60, v8
	v_and_b32_e32 v62, 0xffff, v58
	v_cndmask_b32_e32 v6, v58, v6, vcc
	v_cndmask_b32_e64 v58, v59, 0, vcc
	v_add_u32_e32 v5, v58, v5
	v_mov_b32_e32 v58, 0x80
	v_lshl_or_b32 v61, v40, 2, v58
	ds_bpermute_b32 v58, v61, v5
	v_cndmask_b32_e32 v39, v62, v39, vcc
	ds_bpermute_b32 v39, v61, v39
	v_cmp_eq_u16_sdwa vcc, v6, v38 src0_sel:BYTE_0 src1_sel:DWORD
	v_add_u32_e32 v62, 32, v40
	s_waitcnt lgkmcnt(1)
	v_cndmask_b32_e32 v40, 0, v58, vcc
	v_and_b32_e32 v58, 1, v6
	s_waitcnt lgkmcnt(0)
	v_and_b32_e32 v39, 1, v39
	v_cmp_eq_u32_e32 vcc, 1, v58
	v_cndmask_b32_e64 v39, v39, 1, vcc
	v_cmp_gt_u32_e32 vcc, v62, v8
	v_cndmask_b32_e64 v8, v40, 0, vcc
	v_cndmask_b32_e32 v6, v39, v6, vcc
	v_add_u32_e32 v5, v8, v5
	s_branch .LBB107_114
.LBB107_111:                            ;   in Loop: Header=BB107_114 Depth=1
	s_or_b64 exec, exec, s[48:49]
.LBB107_112:                            ;   in Loop: Header=BB107_114 Depth=1
	s_or_b64 exec, exec, s[42:43]
	v_cmp_eq_u16_sdwa s[42:43], v7, v46 src0_sel:BYTE_0 src1_sel:DWORD
	v_and_b32_e32 v40, 0xff, v6
	v_and_b32_e32 v8, s43, v4
	v_or_b32_e32 v8, 0x80000000, v8
	ds_bpermute_b32 v64, v47, v40
	v_and_b32_e32 v63, s42, v3
	v_ffbl_b32_e32 v8, v8
	v_add_u32_e32 v8, 32, v8
	v_ffbl_b32_e32 v63, v63
	v_min_u32_e32 v8, v63, v8
	ds_bpermute_b32 v63, v47, v5
	v_and_b32_e32 v6, 1, v6
	v_mov_b32_e32 v39, v5
	s_waitcnt lgkmcnt(1)
	v_and_b32_e32 v64, 1, v64
	v_cmp_eq_u32_e32 vcc, 1, v6
	v_cndmask_b32_e64 v6, v64, 1, vcc
	v_cmp_gt_u64_e32 vcc, s[38:39], v[39:40]
	v_and_b32_e32 v64, 0xffff, v6
	s_waitcnt lgkmcnt(0)
	v_cndmask_b32_e32 v39, 0, v63, vcc
	v_cmp_gt_u32_e32 vcc, v48, v8
	v_cndmask_b32_e32 v6, v6, v40, vcc
	v_cndmask_b32_e32 v40, v64, v40, vcc
	ds_bpermute_b32 v63, v49, v40
	v_cndmask_b32_e64 v39, v39, 0, vcc
	v_add_u32_e32 v5, v39, v5
	ds_bpermute_b32 v39, v49, v5
	v_and_b32_e32 v64, 1, v6
	s_waitcnt lgkmcnt(1)
	v_and_b32_e32 v63, 1, v63
	v_cmp_eq_u32_e32 vcc, 1, v64
	v_cndmask_b32_e64 v63, v63, 1, vcc
	v_cmp_eq_u16_e32 vcc, 0, v6
	v_and_b32_e32 v64, 0xffff, v63
	s_waitcnt lgkmcnt(0)
	v_cndmask_b32_e32 v39, 0, v39, vcc
	v_cmp_gt_u32_e32 vcc, v50, v8
	v_cndmask_b32_e32 v40, v64, v40, vcc
	v_cndmask_b32_e32 v6, v63, v6, vcc
	ds_bpermute_b32 v63, v51, v40
	v_cndmask_b32_e64 v39, v39, 0, vcc
	v_add_u32_e32 v5, v39, v5
	ds_bpermute_b32 v39, v51, v5
	v_and_b32_e32 v64, 1, v6
	s_waitcnt lgkmcnt(1)
	v_and_b32_e32 v63, 1, v63
	v_cmp_eq_u32_e32 vcc, 1, v64
	v_cndmask_b32_e64 v63, v63, 1, vcc
	v_cmp_eq_u16_e32 vcc, 0, v6
	;; [unrolled: 16-line block ×3, first 2 shown]
	v_and_b32_e32 v64, 0xffff, v63
	s_waitcnt lgkmcnt(0)
	v_cndmask_b32_e32 v39, 0, v39, vcc
	v_cmp_gt_u32_e32 vcc, v56, v8
	v_cndmask_b32_e32 v40, v64, v40, vcc
	v_cndmask_b32_e32 v6, v63, v6, vcc
	ds_bpermute_b32 v63, v57, v40
	v_cndmask_b32_e64 v39, v39, 0, vcc
	v_add_u32_e32 v5, v39, v5
	ds_bpermute_b32 v39, v57, v5
	v_and_b32_e32 v64, 1, v6
	s_waitcnt lgkmcnt(1)
	v_and_b32_e32 v63, 1, v63
	v_cmp_eq_u32_e32 vcc, 1, v64
	v_cndmask_b32_e64 v63, v63, 1, vcc
	v_cmp_eq_u16_sdwa vcc, v6, v38 src0_sel:BYTE_0 src1_sel:DWORD
	s_waitcnt lgkmcnt(0)
	v_cndmask_b32_e32 v39, 0, v39, vcc
	v_cmp_gt_u32_e32 vcc, v60, v8
	v_cndmask_b32_e64 v39, v39, 0, vcc
	v_cndmask_b32_e32 v6, v63, v6, vcc
	v_add_u32_e32 v5, v39, v5
	v_and_b32_e32 v63, 0xffff, v63
	ds_bpermute_b32 v39, v61, v5
	v_cndmask_b32_e32 v40, v63, v40, vcc
	ds_bpermute_b32 v40, v61, v40
	v_cmp_eq_u16_sdwa vcc, v6, v38 src0_sel:BYTE_0 src1_sel:DWORD
	v_and_b32_e32 v63, 1, v6
	s_waitcnt lgkmcnt(1)
	v_cndmask_b32_e32 v39, 0, v39, vcc
	v_cmp_eq_u32_e32 vcc, 1, v63
	s_waitcnt lgkmcnt(0)
	v_cndmask_b32_e64 v40, v40, 1, vcc
	v_cmp_gt_u32_e32 vcc, v62, v8
	v_cndmask_b32_e64 v8, v39, 0, vcc
	v_cndmask_b32_e32 v6, v40, v6, vcc
	v_add_u32_e32 v5, v8, v5
	v_cmp_eq_u16_sdwa vcc, v58, v38 src0_sel:BYTE_0 src1_sel:DWORD
	v_and_b32_e32 v8, 1, v58
	v_cndmask_b32_e32 v5, 0, v5, vcc
	v_and_b32_e32 v6, 1, v6
	v_cmp_eq_u32_e32 vcc, 1, v8
	v_subrev_u32_e32 v37, 64, v37
	v_add_u32_e32 v5, v5, v59
	v_cndmask_b32_e64 v6, v6, 1, vcc
	s_mov_b64 s[42:43], 0
.LBB107_113:                            ;   in Loop: Header=BB107_114 Depth=1
	s_and_b64 vcc, exec, s[42:43]
	s_cbranch_vccnz .LBB107_119
.LBB107_114:                            ; =>This Loop Header: Depth=1
                                        ;     Child Loop BB107_117 Depth 2
	v_cmp_ne_u16_sdwa s[42:43], v7, v46 src0_sel:BYTE_0 src1_sel:DWORD
	v_mov_b32_e32 v58, v6
	v_mov_b32_e32 v59, v5
	s_cmp_lg_u64 s[42:43], exec
	s_mov_b64 s[42:43], -1
                                        ; implicit-def: $vgpr6
                                        ; implicit-def: $vgpr5
                                        ; implicit-def: $vgpr7
	s_cbranch_scc1 .LBB107_113
; %bb.115:                              ;   in Loop: Header=BB107_114 Depth=1
	v_lshlrev_b64 v[5:6], 4, v[37:38]
	v_mov_b32_e32 v7, s45
	v_add_co_u32_e32 v39, vcc, s44, v5
	v_addc_co_u32_e32 v40, vcc, v7, v6, vcc
	;;#ASMSTART
	global_load_dwordx4 v[5:8], v[39:40] off glc	
s_waitcnt vmcnt(0)
	;;#ASMEND
	v_cmp_eq_u16_sdwa s[48:49], v7, v38 src0_sel:BYTE_0 src1_sel:DWORD
	s_and_saveexec_b64 s[42:43], s[48:49]
	s_cbranch_execz .LBB107_112
; %bb.116:                              ;   in Loop: Header=BB107_114 Depth=1
	s_mov_b64 s[48:49], 0
.LBB107_117:                            ;   Parent Loop BB107_114 Depth=1
                                        ; =>  This Inner Loop Header: Depth=2
	;;#ASMSTART
	global_load_dwordx4 v[5:8], v[39:40] off glc	
s_waitcnt vmcnt(0)
	;;#ASMEND
	v_cmp_ne_u16_sdwa s[50:51], v7, v38 src0_sel:BYTE_0 src1_sel:DWORD
	s_or_b64 s[48:49], s[50:51], s[48:49]
	s_andn2_b64 exec, exec, s[48:49]
	s_cbranch_execnz .LBB107_117
	s_branch .LBB107_111
.LBB107_118:
                                        ; implicit-def: $vgpr37
                                        ; implicit-def: $vgpr38
                                        ; implicit-def: $vgpr39
                                        ; implicit-def: $vgpr40
                                        ; implicit-def: $vgpr44
                                        ; implicit-def: $vgpr45
                                        ; implicit-def: $vgpr46
                                        ; implicit-def: $vgpr47
                                        ; implicit-def: $vgpr48
                                        ; implicit-def: $vgpr49
                                        ; implicit-def: $vgpr50
                                        ; implicit-def: $vgpr51
                                        ; implicit-def: $vgpr52
                                        ; implicit-def: $vgpr55
                                        ; implicit-def: $vgpr56
	s_cbranch_execnz .LBB107_124
	s_branch .LBB107_143
.LBB107_119:
	s_and_saveexec_b64 s[38:39], s[34:35]
	s_cbranch_execz .LBB107_121
; %bb.120:
	s_mov_b32 s7, 0
	v_mov_b32_e32 v4, 0
	s_add_i32 s6, s6, 64
	v_cmp_eq_u32_sdwa vcc, v2, v4 src0_sel:BYTE_0 src1_sel:DWORD
	s_lshl_b64 s[6:7], s[6:7], 4
	v_cndmask_b32_e32 v3, 0, v59, vcc
	v_and_b32_e32 v2, 1, v2
	s_add_u32 s6, s44, s6
	v_add_u32_e32 v1, v3, v1
	s_addc_u32 s7, s45, s7
	v_and_b32_e32 v3, 1, v58
	v_cmp_eq_u32_e32 vcc, 1, v2
	v_mov_b32_e32 v5, s6
	v_cndmask_b32_e64 v2, v3, 1, vcc
	v_mov_b32_e32 v3, 2
	v_mov_b32_e32 v6, s7
	;;#ASMSTART
	global_store_dwordx4 v[5:6], v[1:4] off	
s_waitcnt vmcnt(0)
	;;#ASMEND
.LBB107_121:
	s_or_b64 exec, exec, s[38:39]
	s_and_b64 exec, exec, s[30:31]
	s_cbranch_execz .LBB107_123
; %bb.122:
	v_mov_b32_e32 v1, 0
	ds_write_b32 v1, v59
	ds_write_b8 v1, v58 offset:4
.LBB107_123:
	s_or_b64 exec, exec, s[36:37]
	v_mov_b32_e32 v1, 0
	s_waitcnt lgkmcnt(0)
	s_barrier
	ds_read_b32 v2, v1
	v_cmp_eq_u16_sdwa vcc, v45, v1 src0_sel:BYTE_0 src1_sel:DWORD
	s_waitcnt lgkmcnt(0)
	v_cndmask_b32_e32 v3, 0, v2, vcc
	v_add_u32_e32 v3, v3, v44
	v_cndmask_b32_e64 v37, v3, v2, s[30:31]
	v_and_b32_e32 v2, 0xff, v10
	v_cmp_eq_u64_e32 vcc, 0, v[1:2]
	v_cndmask_b32_e32 v1, 0, v37, vcc
	v_add_u32_e32 v38, v1, v9
	v_cndmask_b32_e64 v1, 0, v38, s[2:3]
	v_add_u32_e32 v39, v1, v35
	v_cndmask_b32_e64 v1, 0, v39, s[40:41]
	;; [unrolled: 2-line block ×13, first 2 shown]
	v_add_u32_e32 v56, v1, v11
	s_branch .LBB107_143
.LBB107_124:
	s_cmp_eq_u64 s[54:55], 0
	v_mov_b32_e32 v5, s47
	s_cbranch_scc1 .LBB107_126
; %bb.125:
	v_mov_b32_e32 v1, 0
	global_load_dword v5, v1, s[54:55]
.LBB107_126:
	s_mov_b32 s28, 0
	s_mov_b32 s29, 1
	v_cmp_gt_u64_e32 vcc, s[28:29], v[35:36]
	v_cmp_gt_u64_e64 s[2:3], s[28:29], v[33:34]
	v_cndmask_b32_e32 v1, 0, v9, vcc
	v_add_u32_e32 v1, v1, v35
	v_cndmask_b32_e64 v1, 0, v1, s[2:3]
	v_cmp_gt_u64_e64 s[6:7], s[28:29], v[31:32]
	v_add_u32_e32 v1, v1, v33
	v_cndmask_b32_e64 v1, 0, v1, s[6:7]
	v_cmp_gt_u64_e64 s[8:9], s[28:29], v[29:30]
	v_add_u32_e32 v1, v1, v31
	v_cndmask_b32_e64 v1, 0, v1, s[8:9]
	v_cmp_gt_u64_e64 s[10:11], s[28:29], v[27:28]
	v_add_u32_e32 v1, v1, v29
	v_cndmask_b32_e64 v1, 0, v1, s[10:11]
	v_cmp_gt_u64_e64 s[12:13], s[28:29], v[25:26]
	v_add_u32_e32 v1, v1, v27
	v_cndmask_b32_e64 v1, 0, v1, s[12:13]
	v_cmp_gt_u64_e64 s[14:15], s[28:29], v[23:24]
	v_add_u32_e32 v1, v1, v25
	v_cndmask_b32_e64 v1, 0, v1, s[14:15]
	v_cmp_gt_u64_e64 s[16:17], s[28:29], v[21:22]
	v_add_u32_e32 v1, v1, v23
	v_cndmask_b32_e64 v1, 0, v1, s[16:17]
	v_cmp_gt_u64_e64 s[18:19], s[28:29], v[19:20]
	v_add_u32_e32 v1, v1, v21
	v_cndmask_b32_e64 v1, 0, v1, s[18:19]
	v_cmp_gt_u64_e64 s[20:21], s[28:29], v[17:18]
	v_add_u32_e32 v1, v1, v19
	v_cndmask_b32_e64 v1, 0, v1, s[20:21]
	v_cmp_gt_u64_e64 s[22:23], s[28:29], v[15:16]
	v_add_u32_e32 v1, v1, v17
	v_cndmask_b32_e64 v1, 0, v1, s[22:23]
	v_cmp_gt_u64_e64 s[24:25], s[28:29], v[13:14]
	v_add_u32_e32 v1, v1, v15
	v_cndmask_b32_e64 v1, 0, v1, s[24:25]
	v_cmp_gt_u64_e64 s[26:27], s[28:29], v[11:12]
	v_add_u32_e32 v1, v1, v13
	v_cndmask_b32_e64 v1, 0, v1, s[26:27]
	v_cmp_gt_u64_e64 s[28:29], s[28:29], v[53:54]
	v_or3_b32 v2, v43, v26, v28
	v_add_u32_e32 v1, v1, v11
	v_or3_b32 v2, v2, v30, v32
	v_cndmask_b32_e64 v1, 0, v1, s[28:29]
	v_or3_b32 v2, v2, v34, v36
	v_add_u32_e32 v6, v1, v53
	v_or3_b32 v1, v42, v16, v18
	v_or3_b32 v1, v1, v20, v2
	v_and_b32_e32 v2, 0xff, v1
	v_mov_b32_e32 v1, 0
	v_cmp_eq_u64_e64 s[28:29], 0, v[1:2]
	v_and_b32_e32 v1, 56, v41
	v_cndmask_b32_e64 v7, 1, v10, s[28:29]
	v_lshl_add_u32 v1, v0, 3, v1
	v_cmp_gt_u32_e64 s[28:29], 64, v0
	ds_write_b32 v1, v6
	ds_write_b8 v1, v7 offset:4
	s_waitcnt vmcnt(0) lgkmcnt(0)
	s_barrier
	s_and_saveexec_b64 s[40:41], s[28:29]
	s_cbranch_execz .LBB107_138
; %bb.127:
	v_and_b32_e32 v1, 0xf8, v0
	v_lshlrev_b32_e32 v2, 5, v0
	v_add_u32_e32 v8, v1, v2
	ds_read2_b32 v[1:2], v8 offset0:2 offset1:4
	ds_read_b64 v[3:4], v8
	ds_read_u8 v24, v8 offset:12
	ds_read_u8 v16, v8 offset:20
	ds_read_b32 v12, v8 offset:24
	ds_read_u8 v18, v8 offset:28
	s_waitcnt lgkmcnt(4)
	v_and_b32_e32 v14, 1, v4
	s_waitcnt lgkmcnt(3)
	v_cmp_eq_u16_e64 s[34:35], 0, v24
	s_waitcnt lgkmcnt(2)
	v_or_b32_e32 v22, v16, v24
	v_cndmask_b32_e64 v20, 0, v3, s[34:35]
	v_cmp_eq_u16_e64 s[30:31], 0, v22
	v_add_u32_e32 v20, v20, v1
	v_cmp_eq_u16_e64 s[28:29], 0, v16
	v_cndmask_b32_e64 v22, 1, v14, s[30:31]
	s_waitcnt lgkmcnt(0)
	v_cmp_eq_u16_e64 s[30:31], 0, v18
	v_and_b32_e32 v18, 1, v18
	v_cndmask_b32_e64 v20, 0, v20, s[28:29]
	v_cmp_eq_u32_e64 s[36:37], 1, v18
	v_add_u32_e32 v20, v20, v2
	v_cndmask_b32_e64 v26, v22, 1, s[36:37]
	v_mbcnt_lo_u32_b32 v22, -1, 0
	v_cndmask_b32_e64 v20, 0, v20, s[30:31]
	v_and_b32_e32 v18, 0xffffff00, v4
	v_mbcnt_hi_u32_b32 v22, -1, v22
	v_add_u32_e32 v20, v20, v12
	v_and_b32_e32 v32, 15, v22
	v_or_b32_sdwa v28, v18, v26 dst_sel:DWORD dst_unused:UNUSED_PAD src0_sel:DWORD src1_sel:WORD_0
	v_mov_b32_dpp v30, v20 row_shr:1 row_mask:0xf bank_mask:0xf
	v_cmp_ne_u32_e64 s[38:39], 0, v32
	v_mov_b32_dpp v34, v28 row_shr:1 row_mask:0xf bank_mask:0xf
	s_and_saveexec_b64 s[42:43], s[38:39]
; %bb.128:
	v_and_b32_e32 v28, 1, v26
	v_and_b32_e32 v34, 1, v34
	v_cmp_eq_u32_e64 s[38:39], 1, v28
	v_cndmask_b32_e64 v34, v34, 1, s[38:39]
	v_cmp_eq_u16_e64 s[38:39], 0, v26
	v_cndmask_b32_e64 v26, 0, v30, s[38:39]
	v_add_u32_e32 v20, v26, v20
	v_or_b32_sdwa v28, v18, v34 dst_sel:DWORD dst_unused:UNUSED_PAD src0_sel:DWORD src1_sel:WORD_0
	v_mov_b32_e32 v26, v34
; %bb.129:
	s_or_b64 exec, exec, s[42:43]
	v_mov_b32_dpp v34, v20 row_shr:2 row_mask:0xf bank_mask:0xf
	v_mov_b32_dpp v36, v28 row_shr:2 row_mask:0xf bank_mask:0xf
	v_cmp_lt_u32_e64 s[38:39], 1, v32
	v_mov_b32_e32 v30, v28
	s_and_saveexec_b64 s[42:43], s[38:39]
	s_cbranch_execz .LBB107_131
; %bb.130:
	v_and_b32_e32 v26, 1, v28
	v_and_b32_e32 v30, 1, v36
	v_cmp_eq_u32_e64 s[38:39], 1, v26
	v_cndmask_b32_e64 v26, v30, 1, s[38:39]
	v_mov_b32_e32 v30, 0
	v_cmp_eq_u16_sdwa s[38:39], v28, v30 src0_sel:BYTE_0 src1_sel:DWORD
	v_cndmask_b32_e64 v28, 0, v34, s[38:39]
	v_add_u32_e32 v20, v28, v20
	v_or_b32_sdwa v28, v18, v26 dst_sel:DWORD dst_unused:UNUSED_PAD src0_sel:DWORD src1_sel:WORD_0
	v_mov_b32_e32 v30, v26
.LBB107_131:
	s_or_b64 exec, exec, s[42:43]
	v_mov_b32_dpp v34, v20 row_shr:4 row_mask:0xf bank_mask:0xf
	v_mov_b32_dpp v36, v28 row_shr:4 row_mask:0xf bank_mask:0xf
	v_cmp_lt_u32_e64 s[38:39], 3, v32
	s_and_saveexec_b64 s[42:43], s[38:39]
	s_cbranch_execz .LBB107_133
; %bb.132:
	v_and_b32_e32 v26, 1, v30
	v_and_b32_e32 v28, 1, v36
	v_cmp_eq_u32_e64 s[38:39], 1, v26
	v_cndmask_b32_e64 v26, v28, 1, s[38:39]
	v_mov_b32_e32 v28, 0
	v_cmp_eq_u16_sdwa s[38:39], v30, v28 src0_sel:BYTE_0 src1_sel:DWORD
	v_cndmask_b32_e64 v28, 0, v34, s[38:39]
	v_add_u32_e32 v20, v28, v20
	v_or_b32_sdwa v28, v18, v26 dst_sel:DWORD dst_unused:UNUSED_PAD src0_sel:DWORD src1_sel:WORD_0
	v_mov_b32_e32 v30, v26
.LBB107_133:
	s_or_b64 exec, exec, s[42:43]
	v_mov_b32_dpp v34, v20 row_shr:8 row_mask:0xf bank_mask:0xf
	v_mov_b32_dpp v36, v28 row_shr:8 row_mask:0xf bank_mask:0xf
	v_cmp_lt_u32_e64 s[38:39], 7, v32
	s_and_saveexec_b64 s[42:43], s[38:39]
	s_cbranch_execz .LBB107_135
; %bb.134:
	v_and_b32_e32 v26, 1, v30
	v_and_b32_e32 v28, 1, v36
	v_cmp_eq_u32_e64 s[38:39], 1, v26
	v_cndmask_b32_e64 v26, v28, 1, s[38:39]
	v_mov_b32_e32 v28, 0
	v_cmp_eq_u16_sdwa s[38:39], v30, v28 src0_sel:BYTE_0 src1_sel:DWORD
	v_cndmask_b32_e64 v28, 0, v34, s[38:39]
	v_add_u32_e32 v20, v28, v20
	v_or_b32_sdwa v28, v18, v26 dst_sel:DWORD dst_unused:UNUSED_PAD src0_sel:DWORD src1_sel:WORD_0
	v_mov_b32_e32 v30, v26
.LBB107_135:
	s_or_b64 exec, exec, s[42:43]
	v_and_b32_e32 v36, 16, v22
	v_mov_b32_dpp v32, v20 row_bcast:15 row_mask:0xf bank_mask:0xf
	v_mov_b32_dpp v34, v28 row_bcast:15 row_mask:0xf bank_mask:0xf
	v_cmp_ne_u32_e64 s[38:39], 0, v36
	s_and_saveexec_b64 s[42:43], s[38:39]
	s_cbranch_execz .LBB107_137
; %bb.136:
	v_and_b32_e32 v26, 1, v30
	v_and_b32_e32 v28, 1, v34
	v_cmp_eq_u32_e64 s[38:39], 1, v26
	v_cndmask_b32_e64 v26, v28, 1, s[38:39]
	v_mov_b32_e32 v28, 0
	v_cmp_eq_u16_sdwa s[38:39], v30, v28 src0_sel:BYTE_0 src1_sel:DWORD
	v_cndmask_b32_e64 v28, 0, v32, s[38:39]
	v_add_u32_e32 v20, v28, v20
	v_or_b32_sdwa v28, v18, v26 dst_sel:DWORD dst_unused:UNUSED_PAD src0_sel:DWORD src1_sel:WORD_0
	v_mov_b32_e32 v30, v26
.LBB107_137:
	s_or_b64 exec, exec, s[42:43]
	v_mov_b32_dpp v28, v28 row_bcast:31 row_mask:0xf bank_mask:0xf
	v_and_b32_e32 v34, 1, v30
	v_and_b32_e32 v28, 1, v28
	v_cmp_eq_u32_e64 s[38:39], 1, v34
	v_mov_b32_e32 v34, 0
	v_cndmask_b32_e64 v28, v28, 1, s[38:39]
	v_cmp_eq_u16_sdwa s[42:43], v30, v34 src0_sel:BYTE_0 src1_sel:DWORD
	v_cmp_lt_u32_e64 s[38:39], 31, v22
	v_mov_b32_dpp v32, v20 row_bcast:31 row_mask:0xf bank_mask:0xf
	v_cndmask_b32_e64 v26, v26, v28, s[38:39]
	s_and_b64 s[38:39], s[38:39], s[42:43]
	v_cndmask_b32_e64 v28, 0, v32, s[38:39]
	v_add_u32_e32 v20, v28, v20
	v_add_u32_e32 v28, -1, v22
	v_and_b32_e32 v30, 64, v22
	v_cmp_lt_i32_e64 s[38:39], v28, v30
	v_cndmask_b32_e64 v22, v28, v22, s[38:39]
	v_lshlrev_b32_e32 v22, 2, v22
	ds_bpermute_b32 v20, v22, v20
	v_or_b32_sdwa v18, v18, v26 dst_sel:DWORD dst_unused:UNUSED_PAD src0_sel:DWORD src1_sel:WORD_0
	ds_bpermute_b32 v18, v22, v18
	v_cmp_eq_u16_sdwa s[38:39], v4, v34 src0_sel:BYTE_0 src1_sel:DWORD
	v_and_b32_e32 v24, 1, v24
	s_waitcnt lgkmcnt(1)
	v_cndmask_b32_e64 v4, 0, v20, s[38:39]
	v_add_u32_e32 v3, v4, v3
	s_waitcnt lgkmcnt(0)
	v_and_b32_e32 v4, 1, v18
	v_cmp_eq_u32_e64 s[38:39], 1, v14
	v_cndmask_b32_e64 v4, v4, 1, s[38:39]
	v_cmp_eq_u32_e64 s[38:39], 0, v0
	v_cndmask_b32_e64 v3, v3, v6, s[38:39]
	v_cndmask_b32_e64 v6, 0, v3, s[34:35]
	;; [unrolled: 1-line block ×3, first 2 shown]
	v_add_u32_e32 v1, v6, v1
	v_cmp_eq_u32_e64 s[34:35], 1, v24
	ds_write_b8 v8, v4 offset:4
	v_cndmask_b32_e64 v4, v4, 1, s[34:35]
	ds_write2_b32 v8, v3, v1 offset1:2
	ds_write_b8 v8, v4 offset:12
	v_cndmask_b32_e64 v1, 0, v1, s[28:29]
	v_and_b32_e32 v16, 1, v16
	v_add_u32_e32 v1, v1, v2
	v_cmp_eq_u32_e64 s[28:29], 1, v16
	v_cndmask_b32_e64 v3, 0, v1, s[30:31]
	v_cndmask_b32_e64 v2, v4, 1, s[28:29]
	v_add_u32_e32 v3, v3, v12
	ds_write_b8 v8, v2 offset:20
	v_cndmask_b32_e64 v2, v2, 1, s[36:37]
	ds_write2_b32 v8, v1, v3 offset0:4 offset1:6
	ds_write_b8 v8, v2 offset:28
.LBB107_138:
	s_or_b64 exec, exec, s[40:41]
	v_cmp_eq_u32_e64 s[28:29], 0, v0
	v_cmp_ne_u32_e64 s[30:31], 0, v0
	v_mov_b32_e32 v37, v5
	s_waitcnt lgkmcnt(0)
	s_barrier
	s_and_saveexec_b64 s[34:35], s[30:31]
	s_cbranch_execz .LBB107_140
; %bb.139:
	v_add_u32_e32 v1, -1, v0
	v_lshrrev_b32_e32 v2, 2, v1
	v_and_b32_e32 v2, 0x3ffffff8, v2
	v_lshl_add_u32 v1, v1, 3, v2
	ds_read_u8 v2, v1 offset:4
	ds_read_b32 v1, v1
	s_waitcnt lgkmcnt(1)
	v_cmp_eq_u16_e64 s[30:31], 0, v2
	v_cndmask_b32_e64 v2, 0, v5, s[30:31]
	s_waitcnt lgkmcnt(0)
	v_add_u32_e32 v37, v2, v1
.LBB107_140:
	s_or_b64 exec, exec, s[34:35]
	v_and_b32_e32 v2, 0xff, v10
	v_mov_b32_e32 v1, 0
	v_cmp_eq_u64_e64 s[30:31], 0, v[1:2]
	v_cndmask_b32_e64 v2, 0, v37, s[30:31]
	v_add_u32_e32 v38, v2, v9
	v_cndmask_b32_e32 v2, 0, v38, vcc
	v_add_u32_e32 v39, v2, v35
	v_cndmask_b32_e64 v2, 0, v39, s[2:3]
	v_add_u32_e32 v40, v2, v33
	v_cndmask_b32_e64 v2, 0, v40, s[6:7]
	;; [unrolled: 2-line block ×12, first 2 shown]
	s_and_saveexec_b64 s[2:3], s[28:29]
	s_cbranch_execz .LBB107_142
; %bb.141:
	ds_read_u8 v3, v1 offset:2100
	ds_read_b32 v4, v1 offset:2096
	v_mov_b32_e32 v7, v1
	s_add_u32 s6, s44, 0x400
	s_addc_u32 s7, s45, 0
	s_waitcnt lgkmcnt(1)
	v_and_b32_e32 v6, 0xffff, v3
	v_cmp_eq_u64_e32 vcc, 0, v[6:7]
	v_mov_b32_e32 v7, 2
	v_cndmask_b32_e32 v3, 0, v5, vcc
	s_waitcnt lgkmcnt(0)
	v_add_u32_e32 v5, v3, v4
	v_mov_b32_e32 v3, s6
	v_mov_b32_e32 v8, v1
	v_mov_b32_e32 v4, s7
	;;#ASMSTART
	global_store_dwordx4 v[3:4], v[5:8] off	
s_waitcnt vmcnt(0)
	;;#ASMEND
.LBB107_142:
	s_or_b64 exec, exec, s[2:3]
	v_add_u32_e32 v56, v2, v11
.LBB107_143:
	s_load_dwordx2 s[2:3], s[4:5], 0x18
	s_waitcnt lgkmcnt(0)
	s_add_u32 s2, s2, s52
	s_addc_u32 s3, s3, s53
	s_and_b64 vcc, exec, s[0:1]
	s_cbranch_vccz .LBB107_197
; %bb.144:
	s_add_i32 s33, s33, s46
	v_mul_u32_u24_e32 v1, 15, v0
	v_cmp_gt_u32_e32 vcc, s33, v1
	s_and_saveexec_b64 s[0:1], vcc
	s_cbranch_execz .LBB107_168
; %bb.145:
	v_add_u32_e32 v2, 1, v1
	v_cmp_gt_u32_e32 vcc, s33, v2
	s_and_saveexec_b64 s[4:5], vcc
	s_cbranch_execz .LBB107_167
; %bb.146:
	v_add_u32_e32 v2, 2, v1
	;; [unrolled: 5-line block ×11, first 2 shown]
	v_cmp_gt_u32_e32 vcc, s33, v2
	s_and_saveexec_b64 s[24:25], vcc
; %bb.156:
	v_add_u32_e32 v2, 12, v1
	v_cmp_gt_u32_e32 vcc, s33, v2
	s_and_saveexec_b64 s[26:27], vcc
	s_or_b64 exec, exec, s[26:27]
; %bb.157:
	s_or_b64 exec, exec, s[24:25]
.LBB107_158:
	s_or_b64 exec, exec, s[22:23]
.LBB107_159:
	s_or_b64 exec, exec, s[20:21]
.LBB107_160:
	s_or_b64 exec, exec, s[18:19]
.LBB107_161:
	s_or_b64 exec, exec, s[16:17]
.LBB107_162:
	s_or_b64 exec, exec, s[14:15]
.LBB107_163:
	s_or_b64 exec, exec, s[12:13]
.LBB107_164:
	s_or_b64 exec, exec, s[10:11]
.LBB107_165:
	s_or_b64 exec, exec, s[8:9]
.LBB107_166:
	s_or_b64 exec, exec, s[6:7]
.LBB107_167:
	s_or_b64 exec, exec, s[4:5]
.LBB107_168:
	s_or_b64 exec, exec, s[0:1]
	v_lshlrev_b32_e32 v17, 2, v1
	s_movk_i32 s0, 0xffc8
	v_mad_i32_i24 v1, v0, s0, v17
	s_barrier
	ds_write2_b32 v17, v37, v38 offset1:1
	ds_write2_b32 v17, v39, v40 offset0:2 offset1:3
	ds_write2_b32 v17, v44, v45 offset0:4 offset1:5
	;; [unrolled: 1-line block ×6, first 2 shown]
	ds_write_b32 v17, v56 offset:56
	s_waitcnt lgkmcnt(0)
	s_barrier
	ds_read2st64_b32 v[15:16], v1 offset0:4 offset1:8
	ds_read2st64_b32 v[13:14], v1 offset0:12 offset1:16
	;; [unrolled: 1-line block ×7, first 2 shown]
	v_mov_b32_e32 v4, s3
	v_add_co_u32_e32 v3, vcc, s2, v70
	v_addc_co_u32_e32 v4, vcc, 0, v4, vcc
	v_cmp_gt_u32_e32 vcc, s33, v0
	s_and_saveexec_b64 s[0:1], vcc
	s_cbranch_execz .LBB107_170
; %bb.169:
	v_mul_i32_i24_e32 v18, 0xffffffc8, v0
	v_add_u32_e32 v17, v17, v18
	ds_read_b32 v17, v17
	s_waitcnt lgkmcnt(0)
	v_cvt_f32_i32_e32 v17, v17
	global_store_dword v[3:4], v17, off
.LBB107_170:
	s_or_b64 exec, exec, s[0:1]
	v_or_b32_e32 v17, 0x100, v0
	v_cmp_gt_u32_e32 vcc, s33, v17
	s_and_saveexec_b64 s[0:1], vcc
	s_cbranch_execz .LBB107_172
; %bb.171:
	s_waitcnt lgkmcnt(6)
	v_cvt_f32_i32_e32 v15, v15
	global_store_dword v[3:4], v15, off offset:1024
.LBB107_172:
	s_or_b64 exec, exec, s[0:1]
	s_waitcnt lgkmcnt(6)
	v_or_b32_e32 v15, 0x200, v0
	v_cmp_gt_u32_e32 vcc, s33, v15
	s_and_saveexec_b64 s[0:1], vcc
	s_cbranch_execz .LBB107_174
; %bb.173:
	v_cvt_f32_i32_e32 v15, v16
	global_store_dword v[3:4], v15, off offset:2048
.LBB107_174:
	s_or_b64 exec, exec, s[0:1]
	v_or_b32_e32 v15, 0x300, v0
	v_cmp_gt_u32_e32 vcc, s33, v15
	s_and_saveexec_b64 s[0:1], vcc
	s_cbranch_execz .LBB107_176
; %bb.175:
	s_waitcnt lgkmcnt(5)
	v_cvt_f32_i32_e32 v13, v13
	global_store_dword v[3:4], v13, off offset:3072
.LBB107_176:
	s_or_b64 exec, exec, s[0:1]
	s_waitcnt lgkmcnt(5)
	v_or_b32_e32 v13, 0x400, v0
	v_cmp_gt_u32_e32 vcc, s33, v13
	s_and_saveexec_b64 s[0:1], vcc
	s_cbranch_execz .LBB107_178
; %bb.177:
	v_cvt_f32_i32_e32 v15, v14
	v_add_co_u32_e32 v13, vcc, 0x1000, v3
	v_addc_co_u32_e32 v14, vcc, 0, v4, vcc
	global_store_dword v[13:14], v15, off
.LBB107_178:
	s_or_b64 exec, exec, s[0:1]
	v_or_b32_e32 v13, 0x500, v0
	v_cmp_gt_u32_e32 vcc, s33, v13
	s_and_saveexec_b64 s[0:1], vcc
	s_cbranch_execz .LBB107_180
; %bb.179:
	s_waitcnt lgkmcnt(4)
	v_cvt_f32_i32_e32 v11, v11
	v_add_co_u32_e32 v13, vcc, 0x1000, v3
	v_addc_co_u32_e32 v14, vcc, 0, v4, vcc
	global_store_dword v[13:14], v11, off offset:1024
.LBB107_180:
	s_or_b64 exec, exec, s[0:1]
	s_waitcnt lgkmcnt(4)
	v_or_b32_e32 v11, 0x600, v0
	v_cmp_gt_u32_e32 vcc, s33, v11
	s_and_saveexec_b64 s[0:1], vcc
	s_cbranch_execz .LBB107_182
; %bb.181:
	v_cvt_f32_i32_e32 v13, v12
	v_add_co_u32_e32 v11, vcc, 0x1000, v3
	v_addc_co_u32_e32 v12, vcc, 0, v4, vcc
	global_store_dword v[11:12], v13, off offset:2048
.LBB107_182:
	s_or_b64 exec, exec, s[0:1]
	v_or_b32_e32 v11, 0x700, v0
	v_cmp_gt_u32_e32 vcc, s33, v11
	s_and_saveexec_b64 s[0:1], vcc
	s_cbranch_execz .LBB107_184
; %bb.183:
	s_waitcnt lgkmcnt(3)
	v_cvt_f32_i32_e32 v9, v9
	v_add_co_u32_e32 v11, vcc, 0x1000, v3
	v_addc_co_u32_e32 v12, vcc, 0, v4, vcc
	global_store_dword v[11:12], v9, off offset:3072
.LBB107_184:
	s_or_b64 exec, exec, s[0:1]
	s_waitcnt lgkmcnt(3)
	v_or_b32_e32 v9, 0x800, v0
	v_cmp_gt_u32_e32 vcc, s33, v9
	s_and_saveexec_b64 s[0:1], vcc
	s_cbranch_execz .LBB107_186
; %bb.185:
	v_cvt_f32_i32_e32 v11, v10
	v_add_co_u32_e32 v9, vcc, 0x2000, v3
	v_addc_co_u32_e32 v10, vcc, 0, v4, vcc
	global_store_dword v[9:10], v11, off
.LBB107_186:
	s_or_b64 exec, exec, s[0:1]
	v_or_b32_e32 v9, 0x900, v0
	v_cmp_gt_u32_e32 vcc, s33, v9
	s_and_saveexec_b64 s[0:1], vcc
	s_cbranch_execz .LBB107_188
; %bb.187:
	s_waitcnt lgkmcnt(2)
	v_cvt_f32_i32_e32 v7, v7
	v_add_co_u32_e32 v9, vcc, 0x2000, v3
	v_addc_co_u32_e32 v10, vcc, 0, v4, vcc
	global_store_dword v[9:10], v7, off offset:1024
.LBB107_188:
	s_or_b64 exec, exec, s[0:1]
	s_waitcnt lgkmcnt(2)
	v_or_b32_e32 v7, 0xa00, v0
	v_cmp_gt_u32_e32 vcc, s33, v7
	s_and_saveexec_b64 s[0:1], vcc
	s_cbranch_execz .LBB107_190
; %bb.189:
	v_cvt_f32_i32_e32 v9, v8
	v_add_co_u32_e32 v7, vcc, 0x2000, v3
	v_addc_co_u32_e32 v8, vcc, 0, v4, vcc
	global_store_dword v[7:8], v9, off offset:2048
.LBB107_190:
	s_or_b64 exec, exec, s[0:1]
	v_or_b32_e32 v7, 0xb00, v0
	v_cmp_gt_u32_e32 vcc, s33, v7
	s_and_saveexec_b64 s[0:1], vcc
	s_cbranch_execz .LBB107_192
; %bb.191:
	s_waitcnt lgkmcnt(1)
	v_cvt_f32_i32_e32 v5, v5
	v_add_co_u32_e32 v7, vcc, 0x2000, v3
	v_addc_co_u32_e32 v8, vcc, 0, v4, vcc
	global_store_dword v[7:8], v5, off offset:3072
.LBB107_192:
	s_or_b64 exec, exec, s[0:1]
	s_waitcnt lgkmcnt(1)
	v_or_b32_e32 v5, 0xc00, v0
	v_cmp_gt_u32_e32 vcc, s33, v5
	s_and_saveexec_b64 s[0:1], vcc
	s_cbranch_execz .LBB107_194
; %bb.193:
	v_cvt_f32_i32_e32 v7, v6
	v_add_co_u32_e32 v5, vcc, 0x3000, v3
	v_addc_co_u32_e32 v6, vcc, 0, v4, vcc
	global_store_dword v[5:6], v7, off
.LBB107_194:
	s_or_b64 exec, exec, s[0:1]
	v_or_b32_e32 v5, 0xd00, v0
	v_cmp_gt_u32_e32 vcc, s33, v5
	s_and_saveexec_b64 s[0:1], vcc
	s_cbranch_execz .LBB107_196
; %bb.195:
	s_waitcnt lgkmcnt(0)
	v_cvt_f32_i32_e32 v1, v1
	v_add_co_u32_e32 v3, vcc, 0x3000, v3
	v_addc_co_u32_e32 v4, vcc, 0, v4, vcc
	global_store_dword v[3:4], v1, off offset:1024
.LBB107_196:
	s_or_b64 exec, exec, s[0:1]
	s_waitcnt lgkmcnt(0)
	v_or_b32_e32 v1, 0xe00, v0
	v_cmp_gt_u32_e64 s[0:1], s33, v1
	s_branch .LBB107_199
.LBB107_197:
	s_mov_b64 s[0:1], 0
                                        ; implicit-def: $vgpr2
	s_cbranch_execz .LBB107_199
; %bb.198:
	v_mul_u32_u24_e32 v1, 60, v0
	s_waitcnt vmcnt(0)
	s_barrier
	ds_write2_b32 v1, v37, v38 offset1:1
	ds_write2_b32 v1, v39, v40 offset0:2 offset1:3
	ds_write2_b32 v1, v44, v45 offset0:4 offset1:5
	;; [unrolled: 1-line block ×6, first 2 shown]
	ds_write_b32 v1, v56 offset:56
	v_mul_i32_i24_e32 v1, 0xffffffc8, v0
	v_mad_u32_u24 v1, v0, 60, v1
	s_waitcnt lgkmcnt(0)
	s_barrier
	ds_read2st64_b32 v[3:4], v1 offset1:4
	ds_read2st64_b32 v[5:6], v1 offset0:8 offset1:12
	ds_read2st64_b32 v[7:8], v1 offset0:16 offset1:20
	;; [unrolled: 1-line block ×6, first 2 shown]
	ds_read_b32 v2, v1 offset:14336
	s_waitcnt lgkmcnt(7)
	v_cvt_f32_i32_e32 v3, v3
	v_cvt_f32_i32_e32 v4, v4
	v_mov_b32_e32 v1, s3
	v_add_co_u32_e32 v17, vcc, s2, v70
	s_waitcnt lgkmcnt(6)
	v_cvt_f32_i32_e32 v5, v5
	v_addc_co_u32_e32 v1, vcc, 0, v1, vcc
	v_cvt_f32_i32_e32 v6, v6
	s_movk_i32 s4, 0x1000
	global_store_dword v70, v3, s[2:3]
	global_store_dword v70, v4, s[2:3] offset:1024
	global_store_dword v70, v5, s[2:3] offset:2048
	;; [unrolled: 1-line block ×3, first 2 shown]
	s_waitcnt lgkmcnt(5)
	v_cvt_f32_i32_e32 v7, v7
	v_add_co_u32_e32 v3, vcc, s4, v17
	v_addc_co_u32_e32 v4, vcc, 0, v1, vcc
	s_movk_i32 s4, 0x2000
	v_cvt_f32_i32_e32 v8, v8
	v_add_co_u32_e32 v5, vcc, s4, v17
	s_waitcnt lgkmcnt(4)
	v_cvt_f32_i32_e32 v9, v9
	v_addc_co_u32_e32 v6, vcc, 0, v1, vcc
	v_cvt_f32_i32_e32 v10, v10
	global_store_dword v[5:6], v7, off offset:-4096
	global_store_dword v[3:4], v8, off offset:1024
	global_store_dword v[3:4], v9, off offset:2048
	;; [unrolled: 1-line block ×3, first 2 shown]
	s_waitcnt lgkmcnt(3)
	v_cvt_f32_i32_e32 v3, v11
	v_cvt_f32_i32_e32 v4, v12
	s_waitcnt lgkmcnt(2)
	v_cvt_f32_i32_e32 v7, v13
	v_cvt_f32_i32_e32 v8, v14
	global_store_dword v[5:6], v3, off
	global_store_dword v[5:6], v4, off offset:1024
	global_store_dword v[5:6], v7, off offset:2048
	;; [unrolled: 1-line block ×3, first 2 shown]
	s_waitcnt lgkmcnt(1)
	v_cvt_f32_i32_e32 v5, v15
	v_cvt_f32_i32_e32 v6, v16
	v_add_co_u32_e32 v3, vcc, 0x3000, v17
	v_addc_co_u32_e32 v4, vcc, 0, v1, vcc
	s_or_b64 s[0:1], s[0:1], exec
	global_store_dword v[3:4], v5, off
	global_store_dword v[3:4], v6, off offset:1024
.LBB107_199:
	s_and_saveexec_b64 s[4:5], s[0:1]
	s_cbranch_execnz .LBB107_201
; %bb.200:
	s_endpgm
.LBB107_201:
	v_lshlrev_b32_e32 v0, 2, v0
	v_mov_b32_e32 v1, s3
	v_add_co_u32_e32 v0, vcc, s2, v0
	s_waitcnt lgkmcnt(0)
	v_cvt_f32_i32_e32 v2, v2
	v_addc_co_u32_e32 v1, vcc, 0, v1, vcc
	v_add_co_u32_e32 v0, vcc, 0x3000, v0
	v_addc_co_u32_e32 v1, vcc, 0, v1, vcc
	global_store_dword v[0:1], v2, off offset:2048
	s_endpgm
.LBB107_202:
	global_load_sshort v3, v[1:2], off
	s_or_b64 exec, exec, s[42:43]
                                        ; implicit-def: $vgpr4
	s_and_saveexec_b64 s[2:3], s[36:37]
	s_cbranch_execz .LBB107_35
.LBB107_203:
	global_load_sshort v4, v[1:2], off offset:512
	s_or_b64 exec, exec, s[2:3]
                                        ; implicit-def: $vgpr5
	s_and_saveexec_b64 s[2:3], s[8:9]
	s_cbranch_execz .LBB107_36
.LBB107_204:
	global_load_sshort v5, v[1:2], off offset:1024
	s_or_b64 exec, exec, s[2:3]
                                        ; implicit-def: $vgpr6
	s_and_saveexec_b64 s[2:3], s[10:11]
	s_cbranch_execz .LBB107_37
.LBB107_205:
	global_load_sshort v6, v[1:2], off offset:1536
	s_or_b64 exec, exec, s[2:3]
                                        ; implicit-def: $vgpr7
	s_and_saveexec_b64 s[2:3], s[12:13]
	s_cbranch_execz .LBB107_38
.LBB107_206:
	global_load_sshort v7, v[1:2], off offset:2048
	s_or_b64 exec, exec, s[2:3]
                                        ; implicit-def: $vgpr8
	s_and_saveexec_b64 s[2:3], s[14:15]
	s_cbranch_execz .LBB107_39
.LBB107_207:
	global_load_sshort v8, v[1:2], off offset:2560
	s_or_b64 exec, exec, s[2:3]
                                        ; implicit-def: $vgpr9
	s_and_saveexec_b64 s[2:3], s[16:17]
	s_cbranch_execz .LBB107_40
.LBB107_208:
	global_load_sshort v9, v[1:2], off offset:3072
	s_or_b64 exec, exec, s[2:3]
                                        ; implicit-def: $vgpr10
	s_and_saveexec_b64 s[2:3], s[18:19]
	s_cbranch_execz .LBB107_41
.LBB107_209:
	global_load_sshort v10, v[1:2], off offset:3584
	s_or_b64 exec, exec, s[2:3]
                                        ; implicit-def: $vgpr11
	s_and_saveexec_b64 s[2:3], s[20:21]
	s_cbranch_execz .LBB107_42
.LBB107_210:
	v_add_co_u32_e32 v11, vcc, 0x1000, v1
	v_addc_co_u32_e32 v12, vcc, 0, v2, vcc
	global_load_sshort v11, v[11:12], off
	s_or_b64 exec, exec, s[2:3]
                                        ; implicit-def: $vgpr12
	s_and_saveexec_b64 s[2:3], s[22:23]
	s_cbranch_execz .LBB107_43
.LBB107_211:
	v_add_co_u32_e32 v12, vcc, 0x1000, v1
	v_addc_co_u32_e32 v13, vcc, 0, v2, vcc
	global_load_sshort v12, v[12:13], off offset:512
	s_or_b64 exec, exec, s[2:3]
                                        ; implicit-def: $vgpr13
	s_and_saveexec_b64 s[2:3], s[24:25]
	s_cbranch_execz .LBB107_44
.LBB107_212:
	v_add_co_u32_e32 v13, vcc, 0x1000, v1
	v_addc_co_u32_e32 v14, vcc, 0, v2, vcc
	global_load_sshort v13, v[13:14], off offset:1024
	s_or_b64 exec, exec, s[2:3]
                                        ; implicit-def: $vgpr14
	s_and_saveexec_b64 s[2:3], s[26:27]
	s_cbranch_execz .LBB107_45
.LBB107_213:
	v_add_co_u32_e32 v14, vcc, 0x1000, v1
	v_addc_co_u32_e32 v15, vcc, 0, v2, vcc
	global_load_sshort v14, v[14:15], off offset:1536
	s_or_b64 exec, exec, s[2:3]
                                        ; implicit-def: $vgpr15
	s_and_saveexec_b64 s[2:3], s[28:29]
	s_cbranch_execz .LBB107_46
.LBB107_214:
	v_add_co_u32_e32 v15, vcc, 0x1000, v1
	v_addc_co_u32_e32 v16, vcc, 0, v2, vcc
	global_load_sshort v15, v[15:16], off offset:2048
	s_or_b64 exec, exec, s[2:3]
                                        ; implicit-def: $vgpr16
	s_and_saveexec_b64 s[2:3], s[30:31]
	s_cbranch_execz .LBB107_47
.LBB107_215:
	v_add_co_u32_e32 v16, vcc, 0x1000, v1
	v_addc_co_u32_e32 v17, vcc, 0, v2, vcc
	global_load_sshort v16, v[16:17], off offset:2560
	s_or_b64 exec, exec, s[2:3]
                                        ; implicit-def: $vgpr17
	s_and_saveexec_b64 s[2:3], s[34:35]
	s_cbranch_execnz .LBB107_48
	s_branch .LBB107_49
	.section	.rodata,"a",@progbits
	.p2align	6, 0x0
	.amdhsa_kernel _ZN7rocprim6detail25device_scan_by_key_kernelILNS0_25lookback_scan_determinismE0ELb1ENS0_26wrapped_scan_by_key_configINS_14default_configEiiEEPiN6hipcub22TransformInputIteratorIsNS7_6CastOpIsEEPslEEPfsNS7_8EqualityENS7_3SumENS0_19lookback_scan_stateINS_5tupleIJibEEELb0ELb1EEEiEEvT2_T3_T4_T5_T6_T7_T8_mmmPKNSH_IJT9_bEEE
		.amdhsa_group_segment_fixed_size 17408
		.amdhsa_private_segment_fixed_size 0
		.amdhsa_kernarg_size 80
		.amdhsa_user_sgpr_count 6
		.amdhsa_user_sgpr_private_segment_buffer 1
		.amdhsa_user_sgpr_dispatch_ptr 0
		.amdhsa_user_sgpr_queue_ptr 0
		.amdhsa_user_sgpr_kernarg_segment_ptr 1
		.amdhsa_user_sgpr_dispatch_id 0
		.amdhsa_user_sgpr_flat_scratch_init 0
		.amdhsa_user_sgpr_private_segment_size 0
		.amdhsa_uses_dynamic_stack 0
		.amdhsa_system_sgpr_private_segment_wavefront_offset 0
		.amdhsa_system_sgpr_workgroup_id_x 1
		.amdhsa_system_sgpr_workgroup_id_y 0
		.amdhsa_system_sgpr_workgroup_id_z 0
		.amdhsa_system_sgpr_workgroup_info 0
		.amdhsa_system_vgpr_workitem_id 0
		.amdhsa_next_free_vgpr 75
		.amdhsa_next_free_sgpr 98
		.amdhsa_reserve_vcc 1
		.amdhsa_reserve_flat_scratch 0
		.amdhsa_float_round_mode_32 0
		.amdhsa_float_round_mode_16_64 0
		.amdhsa_float_denorm_mode_32 3
		.amdhsa_float_denorm_mode_16_64 3
		.amdhsa_dx10_clamp 1
		.amdhsa_ieee_mode 1
		.amdhsa_fp16_overflow 0
		.amdhsa_exception_fp_ieee_invalid_op 0
		.amdhsa_exception_fp_denorm_src 0
		.amdhsa_exception_fp_ieee_div_zero 0
		.amdhsa_exception_fp_ieee_overflow 0
		.amdhsa_exception_fp_ieee_underflow 0
		.amdhsa_exception_fp_ieee_inexact 0
		.amdhsa_exception_int_div_zero 0
	.end_amdhsa_kernel
	.section	.text._ZN7rocprim6detail25device_scan_by_key_kernelILNS0_25lookback_scan_determinismE0ELb1ENS0_26wrapped_scan_by_key_configINS_14default_configEiiEEPiN6hipcub22TransformInputIteratorIsNS7_6CastOpIsEEPslEEPfsNS7_8EqualityENS7_3SumENS0_19lookback_scan_stateINS_5tupleIJibEEELb0ELb1EEEiEEvT2_T3_T4_T5_T6_T7_T8_mmmPKNSH_IJT9_bEEE,"axG",@progbits,_ZN7rocprim6detail25device_scan_by_key_kernelILNS0_25lookback_scan_determinismE0ELb1ENS0_26wrapped_scan_by_key_configINS_14default_configEiiEEPiN6hipcub22TransformInputIteratorIsNS7_6CastOpIsEEPslEEPfsNS7_8EqualityENS7_3SumENS0_19lookback_scan_stateINS_5tupleIJibEEELb0ELb1EEEiEEvT2_T3_T4_T5_T6_T7_T8_mmmPKNSH_IJT9_bEEE,comdat
.Lfunc_end107:
	.size	_ZN7rocprim6detail25device_scan_by_key_kernelILNS0_25lookback_scan_determinismE0ELb1ENS0_26wrapped_scan_by_key_configINS_14default_configEiiEEPiN6hipcub22TransformInputIteratorIsNS7_6CastOpIsEEPslEEPfsNS7_8EqualityENS7_3SumENS0_19lookback_scan_stateINS_5tupleIJibEEELb0ELb1EEEiEEvT2_T3_T4_T5_T6_T7_T8_mmmPKNSH_IJT9_bEEE, .Lfunc_end107-_ZN7rocprim6detail25device_scan_by_key_kernelILNS0_25lookback_scan_determinismE0ELb1ENS0_26wrapped_scan_by_key_configINS_14default_configEiiEEPiN6hipcub22TransformInputIteratorIsNS7_6CastOpIsEEPslEEPfsNS7_8EqualityENS7_3SumENS0_19lookback_scan_stateINS_5tupleIJibEEELb0ELb1EEEiEEvT2_T3_T4_T5_T6_T7_T8_mmmPKNSH_IJT9_bEEE
                                        ; -- End function
	.set _ZN7rocprim6detail25device_scan_by_key_kernelILNS0_25lookback_scan_determinismE0ELb1ENS0_26wrapped_scan_by_key_configINS_14default_configEiiEEPiN6hipcub22TransformInputIteratorIsNS7_6CastOpIsEEPslEEPfsNS7_8EqualityENS7_3SumENS0_19lookback_scan_stateINS_5tupleIJibEEELb0ELb1EEEiEEvT2_T3_T4_T5_T6_T7_T8_mmmPKNSH_IJT9_bEEE.num_vgpr, 75
	.set _ZN7rocprim6detail25device_scan_by_key_kernelILNS0_25lookback_scan_determinismE0ELb1ENS0_26wrapped_scan_by_key_configINS_14default_configEiiEEPiN6hipcub22TransformInputIteratorIsNS7_6CastOpIsEEPslEEPfsNS7_8EqualityENS7_3SumENS0_19lookback_scan_stateINS_5tupleIJibEEELb0ELb1EEEiEEvT2_T3_T4_T5_T6_T7_T8_mmmPKNSH_IJT9_bEEE.num_agpr, 0
	.set _ZN7rocprim6detail25device_scan_by_key_kernelILNS0_25lookback_scan_determinismE0ELb1ENS0_26wrapped_scan_by_key_configINS_14default_configEiiEEPiN6hipcub22TransformInputIteratorIsNS7_6CastOpIsEEPslEEPfsNS7_8EqualityENS7_3SumENS0_19lookback_scan_stateINS_5tupleIJibEEELb0ELb1EEEiEEvT2_T3_T4_T5_T6_T7_T8_mmmPKNSH_IJT9_bEEE.numbered_sgpr, 56
	.set _ZN7rocprim6detail25device_scan_by_key_kernelILNS0_25lookback_scan_determinismE0ELb1ENS0_26wrapped_scan_by_key_configINS_14default_configEiiEEPiN6hipcub22TransformInputIteratorIsNS7_6CastOpIsEEPslEEPfsNS7_8EqualityENS7_3SumENS0_19lookback_scan_stateINS_5tupleIJibEEELb0ELb1EEEiEEvT2_T3_T4_T5_T6_T7_T8_mmmPKNSH_IJT9_bEEE.num_named_barrier, 0
	.set _ZN7rocprim6detail25device_scan_by_key_kernelILNS0_25lookback_scan_determinismE0ELb1ENS0_26wrapped_scan_by_key_configINS_14default_configEiiEEPiN6hipcub22TransformInputIteratorIsNS7_6CastOpIsEEPslEEPfsNS7_8EqualityENS7_3SumENS0_19lookback_scan_stateINS_5tupleIJibEEELb0ELb1EEEiEEvT2_T3_T4_T5_T6_T7_T8_mmmPKNSH_IJT9_bEEE.private_seg_size, 0
	.set _ZN7rocprim6detail25device_scan_by_key_kernelILNS0_25lookback_scan_determinismE0ELb1ENS0_26wrapped_scan_by_key_configINS_14default_configEiiEEPiN6hipcub22TransformInputIteratorIsNS7_6CastOpIsEEPslEEPfsNS7_8EqualityENS7_3SumENS0_19lookback_scan_stateINS_5tupleIJibEEELb0ELb1EEEiEEvT2_T3_T4_T5_T6_T7_T8_mmmPKNSH_IJT9_bEEE.uses_vcc, 1
	.set _ZN7rocprim6detail25device_scan_by_key_kernelILNS0_25lookback_scan_determinismE0ELb1ENS0_26wrapped_scan_by_key_configINS_14default_configEiiEEPiN6hipcub22TransformInputIteratorIsNS7_6CastOpIsEEPslEEPfsNS7_8EqualityENS7_3SumENS0_19lookback_scan_stateINS_5tupleIJibEEELb0ELb1EEEiEEvT2_T3_T4_T5_T6_T7_T8_mmmPKNSH_IJT9_bEEE.uses_flat_scratch, 0
	.set _ZN7rocprim6detail25device_scan_by_key_kernelILNS0_25lookback_scan_determinismE0ELb1ENS0_26wrapped_scan_by_key_configINS_14default_configEiiEEPiN6hipcub22TransformInputIteratorIsNS7_6CastOpIsEEPslEEPfsNS7_8EqualityENS7_3SumENS0_19lookback_scan_stateINS_5tupleIJibEEELb0ELb1EEEiEEvT2_T3_T4_T5_T6_T7_T8_mmmPKNSH_IJT9_bEEE.has_dyn_sized_stack, 0
	.set _ZN7rocprim6detail25device_scan_by_key_kernelILNS0_25lookback_scan_determinismE0ELb1ENS0_26wrapped_scan_by_key_configINS_14default_configEiiEEPiN6hipcub22TransformInputIteratorIsNS7_6CastOpIsEEPslEEPfsNS7_8EqualityENS7_3SumENS0_19lookback_scan_stateINS_5tupleIJibEEELb0ELb1EEEiEEvT2_T3_T4_T5_T6_T7_T8_mmmPKNSH_IJT9_bEEE.has_recursion, 0
	.set _ZN7rocprim6detail25device_scan_by_key_kernelILNS0_25lookback_scan_determinismE0ELb1ENS0_26wrapped_scan_by_key_configINS_14default_configEiiEEPiN6hipcub22TransformInputIteratorIsNS7_6CastOpIsEEPslEEPfsNS7_8EqualityENS7_3SumENS0_19lookback_scan_stateINS_5tupleIJibEEELb0ELb1EEEiEEvT2_T3_T4_T5_T6_T7_T8_mmmPKNSH_IJT9_bEEE.has_indirect_call, 0
	.section	.AMDGPU.csdata,"",@progbits
; Kernel info:
; codeLenInByte = 12752
; TotalNumSgprs: 60
; NumVgprs: 75
; ScratchSize: 0
; MemoryBound: 0
; FloatMode: 240
; IeeeMode: 1
; LDSByteSize: 17408 bytes/workgroup (compile time only)
; SGPRBlocks: 12
; VGPRBlocks: 18
; NumSGPRsForWavesPerEU: 102
; NumVGPRsForWavesPerEU: 75
; Occupancy: 3
; WaveLimiterHint : 1
; COMPUTE_PGM_RSRC2:SCRATCH_EN: 0
; COMPUTE_PGM_RSRC2:USER_SGPR: 6
; COMPUTE_PGM_RSRC2:TRAP_HANDLER: 0
; COMPUTE_PGM_RSRC2:TGID_X_EN: 1
; COMPUTE_PGM_RSRC2:TGID_Y_EN: 0
; COMPUTE_PGM_RSRC2:TGID_Z_EN: 0
; COMPUTE_PGM_RSRC2:TIDIG_COMP_CNT: 0
	.section	.text._ZN7rocprim6detail25device_scan_by_key_kernelILNS0_25lookback_scan_determinismE0ELb1ENS0_26wrapped_scan_by_key_configINS_14default_configEisEEPiN6hipcub22TransformInputIteratorIsNS7_6CastOpIsEEPslEEPfsNS7_8EqualityENS7_3MaxENS0_19lookback_scan_stateINS_5tupleIJsbEEELb1ELb1EEEsEEvT2_T3_T4_T5_T6_T7_T8_mmmPKNSH_IJT9_bEEE,"axG",@progbits,_ZN7rocprim6detail25device_scan_by_key_kernelILNS0_25lookback_scan_determinismE0ELb1ENS0_26wrapped_scan_by_key_configINS_14default_configEisEEPiN6hipcub22TransformInputIteratorIsNS7_6CastOpIsEEPslEEPfsNS7_8EqualityENS7_3MaxENS0_19lookback_scan_stateINS_5tupleIJsbEEELb1ELb1EEEsEEvT2_T3_T4_T5_T6_T7_T8_mmmPKNSH_IJT9_bEEE,comdat
	.protected	_ZN7rocprim6detail25device_scan_by_key_kernelILNS0_25lookback_scan_determinismE0ELb1ENS0_26wrapped_scan_by_key_configINS_14default_configEisEEPiN6hipcub22TransformInputIteratorIsNS7_6CastOpIsEEPslEEPfsNS7_8EqualityENS7_3MaxENS0_19lookback_scan_stateINS_5tupleIJsbEEELb1ELb1EEEsEEvT2_T3_T4_T5_T6_T7_T8_mmmPKNSH_IJT9_bEEE ; -- Begin function _ZN7rocprim6detail25device_scan_by_key_kernelILNS0_25lookback_scan_determinismE0ELb1ENS0_26wrapped_scan_by_key_configINS_14default_configEisEEPiN6hipcub22TransformInputIteratorIsNS7_6CastOpIsEEPslEEPfsNS7_8EqualityENS7_3MaxENS0_19lookback_scan_stateINS_5tupleIJsbEEELb1ELb1EEEsEEvT2_T3_T4_T5_T6_T7_T8_mmmPKNSH_IJT9_bEEE
	.globl	_ZN7rocprim6detail25device_scan_by_key_kernelILNS0_25lookback_scan_determinismE0ELb1ENS0_26wrapped_scan_by_key_configINS_14default_configEisEEPiN6hipcub22TransformInputIteratorIsNS7_6CastOpIsEEPslEEPfsNS7_8EqualityENS7_3MaxENS0_19lookback_scan_stateINS_5tupleIJsbEEELb1ELb1EEEsEEvT2_T3_T4_T5_T6_T7_T8_mmmPKNSH_IJT9_bEEE
	.p2align	8
	.type	_ZN7rocprim6detail25device_scan_by_key_kernelILNS0_25lookback_scan_determinismE0ELb1ENS0_26wrapped_scan_by_key_configINS_14default_configEisEEPiN6hipcub22TransformInputIteratorIsNS7_6CastOpIsEEPslEEPfsNS7_8EqualityENS7_3MaxENS0_19lookback_scan_stateINS_5tupleIJsbEEELb1ELb1EEEsEEvT2_T3_T4_T5_T6_T7_T8_mmmPKNSH_IJT9_bEEE,@function
_ZN7rocprim6detail25device_scan_by_key_kernelILNS0_25lookback_scan_determinismE0ELb1ENS0_26wrapped_scan_by_key_configINS_14default_configEisEEPiN6hipcub22TransformInputIteratorIsNS7_6CastOpIsEEPslEEPfsNS7_8EqualityENS7_3MaxENS0_19lookback_scan_stateINS_5tupleIJsbEEELb1ELb1EEEsEEvT2_T3_T4_T5_T6_T7_T8_mmmPKNSH_IJT9_bEEE: ; @_ZN7rocprim6detail25device_scan_by_key_kernelILNS0_25lookback_scan_determinismE0ELb1ENS0_26wrapped_scan_by_key_configINS_14default_configEisEEPiN6hipcub22TransformInputIteratorIsNS7_6CastOpIsEEPslEEPfsNS7_8EqualityENS7_3MaxENS0_19lookback_scan_stateINS_5tupleIJsbEEELb1ELb1EEEsEEvT2_T3_T4_T5_T6_T7_T8_mmmPKNSH_IJT9_bEEE
; %bb.0:
	s_endpgm
	.section	.rodata,"a",@progbits
	.p2align	6, 0x0
	.amdhsa_kernel _ZN7rocprim6detail25device_scan_by_key_kernelILNS0_25lookback_scan_determinismE0ELb1ENS0_26wrapped_scan_by_key_configINS_14default_configEisEEPiN6hipcub22TransformInputIteratorIsNS7_6CastOpIsEEPslEEPfsNS7_8EqualityENS7_3MaxENS0_19lookback_scan_stateINS_5tupleIJsbEEELb1ELb1EEEsEEvT2_T3_T4_T5_T6_T7_T8_mmmPKNSH_IJT9_bEEE
		.amdhsa_group_segment_fixed_size 0
		.amdhsa_private_segment_fixed_size 0
		.amdhsa_kernarg_size 80
		.amdhsa_user_sgpr_count 6
		.amdhsa_user_sgpr_private_segment_buffer 1
		.amdhsa_user_sgpr_dispatch_ptr 0
		.amdhsa_user_sgpr_queue_ptr 0
		.amdhsa_user_sgpr_kernarg_segment_ptr 1
		.amdhsa_user_sgpr_dispatch_id 0
		.amdhsa_user_sgpr_flat_scratch_init 0
		.amdhsa_user_sgpr_private_segment_size 0
		.amdhsa_uses_dynamic_stack 0
		.amdhsa_system_sgpr_private_segment_wavefront_offset 0
		.amdhsa_system_sgpr_workgroup_id_x 1
		.amdhsa_system_sgpr_workgroup_id_y 0
		.amdhsa_system_sgpr_workgroup_id_z 0
		.amdhsa_system_sgpr_workgroup_info 0
		.amdhsa_system_vgpr_workitem_id 0
		.amdhsa_next_free_vgpr 1
		.amdhsa_next_free_sgpr 0
		.amdhsa_reserve_vcc 0
		.amdhsa_reserve_flat_scratch 0
		.amdhsa_float_round_mode_32 0
		.amdhsa_float_round_mode_16_64 0
		.amdhsa_float_denorm_mode_32 3
		.amdhsa_float_denorm_mode_16_64 3
		.amdhsa_dx10_clamp 1
		.amdhsa_ieee_mode 1
		.amdhsa_fp16_overflow 0
		.amdhsa_exception_fp_ieee_invalid_op 0
		.amdhsa_exception_fp_denorm_src 0
		.amdhsa_exception_fp_ieee_div_zero 0
		.amdhsa_exception_fp_ieee_overflow 0
		.amdhsa_exception_fp_ieee_underflow 0
		.amdhsa_exception_fp_ieee_inexact 0
		.amdhsa_exception_int_div_zero 0
	.end_amdhsa_kernel
	.section	.text._ZN7rocprim6detail25device_scan_by_key_kernelILNS0_25lookback_scan_determinismE0ELb1ENS0_26wrapped_scan_by_key_configINS_14default_configEisEEPiN6hipcub22TransformInputIteratorIsNS7_6CastOpIsEEPslEEPfsNS7_8EqualityENS7_3MaxENS0_19lookback_scan_stateINS_5tupleIJsbEEELb1ELb1EEEsEEvT2_T3_T4_T5_T6_T7_T8_mmmPKNSH_IJT9_bEEE,"axG",@progbits,_ZN7rocprim6detail25device_scan_by_key_kernelILNS0_25lookback_scan_determinismE0ELb1ENS0_26wrapped_scan_by_key_configINS_14default_configEisEEPiN6hipcub22TransformInputIteratorIsNS7_6CastOpIsEEPslEEPfsNS7_8EqualityENS7_3MaxENS0_19lookback_scan_stateINS_5tupleIJsbEEELb1ELb1EEEsEEvT2_T3_T4_T5_T6_T7_T8_mmmPKNSH_IJT9_bEEE,comdat
.Lfunc_end108:
	.size	_ZN7rocprim6detail25device_scan_by_key_kernelILNS0_25lookback_scan_determinismE0ELb1ENS0_26wrapped_scan_by_key_configINS_14default_configEisEEPiN6hipcub22TransformInputIteratorIsNS7_6CastOpIsEEPslEEPfsNS7_8EqualityENS7_3MaxENS0_19lookback_scan_stateINS_5tupleIJsbEEELb1ELb1EEEsEEvT2_T3_T4_T5_T6_T7_T8_mmmPKNSH_IJT9_bEEE, .Lfunc_end108-_ZN7rocprim6detail25device_scan_by_key_kernelILNS0_25lookback_scan_determinismE0ELb1ENS0_26wrapped_scan_by_key_configINS_14default_configEisEEPiN6hipcub22TransformInputIteratorIsNS7_6CastOpIsEEPslEEPfsNS7_8EqualityENS7_3MaxENS0_19lookback_scan_stateINS_5tupleIJsbEEELb1ELb1EEEsEEvT2_T3_T4_T5_T6_T7_T8_mmmPKNSH_IJT9_bEEE
                                        ; -- End function
	.set _ZN7rocprim6detail25device_scan_by_key_kernelILNS0_25lookback_scan_determinismE0ELb1ENS0_26wrapped_scan_by_key_configINS_14default_configEisEEPiN6hipcub22TransformInputIteratorIsNS7_6CastOpIsEEPslEEPfsNS7_8EqualityENS7_3MaxENS0_19lookback_scan_stateINS_5tupleIJsbEEELb1ELb1EEEsEEvT2_T3_T4_T5_T6_T7_T8_mmmPKNSH_IJT9_bEEE.num_vgpr, 0
	.set _ZN7rocprim6detail25device_scan_by_key_kernelILNS0_25lookback_scan_determinismE0ELb1ENS0_26wrapped_scan_by_key_configINS_14default_configEisEEPiN6hipcub22TransformInputIteratorIsNS7_6CastOpIsEEPslEEPfsNS7_8EqualityENS7_3MaxENS0_19lookback_scan_stateINS_5tupleIJsbEEELb1ELb1EEEsEEvT2_T3_T4_T5_T6_T7_T8_mmmPKNSH_IJT9_bEEE.num_agpr, 0
	.set _ZN7rocprim6detail25device_scan_by_key_kernelILNS0_25lookback_scan_determinismE0ELb1ENS0_26wrapped_scan_by_key_configINS_14default_configEisEEPiN6hipcub22TransformInputIteratorIsNS7_6CastOpIsEEPslEEPfsNS7_8EqualityENS7_3MaxENS0_19lookback_scan_stateINS_5tupleIJsbEEELb1ELb1EEEsEEvT2_T3_T4_T5_T6_T7_T8_mmmPKNSH_IJT9_bEEE.numbered_sgpr, 0
	.set _ZN7rocprim6detail25device_scan_by_key_kernelILNS0_25lookback_scan_determinismE0ELb1ENS0_26wrapped_scan_by_key_configINS_14default_configEisEEPiN6hipcub22TransformInputIteratorIsNS7_6CastOpIsEEPslEEPfsNS7_8EqualityENS7_3MaxENS0_19lookback_scan_stateINS_5tupleIJsbEEELb1ELb1EEEsEEvT2_T3_T4_T5_T6_T7_T8_mmmPKNSH_IJT9_bEEE.num_named_barrier, 0
	.set _ZN7rocprim6detail25device_scan_by_key_kernelILNS0_25lookback_scan_determinismE0ELb1ENS0_26wrapped_scan_by_key_configINS_14default_configEisEEPiN6hipcub22TransformInputIteratorIsNS7_6CastOpIsEEPslEEPfsNS7_8EqualityENS7_3MaxENS0_19lookback_scan_stateINS_5tupleIJsbEEELb1ELb1EEEsEEvT2_T3_T4_T5_T6_T7_T8_mmmPKNSH_IJT9_bEEE.private_seg_size, 0
	.set _ZN7rocprim6detail25device_scan_by_key_kernelILNS0_25lookback_scan_determinismE0ELb1ENS0_26wrapped_scan_by_key_configINS_14default_configEisEEPiN6hipcub22TransformInputIteratorIsNS7_6CastOpIsEEPslEEPfsNS7_8EqualityENS7_3MaxENS0_19lookback_scan_stateINS_5tupleIJsbEEELb1ELb1EEEsEEvT2_T3_T4_T5_T6_T7_T8_mmmPKNSH_IJT9_bEEE.uses_vcc, 0
	.set _ZN7rocprim6detail25device_scan_by_key_kernelILNS0_25lookback_scan_determinismE0ELb1ENS0_26wrapped_scan_by_key_configINS_14default_configEisEEPiN6hipcub22TransformInputIteratorIsNS7_6CastOpIsEEPslEEPfsNS7_8EqualityENS7_3MaxENS0_19lookback_scan_stateINS_5tupleIJsbEEELb1ELb1EEEsEEvT2_T3_T4_T5_T6_T7_T8_mmmPKNSH_IJT9_bEEE.uses_flat_scratch, 0
	.set _ZN7rocprim6detail25device_scan_by_key_kernelILNS0_25lookback_scan_determinismE0ELb1ENS0_26wrapped_scan_by_key_configINS_14default_configEisEEPiN6hipcub22TransformInputIteratorIsNS7_6CastOpIsEEPslEEPfsNS7_8EqualityENS7_3MaxENS0_19lookback_scan_stateINS_5tupleIJsbEEELb1ELb1EEEsEEvT2_T3_T4_T5_T6_T7_T8_mmmPKNSH_IJT9_bEEE.has_dyn_sized_stack, 0
	.set _ZN7rocprim6detail25device_scan_by_key_kernelILNS0_25lookback_scan_determinismE0ELb1ENS0_26wrapped_scan_by_key_configINS_14default_configEisEEPiN6hipcub22TransformInputIteratorIsNS7_6CastOpIsEEPslEEPfsNS7_8EqualityENS7_3MaxENS0_19lookback_scan_stateINS_5tupleIJsbEEELb1ELb1EEEsEEvT2_T3_T4_T5_T6_T7_T8_mmmPKNSH_IJT9_bEEE.has_recursion, 0
	.set _ZN7rocprim6detail25device_scan_by_key_kernelILNS0_25lookback_scan_determinismE0ELb1ENS0_26wrapped_scan_by_key_configINS_14default_configEisEEPiN6hipcub22TransformInputIteratorIsNS7_6CastOpIsEEPslEEPfsNS7_8EqualityENS7_3MaxENS0_19lookback_scan_stateINS_5tupleIJsbEEELb1ELb1EEEsEEvT2_T3_T4_T5_T6_T7_T8_mmmPKNSH_IJT9_bEEE.has_indirect_call, 0
	.section	.AMDGPU.csdata,"",@progbits
; Kernel info:
; codeLenInByte = 4
; TotalNumSgprs: 4
; NumVgprs: 0
; ScratchSize: 0
; MemoryBound: 0
; FloatMode: 240
; IeeeMode: 1
; LDSByteSize: 0 bytes/workgroup (compile time only)
; SGPRBlocks: 0
; VGPRBlocks: 0
; NumSGPRsForWavesPerEU: 4
; NumVGPRsForWavesPerEU: 1
; Occupancy: 10
; WaveLimiterHint : 0
; COMPUTE_PGM_RSRC2:SCRATCH_EN: 0
; COMPUTE_PGM_RSRC2:USER_SGPR: 6
; COMPUTE_PGM_RSRC2:TRAP_HANDLER: 0
; COMPUTE_PGM_RSRC2:TGID_X_EN: 1
; COMPUTE_PGM_RSRC2:TGID_Y_EN: 0
; COMPUTE_PGM_RSRC2:TGID_Z_EN: 0
; COMPUTE_PGM_RSRC2:TIDIG_COMP_CNT: 0
	.section	.text._ZN7rocprim6detail25device_scan_by_key_kernelILNS0_25lookback_scan_determinismE0ELb1ENS0_26wrapped_scan_by_key_configINS_14default_configEisEEPiN6hipcub22TransformInputIteratorIsNS7_6CastOpIsEEPslEEPfsNS7_8EqualityENS7_3MaxENS0_19lookback_scan_stateINS_5tupleIJsbEEELb0ELb1EEEsEEvT2_T3_T4_T5_T6_T7_T8_mmmPKNSH_IJT9_bEEE,"axG",@progbits,_ZN7rocprim6detail25device_scan_by_key_kernelILNS0_25lookback_scan_determinismE0ELb1ENS0_26wrapped_scan_by_key_configINS_14default_configEisEEPiN6hipcub22TransformInputIteratorIsNS7_6CastOpIsEEPslEEPfsNS7_8EqualityENS7_3MaxENS0_19lookback_scan_stateINS_5tupleIJsbEEELb0ELb1EEEsEEvT2_T3_T4_T5_T6_T7_T8_mmmPKNSH_IJT9_bEEE,comdat
	.protected	_ZN7rocprim6detail25device_scan_by_key_kernelILNS0_25lookback_scan_determinismE0ELb1ENS0_26wrapped_scan_by_key_configINS_14default_configEisEEPiN6hipcub22TransformInputIteratorIsNS7_6CastOpIsEEPslEEPfsNS7_8EqualityENS7_3MaxENS0_19lookback_scan_stateINS_5tupleIJsbEEELb0ELb1EEEsEEvT2_T3_T4_T5_T6_T7_T8_mmmPKNSH_IJT9_bEEE ; -- Begin function _ZN7rocprim6detail25device_scan_by_key_kernelILNS0_25lookback_scan_determinismE0ELb1ENS0_26wrapped_scan_by_key_configINS_14default_configEisEEPiN6hipcub22TransformInputIteratorIsNS7_6CastOpIsEEPslEEPfsNS7_8EqualityENS7_3MaxENS0_19lookback_scan_stateINS_5tupleIJsbEEELb0ELb1EEEsEEvT2_T3_T4_T5_T6_T7_T8_mmmPKNSH_IJT9_bEEE
	.globl	_ZN7rocprim6detail25device_scan_by_key_kernelILNS0_25lookback_scan_determinismE0ELb1ENS0_26wrapped_scan_by_key_configINS_14default_configEisEEPiN6hipcub22TransformInputIteratorIsNS7_6CastOpIsEEPslEEPfsNS7_8EqualityENS7_3MaxENS0_19lookback_scan_stateINS_5tupleIJsbEEELb0ELb1EEEsEEvT2_T3_T4_T5_T6_T7_T8_mmmPKNSH_IJT9_bEEE
	.p2align	8
	.type	_ZN7rocprim6detail25device_scan_by_key_kernelILNS0_25lookback_scan_determinismE0ELb1ENS0_26wrapped_scan_by_key_configINS_14default_configEisEEPiN6hipcub22TransformInputIteratorIsNS7_6CastOpIsEEPslEEPfsNS7_8EqualityENS7_3MaxENS0_19lookback_scan_stateINS_5tupleIJsbEEELb0ELb1EEEsEEvT2_T3_T4_T5_T6_T7_T8_mmmPKNSH_IJT9_bEEE,@function
_ZN7rocprim6detail25device_scan_by_key_kernelILNS0_25lookback_scan_determinismE0ELb1ENS0_26wrapped_scan_by_key_configINS_14default_configEisEEPiN6hipcub22TransformInputIteratorIsNS7_6CastOpIsEEPslEEPfsNS7_8EqualityENS7_3MaxENS0_19lookback_scan_stateINS_5tupleIJsbEEELb0ELb1EEEsEEvT2_T3_T4_T5_T6_T7_T8_mmmPKNSH_IJT9_bEEE: ; @_ZN7rocprim6detail25device_scan_by_key_kernelILNS0_25lookback_scan_determinismE0ELb1ENS0_26wrapped_scan_by_key_configINS_14default_configEisEEPiN6hipcub22TransformInputIteratorIsNS7_6CastOpIsEEPslEEPfsNS7_8EqualityENS7_3MaxENS0_19lookback_scan_stateINS_5tupleIJsbEEELb0ELb1EEEsEEvT2_T3_T4_T5_T6_T7_T8_mmmPKNSH_IJT9_bEEE
; %bb.0:
	s_load_dwordx4 s[0:3], s[4:5], 0x0
	s_load_dword s7, s[4:5], 0x20
	s_load_dwordx8 s[36:43], s[4:5], 0x28
	s_load_dwordx2 s[46:47], s[4:5], 0x48
	s_mul_i32 s8, s6, 0xe00
	s_mov_b32 s9, 0
	s_lshl_b64 s[44:45], s[8:9], 2
	s_waitcnt lgkmcnt(0)
	s_add_u32 s50, s0, s44
	s_addc_u32 s51, s1, s45
	s_lshl_b64 s[0:1], s[8:9], 1
	s_add_u32 s48, s2, s0
	s_addc_u32 s49, s3, s1
	s_add_u32 s0, s40, s6
	s_addc_u32 s1, s41, 0
	s_add_u32 s8, s42, -1
	s_addc_u32 s9, s43, -1
	v_mov_b32_e32 v1, s8
	v_mov_b32_e32 v2, s9
	v_cmp_ge_u64_e64 s[0:1], s[0:1], v[1:2]
	s_mov_b64 s[2:3], -1
	s_and_b64 vcc, exec, s[0:1]
	s_mul_i32 s33, s8, 0xfffff200
	v_lshlrev_b32_e32 v21, 2, v0
	s_cbranch_vccz .LBB109_76
; %bb.1:
	s_load_dword s40, s[50:51], 0x0
	s_add_i32 s39, s33, s38
	v_mov_b32_e32 v2, s51
	v_add_co_u32_e32 v1, vcc, s50, v21
	v_addc_co_u32_e32 v2, vcc, 0, v2, vcc
	v_cmp_gt_u32_e64 s[2:3], s39, v0
	s_waitcnt lgkmcnt(0)
	v_mov_b32_e32 v3, s40
	s_and_saveexec_b64 s[8:9], s[2:3]
	s_cbranch_execz .LBB109_3
; %bb.2:
	global_load_dword v3, v[1:2], off
.LBB109_3:
	s_or_b64 exec, exec, s[8:9]
	v_or_b32_e32 v4, 0x100, v0
	v_cmp_gt_u32_e64 s[34:35], s39, v4
	v_mov_b32_e32 v4, s40
	s_and_saveexec_b64 s[8:9], s[34:35]
	s_cbranch_execz .LBB109_5
; %bb.4:
	global_load_dword v4, v[1:2], off offset:1024
.LBB109_5:
	s_or_b64 exec, exec, s[8:9]
	v_or_b32_e32 v5, 0x200, v0
	v_cmp_gt_u32_e64 s[8:9], s39, v5
	v_mov_b32_e32 v5, s40
	s_and_saveexec_b64 s[10:11], s[8:9]
	s_cbranch_execz .LBB109_7
; %bb.6:
	global_load_dword v5, v[1:2], off offset:2048
.LBB109_7:
	;; [unrolled: 9-line block ×3, first 2 shown]
	s_or_b64 exec, exec, s[12:13]
	v_or_b32_e32 v7, 0x400, v0
	v_cmp_gt_u32_e64 s[12:13], s39, v7
	v_mov_b32_e32 v7, s40
	s_and_saveexec_b64 s[14:15], s[12:13]
	s_cbranch_execz .LBB109_11
; %bb.10:
	v_add_co_u32_e32 v7, vcc, 0x1000, v1
	v_addc_co_u32_e32 v8, vcc, 0, v2, vcc
	global_load_dword v7, v[7:8], off
.LBB109_11:
	s_or_b64 exec, exec, s[14:15]
	v_or_b32_e32 v8, 0x500, v0
	v_cmp_gt_u32_e64 s[14:15], s39, v8
	v_mov_b32_e32 v8, s40
	s_and_saveexec_b64 s[16:17], s[14:15]
	s_cbranch_execz .LBB109_13
; %bb.12:
	v_add_co_u32_e32 v8, vcc, 0x1000, v1
	v_addc_co_u32_e32 v9, vcc, 0, v2, vcc
	global_load_dword v8, v[8:9], off offset:1024
.LBB109_13:
	s_or_b64 exec, exec, s[16:17]
	v_or_b32_e32 v9, 0x600, v0
	v_cmp_gt_u32_e64 s[16:17], s39, v9
	v_mov_b32_e32 v9, s40
	s_and_saveexec_b64 s[18:19], s[16:17]
	s_cbranch_execz .LBB109_15
; %bb.14:
	v_add_co_u32_e32 v9, vcc, 0x1000, v1
	v_addc_co_u32_e32 v10, vcc, 0, v2, vcc
	global_load_dword v9, v[9:10], off offset:2048
.LBB109_15:
	;; [unrolled: 11-line block ×3, first 2 shown]
	s_or_b64 exec, exec, s[20:21]
	v_or_b32_e32 v11, 0x800, v0
	v_cmp_gt_u32_e64 s[20:21], s39, v11
	v_mov_b32_e32 v11, s40
	s_and_saveexec_b64 s[22:23], s[20:21]
	s_cbranch_execz .LBB109_19
; %bb.18:
	v_add_co_u32_e32 v11, vcc, 0x2000, v1
	v_addc_co_u32_e32 v12, vcc, 0, v2, vcc
	global_load_dword v11, v[11:12], off
.LBB109_19:
	s_or_b64 exec, exec, s[22:23]
	v_or_b32_e32 v12, 0x900, v0
	v_cmp_gt_u32_e64 s[22:23], s39, v12
	v_mov_b32_e32 v12, s40
	s_and_saveexec_b64 s[24:25], s[22:23]
	s_cbranch_execz .LBB109_21
; %bb.20:
	v_add_co_u32_e32 v12, vcc, 0x2000, v1
	v_addc_co_u32_e32 v13, vcc, 0, v2, vcc
	global_load_dword v12, v[12:13], off offset:1024
.LBB109_21:
	s_or_b64 exec, exec, s[24:25]
	v_or_b32_e32 v13, 0xa00, v0
	v_cmp_gt_u32_e64 s[24:25], s39, v13
	v_mov_b32_e32 v13, s40
	s_and_saveexec_b64 s[26:27], s[24:25]
	s_cbranch_execz .LBB109_23
; %bb.22:
	v_add_co_u32_e32 v13, vcc, 0x2000, v1
	v_addc_co_u32_e32 v14, vcc, 0, v2, vcc
	global_load_dword v13, v[13:14], off offset:2048
.LBB109_23:
	;; [unrolled: 11-line block ×3, first 2 shown]
	s_or_b64 exec, exec, s[28:29]
	v_or_b32_e32 v15, 0xc00, v0
	v_cmp_gt_u32_e64 s[28:29], s39, v15
	v_mov_b32_e32 v15, s40
	s_and_saveexec_b64 s[30:31], s[28:29]
	s_cbranch_execz .LBB109_27
; %bb.26:
	v_add_co_u32_e32 v15, vcc, 0x3000, v1
	v_addc_co_u32_e32 v16, vcc, 0, v2, vcc
	global_load_dword v15, v[15:16], off
.LBB109_27:
	s_or_b64 exec, exec, s[30:31]
	v_or_b32_e32 v16, 0xd00, v0
	v_cmp_gt_u32_e64 s[30:31], s39, v16
	v_mov_b32_e32 v16, s40
	s_and_saveexec_b64 s[40:41], s[30:31]
	s_cbranch_execz .LBB109_29
; %bb.28:
	v_add_co_u32_e32 v1, vcc, 0x3000, v1
	v_addc_co_u32_e32 v2, vcc, 0, v2, vcc
	global_load_dword v16, v[1:2], off offset:1024
.LBB109_29:
	s_or_b64 exec, exec, s[40:41]
	s_waitcnt vmcnt(0)
	ds_write2st64_b32 v21, v3, v4 offset1:4
	ds_write2st64_b32 v21, v5, v6 offset0:8 offset1:12
	ds_write2st64_b32 v21, v7, v8 offset0:16 offset1:20
	;; [unrolled: 1-line block ×6, first 2 shown]
	v_mad_u32_u24 v13, v0, 52, v21
	s_waitcnt lgkmcnt(0)
	s_barrier
	ds_read2_b64 v[9:12], v13 offset1:1
	ds_read2_b64 v[5:8], v13 offset0:2 offset1:3
	ds_read2_b64 v[1:4], v13 offset0:4 offset1:5
	ds_read_b64 v[17:18], v13 offset:48
	s_load_dword s40, s[50:51], 0x0
	s_movk_i32 s41, 0xffcc
	v_mad_i32_i24 v15, v0, s41, v13
	s_movk_i32 s41, 0xff
	v_cmp_ne_u32_e32 vcc, s41, v0
	s_waitcnt lgkmcnt(0)
	v_mov_b32_e32 v41, s40
	ds_write_b32 v15, v9 offset:15360
	s_waitcnt lgkmcnt(0)
	s_barrier
	s_and_saveexec_b64 s[40:41], vcc
; %bb.30:
	ds_read_b32 v41, v15 offset:15364
; %bb.31:
	s_or_b64 exec, exec, s[40:41]
	v_lshlrev_b32_e32 v16, 1, v0
	v_mov_b32_e32 v14, s49
	v_add_co_u32_e32 v13, vcc, s48, v16
	v_addc_co_u32_e32 v14, vcc, 0, v14, vcc
	s_waitcnt lgkmcnt(0)
	s_barrier
                                        ; implicit-def: $vgpr19
	s_and_saveexec_b64 s[40:41], s[2:3]
	s_cbranch_execz .LBB109_146
; %bb.32:
	global_load_ushort v19, v[13:14], off
	s_or_b64 exec, exec, s[40:41]
                                        ; implicit-def: $vgpr20
	s_and_saveexec_b64 s[2:3], s[34:35]
	s_cbranch_execnz .LBB109_147
.LBB109_33:
	s_or_b64 exec, exec, s[2:3]
                                        ; implicit-def: $vgpr22
	s_and_saveexec_b64 s[2:3], s[8:9]
	s_cbranch_execz .LBB109_148
.LBB109_34:
	global_load_ushort v22, v[13:14], off offset:1024
	s_or_b64 exec, exec, s[2:3]
                                        ; implicit-def: $vgpr23
	s_and_saveexec_b64 s[2:3], s[10:11]
	s_cbranch_execnz .LBB109_149
.LBB109_35:
	s_or_b64 exec, exec, s[2:3]
                                        ; implicit-def: $vgpr24
	s_and_saveexec_b64 s[2:3], s[12:13]
	s_cbranch_execz .LBB109_150
.LBB109_36:
	global_load_ushort v24, v[13:14], off offset:2048
	s_or_b64 exec, exec, s[2:3]
                                        ; implicit-def: $vgpr25
	s_and_saveexec_b64 s[2:3], s[14:15]
	s_cbranch_execnz .LBB109_151
.LBB109_37:
	s_or_b64 exec, exec, s[2:3]
                                        ; implicit-def: $vgpr26
	s_and_saveexec_b64 s[2:3], s[16:17]
	s_cbranch_execz .LBB109_152
.LBB109_38:
	global_load_ushort v26, v[13:14], off offset:3072
	s_or_b64 exec, exec, s[2:3]
                                        ; implicit-def: $vgpr27
	s_and_saveexec_b64 s[2:3], s[18:19]
	s_cbranch_execnz .LBB109_153
.LBB109_39:
	s_or_b64 exec, exec, s[2:3]
                                        ; implicit-def: $vgpr28
	s_and_saveexec_b64 s[2:3], s[20:21]
	s_cbranch_execz .LBB109_154
.LBB109_40:
	v_add_co_u32_e32 v28, vcc, 0x1000, v13
	v_addc_co_u32_e32 v29, vcc, 0, v14, vcc
	global_load_ushort v28, v[28:29], off
	s_or_b64 exec, exec, s[2:3]
                                        ; implicit-def: $vgpr29
	s_and_saveexec_b64 s[2:3], s[22:23]
	s_cbranch_execnz .LBB109_155
.LBB109_41:
	s_or_b64 exec, exec, s[2:3]
                                        ; implicit-def: $vgpr30
	s_and_saveexec_b64 s[2:3], s[24:25]
	s_cbranch_execz .LBB109_156
.LBB109_42:
	v_add_co_u32_e32 v30, vcc, 0x1000, v13
	v_addc_co_u32_e32 v31, vcc, 0, v14, vcc
	global_load_ushort v30, v[30:31], off offset:1024
	s_or_b64 exec, exec, s[2:3]
                                        ; implicit-def: $vgpr31
	s_and_saveexec_b64 s[2:3], s[26:27]
	s_cbranch_execnz .LBB109_157
.LBB109_43:
	s_or_b64 exec, exec, s[2:3]
                                        ; implicit-def: $vgpr32
	s_and_saveexec_b64 s[2:3], s[28:29]
	s_cbranch_execz .LBB109_45
.LBB109_44:
	v_add_co_u32_e32 v32, vcc, 0x1000, v13
	v_addc_co_u32_e32 v33, vcc, 0, v14, vcc
	global_load_ushort v32, v[32:33], off offset:2048
.LBB109_45:
	s_or_b64 exec, exec, s[2:3]
	v_mul_u32_u24_e32 v45, 14, v0
                                        ; implicit-def: $vgpr33
	s_and_saveexec_b64 s[2:3], s[30:31]
	s_cbranch_execz .LBB109_47
; %bb.46:
	v_add_co_u32_e32 v13, vcc, 0x1000, v13
	v_addc_co_u32_e32 v14, vcc, 0, v14, vcc
	global_load_ushort v33, v[13:14], off offset:2560
.LBB109_47:
	s_or_b64 exec, exec, s[2:3]
	v_sub_u32_e32 v15, v15, v16
	s_waitcnt vmcnt(0)
	ds_write_b16 v15, v19
	ds_write_b16 v15, v20 offset:512
	ds_write_b16 v15, v22 offset:1024
	;; [unrolled: 1-line block ×13, first 2 shown]
	v_cmp_gt_u32_e32 vcc, s39, v45
	s_mov_b64 s[2:3], 0
	v_mov_b32_e32 v29, 0
	s_mov_b64 s[12:13], 0
	v_mov_b32_e32 v38, 0
	v_mov_b32_e32 v44, 0
	;; [unrolled: 1-line block ×24, first 2 shown]
	s_waitcnt lgkmcnt(0)
	s_barrier
                                        ; implicit-def: $sgpr8_sgpr9
                                        ; implicit-def: $vgpr31
	s_and_saveexec_b64 s[10:11], vcc
	s_cbranch_execz .LBB109_75
; %bb.48:
	v_mad_u32_u24 v13, v0, 26, v15
	ds_read_u16 v13, v13
	v_mov_b32_e32 v14, s7
	v_cmp_eq_u32_e32 vcc, v9, v10
	v_mov_b32_e32 v47, 0x10000
	v_mov_b32_e32 v38, 0
	s_waitcnt lgkmcnt(0)
	v_cndmask_b32_e32 v9, v14, v13, vcc
	v_or_b32_e32 v13, 1, v45
	v_cndmask_b32_e64 v29, v47, 0, vcc
	v_cmp_gt_u32_e32 vcc, s39, v13
	s_mov_b64 s[14:15], 0
	v_mov_b32_e32 v44, 0
	v_mov_b32_e32 v43, 0
	;; [unrolled: 1-line block ×22, first 2 shown]
                                        ; implicit-def: $sgpr8_sgpr9
                                        ; implicit-def: $vgpr31
	s_and_saveexec_b64 s[12:13], vcc
	s_cbranch_execz .LBB109_74
; %bb.49:
	v_mul_u32_u24_e32 v13, 26, v0
	v_add_u32_e32 v46, v15, v13
	ds_read_b128 v[13:16], v46 offset:2
	v_mov_b32_e32 v19, s7
	v_cmp_eq_u32_e32 vcc, v10, v11
	v_mov_b32_e32 v44, 0
	v_cndmask_b32_e64 v38, v47, 0, vcc
	s_waitcnt lgkmcnt(0)
	v_cndmask_b32_e32 v10, v19, v13, vcc
	v_add_u32_e32 v19, 2, v45
	v_cmp_gt_u32_e32 vcc, s39, v19
	s_mov_b64 s[16:17], 0
	v_mov_b32_e32 v43, 0
	v_mov_b32_e32 v42, 0
	;; [unrolled: 1-line block ×20, first 2 shown]
                                        ; implicit-def: $sgpr8_sgpr9
                                        ; implicit-def: $vgpr31
	s_and_saveexec_b64 s[14:15], vcc
	s_cbranch_execz .LBB109_73
; %bb.50:
	v_mov_b32_e32 v19, s7
	v_cmp_eq_u32_e32 vcc, v11, v12
	v_mov_b32_e32 v30, 0x10000
	v_cndmask_b32_sdwa v13, v19, v13, vcc dst_sel:DWORD dst_unused:UNUSED_PAD src0_sel:DWORD src1_sel:WORD_1
	v_add_u32_e32 v19, 3, v45
	v_cndmask_b32_e64 v11, v30, 0, vcc
	v_mov_b32_e32 v43, 0
	v_cmp_gt_u32_e32 vcc, s39, v19
	s_mov_b64 s[18:19], 0
	v_mov_b32_e32 v42, 0
	v_mov_b32_e32 v40, 0
	;; [unrolled: 1-line block ×18, first 2 shown]
                                        ; implicit-def: $sgpr8_sgpr9
                                        ; implicit-def: $vgpr31
	s_and_saveexec_b64 s[16:17], vcc
	s_cbranch_execz .LBB109_72
; %bb.51:
	v_mov_b32_e32 v19, s7
	v_cmp_eq_u32_e32 vcc, v12, v5
	v_cndmask_b32_e32 v12, v19, v14, vcc
	v_add_u32_e32 v19, 4, v45
	v_mov_b32_e32 v42, 0
	v_cndmask_b32_e64 v28, v30, 0, vcc
	v_cmp_gt_u32_e32 vcc, s39, v19
	s_mov_b64 s[20:21], 0
	v_mov_b32_e32 v40, 0
	v_mov_b32_e32 v39, 0
	;; [unrolled: 1-line block ×16, first 2 shown]
                                        ; implicit-def: $sgpr8_sgpr9
                                        ; implicit-def: $vgpr31
	s_and_saveexec_b64 s[18:19], vcc
	s_cbranch_execz .LBB109_71
; %bb.52:
	v_mov_b32_e32 v19, s7
	v_mov_b32_e32 v30, 0x10000
	v_cmp_eq_u32_e32 vcc, v5, v6
	v_add_u32_e32 v5, 5, v45
	v_cndmask_b32_e64 v27, v30, 0, vcc
	v_cndmask_b32_sdwa v14, v19, v14, vcc dst_sel:DWORD dst_unused:UNUSED_PAD src0_sel:DWORD src1_sel:WORD_1
	v_mov_b32_e32 v40, 0
	v_cmp_gt_u32_e32 vcc, s39, v5
	s_mov_b64 s[22:23], 0
	v_mov_b32_e32 v39, 0
	v_mov_b32_e32 v37, 0
	;; [unrolled: 1-line block ×14, first 2 shown]
                                        ; implicit-def: $sgpr8_sgpr9
                                        ; implicit-def: $vgpr31
	s_and_saveexec_b64 s[20:21], vcc
	s_cbranch_execz .LBB109_70
; %bb.53:
	v_mov_b32_e32 v5, s7
	v_cmp_eq_u32_e32 vcc, v6, v7
	v_cndmask_b32_e32 v26, v5, v15, vcc
	v_add_u32_e32 v5, 6, v45
	v_mov_b32_e32 v39, 0
	v_cndmask_b32_e64 v30, v30, 0, vcc
	v_cmp_gt_u32_e32 vcc, s39, v5
	s_mov_b64 s[24:25], 0
	v_mov_b32_e32 v37, 0
	v_mov_b32_e32 v36, 0
	;; [unrolled: 1-line block ×12, first 2 shown]
                                        ; implicit-def: $sgpr8_sgpr9
                                        ; implicit-def: $vgpr31
	s_and_saveexec_b64 s[22:23], vcc
	s_cbranch_execz .LBB109_69
; %bb.54:
	v_mov_b32_e32 v6, s7
	v_cmp_eq_u32_e32 vcc, v7, v8
	v_mov_b32_e32 v5, 0x10000
	v_cndmask_b32_sdwa v15, v6, v15, vcc dst_sel:DWORD dst_unused:UNUSED_PAD src0_sel:DWORD src1_sel:WORD_1
	v_add_u32_e32 v6, 7, v45
	v_cndmask_b32_e64 v7, v5, 0, vcc
	v_mov_b32_e32 v37, 0
	v_cmp_gt_u32_e32 vcc, s39, v6
	s_mov_b64 s[26:27], 0
	v_mov_b32_e32 v36, 0
	v_mov_b32_e32 v35, 0
	;; [unrolled: 1-line block ×10, first 2 shown]
                                        ; implicit-def: $sgpr8_sgpr9
                                        ; implicit-def: $vgpr31
	s_and_saveexec_b64 s[24:25], vcc
	s_cbranch_execz .LBB109_68
; %bb.55:
	v_cmp_eq_u32_e32 vcc, v8, v1
	v_mov_b32_e32 v6, s7
	v_cndmask_b32_e64 v24, v5, 0, vcc
	v_add_u32_e32 v5, 8, v45
	v_cndmask_b32_e32 v8, v6, v16, vcc
	v_mov_b32_e32 v36, 0
	v_cmp_gt_u32_e32 vcc, s39, v5
	s_mov_b64 s[28:29], 0
	v_mov_b32_e32 v35, 0
	v_mov_b32_e32 v34, 0
	;; [unrolled: 1-line block ×8, first 2 shown]
                                        ; implicit-def: $sgpr8_sgpr9
                                        ; implicit-def: $vgpr31
	s_and_saveexec_b64 s[26:27], vcc
	s_cbranch_execz .LBB109_67
; %bb.56:
	v_mov_b32_e32 v5, s7
	v_cmp_eq_u32_e32 vcc, v1, v2
	v_mov_b32_e32 v23, 0x10000
	v_cndmask_b32_sdwa v16, v5, v16, vcc dst_sel:DWORD dst_unused:UNUSED_PAD src0_sel:DWORD src1_sel:WORD_1
	v_add_u32_e32 v5, 9, v45
	v_cndmask_b32_e64 v1, v23, 0, vcc
	v_mov_b32_e32 v35, 0
	v_cmp_gt_u32_e32 vcc, s39, v5
	s_mov_b64 s[30:31], 0
	v_mov_b32_e32 v34, 0
	v_mov_b32_e32 v33, 0
	;; [unrolled: 1-line block ×6, first 2 shown]
                                        ; implicit-def: $sgpr8_sgpr9
                                        ; implicit-def: $vgpr31
	s_and_saveexec_b64 s[28:29], vcc
	s_cbranch_execz .LBB109_66
; %bb.57:
	ds_read_b64 v[5:6], v46 offset:18
	v_mov_b32_e32 v19, s7
	v_cmp_eq_u32_e32 vcc, v2, v3
	v_mov_b32_e32 v34, 0
	v_cndmask_b32_e64 v22, v23, 0, vcc
	s_waitcnt lgkmcnt(0)
	v_cndmask_b32_e32 v2, v19, v5, vcc
	v_add_u32_e32 v19, 10, v45
	v_cmp_gt_u32_e32 vcc, s39, v19
	s_mov_b64 s[34:35], 0
	v_mov_b32_e32 v33, 0
	v_mov_b32_e32 v32, 0
	;; [unrolled: 1-line block ×4, first 2 shown]
                                        ; implicit-def: $sgpr8_sgpr9
                                        ; implicit-def: $vgpr31
	s_and_saveexec_b64 s[30:31], vcc
	s_cbranch_execz .LBB109_65
; %bb.58:
	v_mov_b32_e32 v19, s7
	v_cmp_eq_u32_e32 vcc, v3, v4
	v_mov_b32_e32 v20, 0x10000
	v_cndmask_b32_sdwa v5, v19, v5, vcc dst_sel:DWORD dst_unused:UNUSED_PAD src0_sel:DWORD src1_sel:WORD_1
	v_add_u32_e32 v19, 11, v45
	v_cndmask_b32_e64 v3, v20, 0, vcc
	v_mov_b32_e32 v33, 0
	v_cmp_gt_u32_e32 vcc, s39, v19
	s_mov_b64 s[40:41], 0
	v_mov_b32_e32 v32, 0
	v_mov_b32_e32 v19, 0
                                        ; implicit-def: $sgpr8_sgpr9
                                        ; implicit-def: $vgpr31
	s_and_saveexec_b64 s[34:35], vcc
	s_cbranch_execz .LBB109_64
; %bb.59:
	v_mov_b32_e32 v19, s7
	v_cmp_eq_u32_e32 vcc, v4, v17
	v_cndmask_b32_e32 v4, v19, v6, vcc
	v_cndmask_b32_e64 v19, v20, 0, vcc
	v_add_u32_e32 v20, 12, v45
	v_mov_b32_e32 v32, 0
	v_cmp_gt_u32_e32 vcc, s39, v20
	s_mov_b64 s[42:43], 0
                                        ; implicit-def: $sgpr8_sgpr9
                                        ; implicit-def: $vgpr31
	s_and_saveexec_b64 s[40:41], vcc
	s_cbranch_execz .LBB109_63
; %bb.60:
	v_mov_b32_e32 v20, s7
	v_cmp_eq_u32_e32 vcc, v17, v18
	v_mov_b32_e32 v23, 0x10000
	v_cndmask_b32_sdwa v6, v20, v6, vcc dst_sel:DWORD dst_unused:UNUSED_PAD src0_sel:DWORD src1_sel:WORD_1
	v_add_u32_e32 v20, 13, v45
	v_cndmask_b32_e64 v17, v23, 0, vcc
	v_cmp_gt_u32_e32 vcc, s39, v20
                                        ; implicit-def: $sgpr8_sgpr9
                                        ; implicit-def: $vgpr31
	s_and_saveexec_b64 s[52:53], vcc
	s_xor_b64 s[52:53], exec, s[52:53]
	s_cbranch_execz .LBB109_62
; %bb.61:
	ds_read_u16 v20, v46 offset:26
	v_mov_b32_e32 v23, s7
	v_cmp_ne_u32_e64 s[8:9], v18, v41
	s_mov_b64 s[42:43], exec
	s_waitcnt lgkmcnt(0)
	v_cndmask_b32_e64 v31, v20, v23, s[8:9]
.LBB109_62:
	s_or_b64 exec, exec, s[52:53]
	v_or_b32_sdwa v32, v17, v6 dst_sel:DWORD dst_unused:UNUSED_PAD src0_sel:DWORD src1_sel:WORD_0
	s_and_b64 s[42:43], s[42:43], exec
.LBB109_63:
	s_or_b64 exec, exec, s[40:41]
	v_or_b32_sdwa v33, v19, v4 dst_sel:DWORD dst_unused:UNUSED_PAD src0_sel:DWORD src1_sel:WORD_0
	s_and_b64 s[40:41], s[42:43], exec
	v_mov_b32_e32 v19, v32
.LBB109_64:
	s_or_b64 exec, exec, s[34:35]
	v_or_b32_sdwa v34, v3, v5 dst_sel:DWORD dst_unused:UNUSED_PAD src0_sel:DWORD src1_sel:WORD_0
	s_and_b64 s[34:35], s[40:41], exec
	v_mov_b32_e32 v20, v33
.LBB109_65:
	s_or_b64 exec, exec, s[30:31]
	v_or_b32_sdwa v35, v22, v2 dst_sel:DWORD dst_unused:UNUSED_PAD src0_sel:DWORD src1_sel:WORD_0
	s_and_b64 s[30:31], s[34:35], exec
	v_mov_b32_e32 v22, v34
.LBB109_66:
	s_or_b64 exec, exec, s[28:29]
	v_or_b32_sdwa v36, v1, v16 dst_sel:DWORD dst_unused:UNUSED_PAD src0_sel:DWORD src1_sel:WORD_0
	s_and_b64 s[28:29], s[30:31], exec
	v_mov_b32_e32 v23, v35
.LBB109_67:
	s_or_b64 exec, exec, s[26:27]
	v_or_b32_sdwa v37, v24, v8 dst_sel:DWORD dst_unused:UNUSED_PAD src0_sel:DWORD src1_sel:WORD_0
	s_and_b64 s[26:27], s[28:29], exec
	v_mov_b32_e32 v24, v36
.LBB109_68:
	s_or_b64 exec, exec, s[24:25]
	v_or_b32_sdwa v39, v7, v15 dst_sel:DWORD dst_unused:UNUSED_PAD src0_sel:DWORD src1_sel:WORD_0
	s_and_b64 s[24:25], s[26:27], exec
	v_mov_b32_e32 v25, v37
.LBB109_69:
	s_or_b64 exec, exec, s[22:23]
	v_or_b32_sdwa v40, v30, v26 dst_sel:DWORD dst_unused:UNUSED_PAD src0_sel:DWORD src1_sel:WORD_0
	s_and_b64 s[22:23], s[24:25], exec
	v_mov_b32_e32 v26, v39
.LBB109_70:
	s_or_b64 exec, exec, s[20:21]
	v_or_b32_sdwa v42, v27, v14 dst_sel:DWORD dst_unused:UNUSED_PAD src0_sel:DWORD src1_sel:WORD_0
	s_and_b64 s[20:21], s[22:23], exec
	v_mov_b32_e32 v27, v40
.LBB109_71:
	s_or_b64 exec, exec, s[18:19]
	v_or_b32_sdwa v43, v28, v12 dst_sel:DWORD dst_unused:UNUSED_PAD src0_sel:DWORD src1_sel:WORD_0
	s_and_b64 s[18:19], s[20:21], exec
	v_mov_b32_e32 v28, v42
.LBB109_72:
	s_or_b64 exec, exec, s[16:17]
	v_or_b32_sdwa v44, v11, v13 dst_sel:DWORD dst_unused:UNUSED_PAD src0_sel:DWORD src1_sel:WORD_0
	s_and_b64 s[16:17], s[18:19], exec
	v_mov_b32_e32 v30, v43
.LBB109_73:
	s_or_b64 exec, exec, s[14:15]
	v_or_b32_sdwa v38, v38, v10 dst_sel:DWORD dst_unused:UNUSED_PAD src0_sel:DWORD src1_sel:WORD_0
	s_and_b64 s[14:15], s[16:17], exec
	v_mov_b32_e32 v13, v44
.LBB109_74:
	s_or_b64 exec, exec, s[12:13]
	v_or_b32_sdwa v29, v29, v9 dst_sel:DWORD dst_unused:UNUSED_PAD src0_sel:DWORD src1_sel:WORD_0
	s_and_b64 s[12:13], s[14:15], exec
	v_mov_b32_e32 v14, v38
.LBB109_75:
	s_or_b64 exec, exec, s[10:11]
	s_and_b64 vcc, exec, s[2:3]
	s_cbranch_vccnz .LBB109_77
	s_branch .LBB109_82
.LBB109_76:
	s_mov_b64 s[12:13], 0
                                        ; implicit-def: $sgpr8_sgpr9
                                        ; implicit-def: $vgpr31
                                        ; implicit-def: $vgpr29
                                        ; implicit-def: $vgpr38
                                        ; implicit-def: $vgpr44
                                        ; implicit-def: $vgpr43
                                        ; implicit-def: $vgpr42
                                        ; implicit-def: $vgpr40
                                        ; implicit-def: $vgpr39
                                        ; implicit-def: $vgpr37
                                        ; implicit-def: $vgpr36
                                        ; implicit-def: $vgpr35
                                        ; implicit-def: $vgpr34
                                        ; implicit-def: $vgpr33
                                        ; implicit-def: $vgpr32
                                        ; implicit-def: $vgpr14
                                        ; implicit-def: $vgpr13
                                        ; implicit-def: $vgpr30
                                        ; implicit-def: $vgpr28
                                        ; implicit-def: $vgpr27
                                        ; implicit-def: $vgpr26
                                        ; implicit-def: $vgpr25
                                        ; implicit-def: $vgpr24
                                        ; implicit-def: $vgpr23
                                        ; implicit-def: $vgpr22
                                        ; implicit-def: $vgpr20
                                        ; implicit-def: $vgpr19
	s_and_b64 vcc, exec, s[2:3]
	s_cbranch_vccz .LBB109_82
.LBB109_77:
	v_mov_b32_e32 v1, s51
	v_add_co_u32_e32 v5, vcc, s50, v21
	v_addc_co_u32_e32 v6, vcc, 0, v1, vcc
	v_add_co_u32_e32 v1, vcc, 0x1000, v5
	v_addc_co_u32_e32 v2, vcc, 0, v6, vcc
	;; [unrolled: 2-line block ×3, first 2 shown]
	global_load_dword v7, v21, s[50:51]
	global_load_dword v8, v21, s[50:51] offset:1024
	global_load_dword v9, v21, s[50:51] offset:2048
	;; [unrolled: 1-line block ×3, first 2 shown]
	global_load_dword v11, v[1:2], off
	global_load_dword v12, v[1:2], off offset:1024
	global_load_dword v14, v[1:2], off offset:2048
	;; [unrolled: 1-line block ×3, first 2 shown]
	global_load_dword v16, v[3:4], off
	global_load_dword v17, v[3:4], off offset:1024
	global_load_dword v18, v[3:4], off offset:2048
	global_load_dword v19, v[3:4], off offset:3072
	v_add_co_u32_e32 v1, vcc, 0x3000, v5
	v_addc_co_u32_e32 v2, vcc, 0, v6, vcc
	global_load_dword v3, v[1:2], off
	global_load_dword v4, v[1:2], off offset:1024
	v_mad_u32_u24 v20, v0, 52, v21
	s_movk_i32 s2, 0xffcc
	v_mad_i32_i24 v13, v0, s2, v20
	s_movk_i32 s3, 0xff
	s_movk_i32 s8, 0x1000
	v_cmp_ne_u32_e32 vcc, s3, v0
	s_waitcnt vmcnt(12)
	ds_write2st64_b32 v21, v7, v8 offset1:4
	s_waitcnt vmcnt(10)
	ds_write2st64_b32 v21, v9, v10 offset0:8 offset1:12
	s_waitcnt vmcnt(8)
	ds_write2st64_b32 v21, v11, v12 offset0:16 offset1:20
	;; [unrolled: 2-line block ×6, first 2 shown]
	s_waitcnt lgkmcnt(0)
	s_barrier
	ds_read2_b64 v[9:12], v20 offset1:1
	ds_read2_b64 v[5:8], v20 offset0:2 offset1:3
	ds_read2_b64 v[1:4], v20 offset0:4 offset1:5
	ds_read_b64 v[17:18], v20 offset:48
	s_load_dword s2, s[50:51], 0x3800
	s_waitcnt lgkmcnt(0)
	ds_write_b32 v13, v9 offset:15360
	s_waitcnt lgkmcnt(0)
	s_barrier
	v_mov_b32_e32 v22, s2
	s_and_saveexec_b64 s[2:3], vcc
; %bb.78:
	ds_read_b32 v22, v13 offset:15364
; %bb.79:
	s_or_b64 exec, exec, s[2:3]
	v_lshlrev_b32_e32 v16, 1, v0
	v_mov_b32_e32 v14, s49
	v_add_co_u32_e32 v15, vcc, s48, v16
	v_addc_co_u32_e32 v19, vcc, 0, v14, vcc
	v_add_co_u32_e32 v14, vcc, s8, v15
	v_addc_co_u32_e32 v15, vcc, 0, v19, vcc
	s_waitcnt lgkmcnt(0)
	s_barrier
	global_load_ushort v20, v16, s[48:49]
	global_load_ushort v23, v16, s[48:49] offset:512
	global_load_ushort v25, v16, s[48:49] offset:1024
	;; [unrolled: 1-line block ×7, first 2 shown]
	global_load_ushort v19, v[14:15], off
	global_load_ushort v31, v[14:15], off offset:512
	global_load_ushort v32, v[14:15], off offset:1024
	;; [unrolled: 1-line block ×5, first 2 shown]
	v_sub_u32_e32 v24, v13, v16
	v_mad_u32_u24 v36, v0, 26, v24
	v_cmp_eq_u32_e32 vcc, v9, v10
	v_mov_b32_e32 v9, 0x10000
	s_waitcnt vmcnt(13)
	ds_write_b16 v24, v20
	s_waitcnt vmcnt(12)
	ds_write_b16 v24, v23 offset:512
	s_waitcnt vmcnt(11)
	ds_write_b16 v24, v25 offset:1024
	;; [unrolled: 2-line block ×13, first 2 shown]
	s_waitcnt lgkmcnt(0)
	s_barrier
	ds_read_b128 v[13:16], v36 offset:2
	ds_read_b64 v[19:20], v36 offset:18
	ds_read_u16 v23, v36 offset:26
	v_mov_b32_e32 v25, s7
	v_mov_b32_e32 v26, 0x10000
	s_and_saveexec_b64 s[2:3], vcc
; %bb.80:
	v_mul_u32_u24_e32 v25, 26, v0
	v_add_u32_e32 v24, v24, v25
	ds_read_u16 v25, v24
	v_mov_b32_e32 v26, 0
; %bb.81:
	s_or_b64 exec, exec, s[2:3]
	v_mov_b32_e32 v24, s7
	v_cmp_eq_u32_e32 vcc, v10, v11
	s_waitcnt lgkmcnt(0)
	v_or_b32_sdwa v29, v26, v25 dst_sel:DWORD dst_unused:UNUSED_PAD src0_sel:DWORD src1_sel:WORD_0
	v_cndmask_b32_e32 v10, v24, v13, vcc
	v_cndmask_b32_e64 v25, v9, 0, vcc
	v_cmp_eq_u32_e32 vcc, v11, v12
	v_or_b32_sdwa v38, v25, v10 dst_sel:DWORD dst_unused:UNUSED_PAD src0_sel:DWORD src1_sel:WORD_0
	v_cndmask_b32_e64 v10, v9, 0, vcc
	v_cndmask_b32_sdwa v11, v24, v13, vcc dst_sel:DWORD dst_unused:UNUSED_PAD src0_sel:DWORD src1_sel:WORD_1
	v_cmp_eq_u32_e32 vcc, v12, v5
	v_or_b32_sdwa v44, v10, v11 dst_sel:DWORD dst_unused:UNUSED_PAD src0_sel:DWORD src1_sel:WORD_0
	v_cndmask_b32_e32 v10, v24, v14, vcc
	v_cndmask_b32_e64 v11, v9, 0, vcc
	v_cmp_eq_u32_e32 vcc, v5, v6
	v_or_b32_sdwa v43, v11, v10 dst_sel:DWORD dst_unused:UNUSED_PAD src0_sel:DWORD src1_sel:WORD_0
	v_cndmask_b32_e64 v5, v9, 0, vcc
	v_cndmask_b32_sdwa v10, v24, v14, vcc dst_sel:DWORD dst_unused:UNUSED_PAD src0_sel:DWORD src1_sel:WORD_1
	v_cmp_eq_u32_e32 vcc, v6, v7
	;; [unrolled: 8-line block ×5, first 2 shown]
	v_or_b32_sdwa v34, v1, v2 dst_sel:DWORD dst_unused:UNUSED_PAD src0_sel:DWORD src1_sel:WORD_0
	v_cndmask_b32_e32 v1, v24, v20, vcc
	v_cndmask_b32_e64 v2, v9, 0, vcc
	v_cmp_eq_u32_e32 vcc, v17, v18
	v_or_b32_sdwa v33, v2, v1 dst_sel:DWORD dst_unused:UNUSED_PAD src0_sel:DWORD src1_sel:WORD_0
	v_cndmask_b32_e64 v1, v9, 0, vcc
	v_cndmask_b32_sdwa v2, v24, v20, vcc dst_sel:DWORD dst_unused:UNUSED_PAD src0_sel:DWORD src1_sel:WORD_1
	v_or_b32_sdwa v32, v1, v2 dst_sel:DWORD dst_unused:UNUSED_PAD src0_sel:DWORD src1_sel:WORD_0
	v_cmp_ne_u32_e64 s[8:9], v18, v22
	v_cndmask_b32_e64 v31, v23, v24, s[8:9]
	s_mov_b64 s[12:13], -1
	v_mov_b32_e32 v14, v38
	v_mov_b32_e32 v13, v44
	;; [unrolled: 1-line block ×12, first 2 shown]
.LBB109_82:
	v_mov_b32_e32 v10, 0
	s_and_saveexec_b64 s[2:3], s[12:13]
	s_cbranch_execz .LBB109_84
; %bb.83:
	v_mov_b32_e32 v1, 0x10000
	v_cndmask_b32_e64 v1, 0, v1, s[8:9]
	v_or_b32_sdwa v10, v1, v31 dst_sel:DWORD dst_unused:UNUSED_PAD src0_sel:DWORD src1_sel:WORD_0
	v_mov_b32_e32 v19, v32
	v_mov_b32_e32 v20, v33
	;; [unrolled: 1-line block ×12, first 2 shown]
.LBB109_84:
	s_or_b64 exec, exec, s[2:3]
	v_or_b32_e32 v1, v25, v24
	v_or_b32_e32 v2, v20, v19
	s_cmp_lg_u32 s6, 0
	v_max_i16_e32 v16, v29, v14
	v_or3_b32 v15, v1, v26, v27
	v_or3_b32 v12, v2, v22, v23
	v_mbcnt_lo_u32_b32 v11, -1, 0
	s_barrier
	s_cbranch_scc0 .LBB109_158
; %bb.85:
	s_mov_b32 s28, 0x10000
	v_cmp_gt_u32_e64 s[2:3], s28, v14
	v_cndmask_b32_e64 v1, v14, v16, s[2:3]
	v_max_i16_e32 v1, v1, v13
	v_cmp_gt_u32_e64 s[30:31], s28, v13
	v_cndmask_b32_e64 v1, v13, v1, s[30:31]
	v_max_i16_e32 v1, v1, v30
	;; [unrolled: 3-line block ×11, first 2 shown]
	v_cmp_gt_u32_e64 s[26:27], s28, v19
	v_or3_b32 v2, v15, v28, v30
	v_cndmask_b32_e64 v1, v19, v1, s[26:27]
	v_or3_b32 v4, v2, v13, v14
	v_max_i16_e32 v1, v1, v10
	v_cmp_gt_u32_e32 vcc, s28, v10
	v_cndmask_b32_e32 v2, v10, v1, vcc
	v_or3_b32 v1, v10, v12, v4
	v_and_b32_e32 v1, 0xff0000, v1
	v_and_b32_e32 v3, 0x10000, v29
	v_mov_b32_e32 v4, 0x10000
	v_cmp_eq_u32_e32 vcc, 0, v1
	v_cndmask_b32_e32 v5, v4, v3, vcc
	v_mbcnt_hi_u32_b32 v3, -1, v11
	v_and_b32_e32 v7, 15, v3
	v_or_b32_sdwa v4, v5, v2 dst_sel:DWORD dst_unused:UNUSED_PAD src0_sel:DWORD src1_sel:WORD_0
	v_lshrrev_b32_e32 v1, 16, v5
	v_cmp_ne_u32_e32 vcc, 0, v7
	v_mov_b32_dpp v6, v4 row_shr:1 row_mask:0xf bank_mask:0xf
	s_and_saveexec_b64 s[28:29], vcc
	s_cbranch_execz .LBB109_87
; %bb.86:
	v_and_b32_e32 v1, 0x10000, v5
	v_mov_b32_e32 v4, 1
	v_and_b32_sdwa v4, v6, v4 dst_sel:DWORD dst_unused:UNUSED_PAD src0_sel:WORD_1 src1_sel:DWORD
	v_cmp_ne_u32_e32 vcc, 0, v1
	v_cndmask_b32_e64 v1, v4, 1, vcc
	v_max_i16_e32 v4, v6, v2
	v_cmp_eq_u32_e32 vcc, 0, v5
	v_cndmask_b32_e32 v2, v2, v4, vcc
	v_lshlrev_b32_e32 v4, 16, v1
	v_or_b32_sdwa v4, v4, v2 dst_sel:DWORD dst_unused:UNUSED_PAD src0_sel:DWORD src1_sel:WORD_0
.LBB109_87:
	s_or_b64 exec, exec, s[28:29]
	v_lshrrev_b32_e32 v6, 16, v4
	v_mov_b32_dpp v8, v4 row_shr:2 row_mask:0xf bank_mask:0xf
	v_cmp_lt_u32_e32 vcc, 1, v7
	v_mov_b32_e32 v5, v4
	s_and_saveexec_b64 s[28:29], vcc
	s_cbranch_execz .LBB109_89
; %bb.88:
	v_and_b32_e32 v1, 0x10000, v4
	v_mov_b32_e32 v2, 1
	v_and_b32_sdwa v2, v8, v2 dst_sel:DWORD dst_unused:UNUSED_PAD src0_sel:WORD_1 src1_sel:DWORD
	v_cmp_ne_u32_e32 vcc, 0, v1
	s_mov_b32 s34, 0x10000
	v_cndmask_b32_e64 v1, v2, 1, vcc
	v_max_i16_e32 v2, v8, v4
	v_cmp_gt_u32_e32 vcc, s34, v4
	v_cndmask_b32_e32 v2, v4, v2, vcc
	v_lshlrev_b32_e32 v4, 16, v1
	v_or_b32_sdwa v4, v4, v2 dst_sel:DWORD dst_unused:UNUSED_PAD src0_sel:DWORD src1_sel:WORD_0
	v_mov_b32_e32 v5, v2
	v_mov_b32_e32 v6, v1
.LBB109_89:
	s_or_b64 exec, exec, s[28:29]
	v_mov_b32_dpp v8, v4 row_shr:4 row_mask:0xf bank_mask:0xf
	v_cmp_lt_u32_e32 vcc, 3, v7
	s_and_saveexec_b64 s[28:29], vcc
	s_cbranch_execz .LBB109_91
; %bb.90:
	v_and_b32_e32 v1, 1, v6
	v_mov_b32_e32 v2, 1
	v_and_b32_sdwa v2, v8, v2 dst_sel:DWORD dst_unused:UNUSED_PAD src0_sel:WORD_1 src1_sel:DWORD
	v_cmp_eq_u32_e32 vcc, 1, v1
	v_cndmask_b32_e64 v1, v2, 1, vcc
	v_max_i16_e32 v2, v8, v5
	v_cmp_eq_u16_e32 vcc, 0, v6
	v_cndmask_b32_e32 v2, v5, v2, vcc
	v_lshlrev_b32_e32 v4, 16, v1
	v_or_b32_sdwa v4, v4, v2 dst_sel:DWORD dst_unused:UNUSED_PAD src0_sel:DWORD src1_sel:WORD_0
	v_mov_b32_e32 v5, v2
	v_mov_b32_e32 v6, v1
.LBB109_91:
	s_or_b64 exec, exec, s[28:29]
	v_mov_b32_dpp v8, v4 row_shr:8 row_mask:0xf bank_mask:0xf
	v_cmp_lt_u32_e32 vcc, 7, v7
	s_and_saveexec_b64 s[28:29], vcc
	s_cbranch_execz .LBB109_93
; %bb.92:
	v_and_b32_e32 v1, 1, v6
	v_mov_b32_e32 v2, 1
	v_and_b32_sdwa v2, v8, v2 dst_sel:DWORD dst_unused:UNUSED_PAD src0_sel:WORD_1 src1_sel:DWORD
	v_cmp_eq_u32_e32 vcc, 1, v1
	v_cndmask_b32_e64 v1, v2, 1, vcc
	v_max_i16_e32 v2, v8, v5
	v_cmp_eq_u16_e32 vcc, 0, v6
	v_cndmask_b32_e32 v2, v5, v2, vcc
	v_lshlrev_b32_e32 v4, 16, v1
	v_or_b32_sdwa v4, v4, v2 dst_sel:DWORD dst_unused:UNUSED_PAD src0_sel:DWORD src1_sel:WORD_0
	v_mov_b32_e32 v5, v2
	v_mov_b32_e32 v6, v1
.LBB109_93:
	s_or_b64 exec, exec, s[28:29]
	v_and_b32_e32 v8, 16, v3
	v_mov_b32_dpp v7, v4 row_bcast:15 row_mask:0xf bank_mask:0xf
	v_cmp_ne_u32_e32 vcc, 0, v8
	s_and_saveexec_b64 s[28:29], vcc
	s_cbranch_execz .LBB109_95
; %bb.94:
	v_and_b32_e32 v1, 1, v6
	v_mov_b32_e32 v2, 1
	v_and_b32_sdwa v2, v7, v2 dst_sel:DWORD dst_unused:UNUSED_PAD src0_sel:WORD_1 src1_sel:DWORD
	v_cmp_eq_u32_e32 vcc, 1, v1
	v_cndmask_b32_e64 v1, v2, 1, vcc
	v_max_i16_e32 v2, v7, v5
	v_cmp_eq_u16_e32 vcc, 0, v6
	v_cndmask_b32_e32 v2, v5, v2, vcc
	v_lshlrev_b32_e32 v4, 16, v1
	v_or_b32_sdwa v4, v4, v2 dst_sel:DWORD dst_unused:UNUSED_PAD src0_sel:DWORD src1_sel:WORD_0
	v_mov_b32_e32 v5, v2
	v_mov_b32_e32 v6, v1
.LBB109_95:
	s_or_b64 exec, exec, s[28:29]
	v_mov_b32_dpp v4, v4 row_bcast:31 row_mask:0xf bank_mask:0xf
	v_cmp_lt_u32_e32 vcc, 31, v3
	s_and_saveexec_b64 s[28:29], vcc
; %bb.96:
	v_and_b32_e32 v1, 1, v6
	v_mov_b32_e32 v2, 1
	v_and_b32_sdwa v2, v4, v2 dst_sel:DWORD dst_unused:UNUSED_PAD src0_sel:WORD_1 src1_sel:DWORD
	v_cmp_eq_u32_e32 vcc, 1, v1
	v_cndmask_b32_e64 v1, v2, 1, vcc
	v_max_i16_e32 v2, v4, v5
	v_cmp_eq_u16_e32 vcc, 0, v6
	v_cndmask_b32_e32 v2, v5, v2, vcc
; %bb.97:
	s_or_b64 exec, exec, s[28:29]
	v_lshrrev_b32_e32 v4, 6, v0
	v_or_b32_e32 v5, 63, v0
	v_cmp_eq_u32_e32 vcc, v0, v5
	v_lshlrev_b32_e32 v4, 2, v4
	s_and_saveexec_b64 s[28:29], vcc
	s_cbranch_execz .LBB109_99
; %bb.98:
	ds_write_b16 v4, v2
	ds_write_b8 v4, v1 offset:2
.LBB109_99:
	s_or_b64 exec, exec, s[28:29]
	v_cmp_gt_u32_e32 vcc, 4, v0
	s_waitcnt lgkmcnt(0)
	s_barrier
	s_and_saveexec_b64 s[28:29], vcc
	s_cbranch_execz .LBB109_105
; %bb.100:
	ds_read_b32 v5, v21
	v_and_b32_e32 v7, 3, v3
	v_cmp_ne_u32_e32 vcc, 0, v7
	s_waitcnt lgkmcnt(0)
	v_lshrrev_b32_e32 v6, 16, v5
	v_mov_b32_dpp v9, v5 row_shr:1 row_mask:0xf bank_mask:0xf
	v_mov_b32_e32 v8, v5
	s_and_saveexec_b64 s[34:35], vcc
	s_cbranch_execz .LBB109_102
; %bb.101:
	v_and_b32_e32 v8, 0x10000, v5
	v_mov_b32_e32 v18, 1
	v_and_b32_sdwa v18, v9, v18 dst_sel:DWORD dst_unused:UNUSED_PAD src0_sel:WORD_1 src1_sel:DWORD
	v_cmp_ne_u32_e32 vcc, 0, v8
	v_mov_b32_e32 v8, 0
	v_cndmask_b32_e64 v18, v18, 1, vcc
	v_max_i16_e32 v9, v9, v5
	v_cmp_eq_u16_sdwa vcc, v6, v8 src0_sel:BYTE_0 src1_sel:DWORD
	v_cndmask_b32_e32 v8, v5, v9, vcc
	v_and_b32_e32 v17, 0xff000000, v5
	v_lshlrev_b32_e32 v5, 16, v18
	v_and_b32_e32 v6, 0xffff, v8
	v_or3_b32 v5, v5, v17, v6
	v_mov_b32_e32 v6, v18
.LBB109_102:
	s_or_b64 exec, exec, s[34:35]
	v_mov_b32_dpp v9, v5 row_shr:2 row_mask:0xf bank_mask:0xf
	v_cmp_lt_u32_e32 vcc, 1, v7
	s_and_saveexec_b64 s[34:35], vcc
; %bb.103:
	v_and_b32_e32 v6, 0x10000, v5
	v_mov_b32_e32 v7, 1
	v_and_b32_sdwa v7, v9, v7 dst_sel:DWORD dst_unused:UNUSED_PAD src0_sel:WORD_1 src1_sel:DWORD
	v_cmp_eq_u32_e32 vcc, 0, v6
	v_cndmask_b32_e32 v6, 1, v7, vcc
	v_and_b32_e32 v7, 0xff0000, v5
	v_max_i16_e32 v8, v9, v5
	v_cmp_eq_u32_e32 vcc, 0, v7
	v_cndmask_b32_e32 v8, v5, v8, vcc
; %bb.104:
	s_or_b64 exec, exec, s[34:35]
	ds_write_b16 v21, v8
	ds_write_b8 v21, v6 offset:2
.LBB109_105:
	s_or_b64 exec, exec, s[28:29]
	v_cmp_gt_u32_e32 vcc, 64, v0
	v_cmp_lt_u32_e64 s[28:29], 63, v0
	v_mov_b32_e32 v17, 0
	v_mov_b32_e32 v18, 0
	s_waitcnt lgkmcnt(0)
	s_barrier
	s_and_saveexec_b64 s[34:35], s[28:29]
	s_cbranch_execz .LBB109_107
; %bb.106:
	v_add_u32_e32 v5, -4, v4
	ds_read_u16 v17, v5
	v_add_u32_e32 v4, -2, v4
	ds_read_u8 v18, v4
	v_and_b32_e32 v5, 1, v1
	v_cmp_eq_u16_e64 s[28:29], 0, v1
	s_waitcnt lgkmcnt(1)
	v_max_i16_e32 v4, v17, v2
	v_cndmask_b32_e64 v2, v2, v4, s[28:29]
	v_cmp_eq_u32_e64 s[28:29], 1, v5
	s_waitcnt lgkmcnt(0)
	v_cndmask_b32_e64 v1, v18, 1, s[28:29]
.LBB109_107:
	s_or_b64 exec, exec, s[34:35]
	v_and_b32_e32 v1, 0xff, v1
	v_and_b32_e32 v2, 0xffff, v2
	v_lshl_or_b32 v1, v1, 16, v2
	v_subrev_co_u32_e64 v2, s[28:29], 1, v3
	v_and_b32_e32 v4, 64, v3
	v_cmp_lt_i32_e64 s[34:35], v2, v4
	v_cndmask_b32_e64 v2, v2, v3, s[34:35]
	v_lshlrev_b32_e32 v2, 2, v2
	ds_bpermute_b32 v31, v2, v1
	s_and_saveexec_b64 s[34:35], vcc
	s_cbranch_execz .LBB109_163
; %bb.108:
	v_mov_b32_e32 v6, 0
	ds_read_b32 v1, v6 offset:12
	s_and_saveexec_b64 s[40:41], s[28:29]
	s_cbranch_execz .LBB109_110
; %bb.109:
	s_add_i32 s42, s6, 64
	s_mov_b32 s43, 0
	s_lshl_b64 s[42:43], s[42:43], 3
	s_add_u32 s42, s36, s42
	v_mov_b32_e32 v2, 1
	s_addc_u32 s43, s37, s43
	s_waitcnt lgkmcnt(0)
	global_store_dwordx2 v6, v[1:2], s[42:43]
.LBB109_110:
	s_or_b64 exec, exec, s[40:41]
	v_xad_u32 v2, v3, -1, s6
	v_add_u32_e32 v5, 64, v2
	v_lshlrev_b64 v[4:5], 3, v[5:6]
	v_mov_b32_e32 v8, s37
	v_add_co_u32_e32 v7, vcc, s36, v4
	v_addc_co_u32_e32 v8, vcc, v8, v5, vcc
	global_load_dwordx2 v[4:5], v[7:8], off glc
	s_waitcnt vmcnt(0)
	v_cmp_eq_u16_sdwa s[42:43], v5, v6 src0_sel:BYTE_0 src1_sel:DWORD
	s_and_saveexec_b64 s[40:41], s[42:43]
	s_cbranch_execz .LBB109_114
; %bb.111:
	s_mov_b64 s[42:43], 0
	v_mov_b32_e32 v6, 0
.LBB109_112:                            ; =>This Inner Loop Header: Depth=1
	global_load_dwordx2 v[4:5], v[7:8], off glc
	s_waitcnt vmcnt(0)
	v_cmp_ne_u16_sdwa s[48:49], v5, v6 src0_sel:BYTE_0 src1_sel:DWORD
	s_or_b64 s[42:43], s[48:49], s[42:43]
	s_andn2_b64 exec, exec, s[42:43]
	s_cbranch_execnz .LBB109_112
; %bb.113:
	s_or_b64 exec, exec, s[42:43]
.LBB109_114:
	s_or_b64 exec, exec, s[40:41]
	v_mov_b32_e32 v8, 2
	v_lshlrev_b64 v[6:7], v3, -1
	v_cmp_eq_u16_sdwa s[40:41], v5, v8 src0_sel:BYTE_0 src1_sel:DWORD
	v_and_b32_e32 v8, s41, v7
	v_or_b32_e32 v8, 0x80000000, v8
	v_and_b32_e32 v9, s40, v6
	v_ffbl_b32_e32 v8, v8
	v_and_b32_e32 v40, 63, v3
	v_add_u32_e32 v8, 32, v8
	v_ffbl_b32_e32 v9, v9
	v_cmp_ne_u32_e32 vcc, 63, v40
	v_min_u32_e32 v8, v9, v8
	v_addc_co_u32_e32 v9, vcc, 0, v3, vcc
	v_and_b32_e32 v43, 0xffffff, v4
	v_lshlrev_b32_e32 v32, 2, v9
	ds_bpermute_b32 v34, v32, v43
	v_add_u32_e32 v33, 1, v3
	v_lshrrev_b32_e32 v9, 16, v4
	v_cmp_le_u32_e32 vcc, v33, v8
	v_bfe_u32 v42, v4, 16, 8
	s_and_saveexec_b64 s[40:41], vcc
	s_cbranch_execz .LBB109_116
; %bb.115:
	v_and_b32_e32 v9, 0xff0000, v4
	s_waitcnt lgkmcnt(0)
	v_max_i16_e32 v35, v34, v4
	v_cmp_eq_u32_e32 vcc, 0, v9
	v_cndmask_b32_e32 v4, v4, v35, vcc
	v_and_b32_e32 v9, 0x10000, v9
	v_mov_b32_e32 v35, 1
	v_and_b32_sdwa v34, v34, v35 dst_sel:DWORD dst_unused:UNUSED_PAD src0_sel:WORD_1 src1_sel:DWORD
	v_cmp_ne_u32_e32 vcc, 0, v9
	v_cndmask_b32_e64 v9, v34, 1, vcc
	v_lshlrev_b32_e32 v34, 16, v9
	v_or_b32_sdwa v43, v34, v4 dst_sel:DWORD dst_unused:UNUSED_PAD src0_sel:DWORD src1_sel:WORD_0
	v_mov_b32_e32 v42, v9
.LBB109_116:
	s_or_b64 exec, exec, s[40:41]
	v_cmp_gt_u32_e32 vcc, 62, v40
	s_waitcnt lgkmcnt(0)
	v_cndmask_b32_e64 v34, 0, 2, vcc
	v_add_lshl_u32 v34, v34, v3, 2
	ds_bpermute_b32 v36, v34, v43
	v_add_u32_e32 v35, 2, v3
	v_cmp_le_u32_e32 vcc, v35, v8
	s_and_saveexec_b64 s[40:41], vcc
	s_cbranch_execz .LBB109_118
; %bb.117:
	s_waitcnt lgkmcnt(0)
	v_max_i16_e32 v9, v36, v4
	v_cmp_eq_u16_e32 vcc, 0, v42
	v_cndmask_b32_e32 v4, v4, v9, vcc
	v_and_b32_e32 v9, 1, v42
	v_mov_b32_e32 v37, 1
	v_and_b32_sdwa v36, v36, v37 dst_sel:DWORD dst_unused:UNUSED_PAD src0_sel:WORD_1 src1_sel:DWORD
	v_cmp_eq_u32_e32 vcc, 1, v9
	v_cndmask_b32_e64 v9, v36, 1, vcc
	v_lshlrev_b32_e32 v36, 16, v9
	v_or_b32_sdwa v43, v36, v4 dst_sel:DWORD dst_unused:UNUSED_PAD src0_sel:DWORD src1_sel:WORD_0
	v_mov_b32_e32 v42, v9
.LBB109_118:
	s_or_b64 exec, exec, s[40:41]
	v_cmp_gt_u32_e32 vcc, 60, v40
	s_waitcnt lgkmcnt(0)
	v_cndmask_b32_e64 v36, 0, 4, vcc
	v_add_lshl_u32 v36, v36, v3, 2
	ds_bpermute_b32 v38, v36, v43
	v_add_u32_e32 v37, 4, v3
	v_cmp_le_u32_e32 vcc, v37, v8
	s_and_saveexec_b64 s[40:41], vcc
	s_cbranch_execz .LBB109_120
; %bb.119:
	s_waitcnt lgkmcnt(0)
	v_max_i16_e32 v9, v38, v4
	v_cmp_eq_u16_e32 vcc, 0, v42
	v_cndmask_b32_e32 v4, v4, v9, vcc
	v_and_b32_e32 v9, 1, v42
	v_mov_b32_e32 v39, 1
	v_and_b32_sdwa v38, v38, v39 dst_sel:DWORD dst_unused:UNUSED_PAD src0_sel:WORD_1 src1_sel:DWORD
	v_cmp_eq_u32_e32 vcc, 1, v9
	v_cndmask_b32_e64 v9, v38, 1, vcc
	v_lshlrev_b32_e32 v38, 16, v9
	v_or_b32_sdwa v43, v38, v4 dst_sel:DWORD dst_unused:UNUSED_PAD src0_sel:DWORD src1_sel:WORD_0
	v_mov_b32_e32 v42, v9
.LBB109_120:
	;; [unrolled: 24-line block ×3, first 2 shown]
	s_or_b64 exec, exec, s[40:41]
	v_cmp_gt_u32_e32 vcc, 48, v40
	v_cndmask_b32_e64 v40, 0, 16, vcc
	v_add_lshl_u32 v40, v40, v3, 2
	ds_bpermute_b32 v44, v40, v43
	s_waitcnt lgkmcnt(1)
	v_add_u32_e32 v41, 16, v3
	v_cmp_le_u32_e32 vcc, v41, v8
	s_and_saveexec_b64 s[40:41], vcc
	s_cbranch_execz .LBB109_124
; %bb.123:
	s_waitcnt lgkmcnt(0)
	v_max_i16_e32 v9, v44, v4
	v_cmp_eq_u16_e32 vcc, 0, v42
	v_cndmask_b32_e32 v4, v4, v9, vcc
	v_and_b32_e32 v9, 1, v42
	v_mov_b32_e32 v42, 1
	v_and_b32_sdwa v42, v44, v42 dst_sel:DWORD dst_unused:UNUSED_PAD src0_sel:WORD_1 src1_sel:DWORD
	v_cmp_eq_u32_e32 vcc, 1, v9
	v_cndmask_b32_e64 v9, v42, 1, vcc
	v_lshlrev_b32_e32 v42, 16, v9
	v_or_b32_sdwa v43, v42, v4 dst_sel:DWORD dst_unused:UNUSED_PAD src0_sel:DWORD src1_sel:WORD_0
	v_mov_b32_e32 v42, v9
.LBB109_124:
	s_or_b64 exec, exec, s[40:41]
	s_waitcnt lgkmcnt(0)
	v_mov_b32_e32 v44, 0x80
	v_lshl_or_b32 v44, v3, 2, v44
	ds_bpermute_b32 v43, v44, v43
	v_add_u32_e32 v45, 32, v3
	v_cmp_le_u32_e32 vcc, v45, v8
	s_and_saveexec_b64 s[40:41], vcc
	s_cbranch_execz .LBB109_126
; %bb.125:
	s_waitcnt lgkmcnt(0)
	v_max_i16_e32 v3, v43, v4
	v_cmp_eq_u16_e32 vcc, 0, v42
	v_cndmask_b32_e32 v4, v4, v3, vcc
	v_and_b32_e32 v3, 1, v42
	v_mov_b32_e32 v8, 1
	v_and_b32_sdwa v8, v43, v8 dst_sel:DWORD dst_unused:UNUSED_PAD src0_sel:WORD_1 src1_sel:DWORD
	v_cmp_eq_u32_e32 vcc, 1, v3
	v_cndmask_b32_e64 v9, v8, 1, vcc
.LBB109_126:
	s_or_b64 exec, exec, s[40:41]
	v_mov_b32_e32 v3, 0
	v_mov_b32_e32 v46, 2
	;; [unrolled: 1-line block ×3, first 2 shown]
	s_branch .LBB109_129
.LBB109_127:                            ;   in Loop: Header=BB109_129 Depth=1
	s_or_b64 exec, exec, s[40:41]
	v_max_i16_e32 v4, v4, v43
	v_cmp_eq_u16_sdwa vcc, v42, v3 src0_sel:BYTE_0 src1_sel:DWORD
	v_and_b32_e32 v8, 1, v42
	v_cndmask_b32_e32 v4, v43, v4, vcc
	v_and_b32_e32 v9, 1, v9
	v_cmp_eq_u32_e32 vcc, 1, v8
	v_subrev_u32_e32 v2, 64, v2
	v_cndmask_b32_e64 v9, v9, 1, vcc
	s_mov_b64 s[40:41], 0
.LBB109_128:                            ;   in Loop: Header=BB109_129 Depth=1
	s_and_b64 vcc, exec, s[40:41]
	s_cbranch_vccnz .LBB109_159
.LBB109_129:                            ; =>This Loop Header: Depth=1
                                        ;     Child Loop BB109_132 Depth 2
	v_cmp_ne_u16_sdwa s[40:41], v5, v46 src0_sel:BYTE_0 src1_sel:DWORD
	v_mov_b32_e32 v42, v9
	s_waitcnt lgkmcnt(0)
	v_mov_b32_e32 v43, v4
	s_cmp_lg_u64 s[40:41], exec
	s_mov_b64 s[40:41], -1
                                        ; implicit-def: $vgpr9
                                        ; implicit-def: $vgpr4
	s_cbranch_scc1 .LBB109_128
; %bb.130:                              ;   in Loop: Header=BB109_129 Depth=1
	v_lshlrev_b64 v[4:5], 3, v[2:3]
	v_mov_b32_e32 v9, s37
	v_add_co_u32_e32 v8, vcc, s36, v4
	v_addc_co_u32_e32 v9, vcc, v9, v5, vcc
	global_load_dwordx2 v[4:5], v[8:9], off glc
	s_waitcnt vmcnt(0)
	v_cmp_eq_u16_sdwa s[42:43], v5, v3 src0_sel:BYTE_0 src1_sel:DWORD
	s_and_saveexec_b64 s[40:41], s[42:43]
	s_cbranch_execz .LBB109_134
; %bb.131:                              ;   in Loop: Header=BB109_129 Depth=1
	s_mov_b64 s[42:43], 0
.LBB109_132:                            ;   Parent Loop BB109_129 Depth=1
                                        ; =>  This Inner Loop Header: Depth=2
	global_load_dwordx2 v[4:5], v[8:9], off glc
	s_waitcnt vmcnt(0)
	v_cmp_ne_u16_sdwa s[48:49], v5, v3 src0_sel:BYTE_0 src1_sel:DWORD
	s_or_b64 s[42:43], s[48:49], s[42:43]
	s_andn2_b64 exec, exec, s[42:43]
	s_cbranch_execnz .LBB109_132
; %bb.133:                              ;   in Loop: Header=BB109_129 Depth=1
	s_or_b64 exec, exec, s[42:43]
.LBB109_134:                            ;   in Loop: Header=BB109_129 Depth=1
	s_or_b64 exec, exec, s[40:41]
	v_cmp_eq_u16_sdwa s[40:41], v5, v46 src0_sel:BYTE_0 src1_sel:DWORD
	v_and_b32_e32 v8, s41, v7
	v_and_b32_e32 v49, 0xffffff, v4
	v_or_b32_e32 v8, 0x80000000, v8
	ds_bpermute_b32 v50, v32, v49
	v_and_b32_e32 v9, s40, v6
	v_ffbl_b32_e32 v8, v8
	v_add_u32_e32 v8, 32, v8
	v_ffbl_b32_e32 v9, v9
	v_min_u32_e32 v8, v9, v8
	v_lshrrev_b32_e32 v9, 16, v4
	v_cmp_le_u32_e32 vcc, v33, v8
	v_bfe_u32 v48, v4, 16, 8
	s_and_saveexec_b64 s[40:41], vcc
	s_cbranch_execz .LBB109_136
; %bb.135:                              ;   in Loop: Header=BB109_129 Depth=1
	v_and_b32_e32 v9, 0xff0000, v4
	s_waitcnt lgkmcnt(0)
	v_max_i16_e32 v48, v50, v4
	v_cmp_eq_u32_e32 vcc, 0, v9
	v_and_b32_e32 v9, 0x10000, v9
	v_cndmask_b32_e32 v4, v4, v48, vcc
	v_and_b32_sdwa v48, v50, v47 dst_sel:DWORD dst_unused:UNUSED_PAD src0_sel:WORD_1 src1_sel:DWORD
	v_cmp_ne_u32_e32 vcc, 0, v9
	v_cndmask_b32_e64 v9, v48, 1, vcc
	v_lshlrev_b32_e32 v48, 16, v9
	v_or_b32_sdwa v49, v48, v4 dst_sel:DWORD dst_unused:UNUSED_PAD src0_sel:DWORD src1_sel:WORD_0
	v_mov_b32_e32 v48, v9
.LBB109_136:                            ;   in Loop: Header=BB109_129 Depth=1
	s_or_b64 exec, exec, s[40:41]
	s_waitcnt lgkmcnt(0)
	ds_bpermute_b32 v50, v34, v49
	v_cmp_le_u32_e32 vcc, v35, v8
	s_and_saveexec_b64 s[40:41], vcc
	s_cbranch_execz .LBB109_138
; %bb.137:                              ;   in Loop: Header=BB109_129 Depth=1
	s_waitcnt lgkmcnt(0)
	v_max_i16_e32 v9, v50, v4
	v_cmp_eq_u16_e32 vcc, 0, v48
	v_cndmask_b32_e32 v4, v4, v9, vcc
	v_and_b32_e32 v9, 1, v48
	v_and_b32_sdwa v48, v50, v47 dst_sel:DWORD dst_unused:UNUSED_PAD src0_sel:WORD_1 src1_sel:DWORD
	v_cmp_eq_u32_e32 vcc, 1, v9
	v_cndmask_b32_e64 v9, v48, 1, vcc
	v_lshlrev_b32_e32 v48, 16, v9
	v_or_b32_sdwa v49, v48, v4 dst_sel:DWORD dst_unused:UNUSED_PAD src0_sel:DWORD src1_sel:WORD_0
	v_mov_b32_e32 v48, v9
.LBB109_138:                            ;   in Loop: Header=BB109_129 Depth=1
	s_or_b64 exec, exec, s[40:41]
	s_waitcnt lgkmcnt(0)
	ds_bpermute_b32 v50, v36, v49
	v_cmp_le_u32_e32 vcc, v37, v8
	s_and_saveexec_b64 s[40:41], vcc
	s_cbranch_execz .LBB109_140
; %bb.139:                              ;   in Loop: Header=BB109_129 Depth=1
	s_waitcnt lgkmcnt(0)
	v_max_i16_e32 v9, v50, v4
	v_cmp_eq_u16_e32 vcc, 0, v48
	v_cndmask_b32_e32 v4, v4, v9, vcc
	v_and_b32_e32 v9, 1, v48
	v_and_b32_sdwa v48, v50, v47 dst_sel:DWORD dst_unused:UNUSED_PAD src0_sel:WORD_1 src1_sel:DWORD
	v_cmp_eq_u32_e32 vcc, 1, v9
	v_cndmask_b32_e64 v9, v48, 1, vcc
	v_lshlrev_b32_e32 v48, 16, v9
	v_or_b32_sdwa v49, v48, v4 dst_sel:DWORD dst_unused:UNUSED_PAD src0_sel:DWORD src1_sel:WORD_0
	v_mov_b32_e32 v48, v9
.LBB109_140:                            ;   in Loop: Header=BB109_129 Depth=1
	;; [unrolled: 19-line block ×4, first 2 shown]
	s_or_b64 exec, exec, s[40:41]
	ds_bpermute_b32 v49, v44, v49
	v_cmp_le_u32_e32 vcc, v45, v8
	s_and_saveexec_b64 s[40:41], vcc
	s_cbranch_execz .LBB109_127
; %bb.145:                              ;   in Loop: Header=BB109_129 Depth=1
	s_waitcnt lgkmcnt(0)
	v_max_i16_e32 v8, v49, v4
	v_cmp_eq_u16_e32 vcc, 0, v48
	v_cndmask_b32_e32 v4, v4, v8, vcc
	v_and_b32_e32 v8, 1, v48
	v_lshrrev_b32_e32 v9, 16, v49
	v_cmp_eq_u32_e32 vcc, 1, v8
	v_cndmask_b32_e64 v9, v9, 1, vcc
	s_branch .LBB109_127
.LBB109_146:
	s_or_b64 exec, exec, s[40:41]
                                        ; implicit-def: $vgpr20
	s_and_saveexec_b64 s[2:3], s[34:35]
	s_cbranch_execz .LBB109_33
.LBB109_147:
	global_load_ushort v20, v[13:14], off offset:512
	s_or_b64 exec, exec, s[2:3]
                                        ; implicit-def: $vgpr22
	s_and_saveexec_b64 s[2:3], s[8:9]
	s_cbranch_execnz .LBB109_34
.LBB109_148:
	s_or_b64 exec, exec, s[2:3]
                                        ; implicit-def: $vgpr23
	s_and_saveexec_b64 s[2:3], s[10:11]
	s_cbranch_execz .LBB109_35
.LBB109_149:
	global_load_ushort v23, v[13:14], off offset:1536
	s_or_b64 exec, exec, s[2:3]
                                        ; implicit-def: $vgpr24
	s_and_saveexec_b64 s[2:3], s[12:13]
	s_cbranch_execnz .LBB109_36
.LBB109_150:
	s_or_b64 exec, exec, s[2:3]
                                        ; implicit-def: $vgpr25
	s_and_saveexec_b64 s[2:3], s[14:15]
	s_cbranch_execz .LBB109_37
.LBB109_151:
	global_load_ushort v25, v[13:14], off offset:2560
	s_or_b64 exec, exec, s[2:3]
                                        ; implicit-def: $vgpr26
	s_and_saveexec_b64 s[2:3], s[16:17]
	s_cbranch_execnz .LBB109_38
.LBB109_152:
	s_or_b64 exec, exec, s[2:3]
                                        ; implicit-def: $vgpr27
	s_and_saveexec_b64 s[2:3], s[18:19]
	s_cbranch_execz .LBB109_39
.LBB109_153:
	global_load_ushort v27, v[13:14], off offset:3584
	s_or_b64 exec, exec, s[2:3]
                                        ; implicit-def: $vgpr28
	s_and_saveexec_b64 s[2:3], s[20:21]
	s_cbranch_execnz .LBB109_40
.LBB109_154:
	s_or_b64 exec, exec, s[2:3]
                                        ; implicit-def: $vgpr29
	s_and_saveexec_b64 s[2:3], s[22:23]
	s_cbranch_execz .LBB109_41
.LBB109_155:
	v_add_co_u32_e32 v29, vcc, 0x1000, v13
	v_addc_co_u32_e32 v30, vcc, 0, v14, vcc
	global_load_ushort v29, v[29:30], off offset:512
	s_or_b64 exec, exec, s[2:3]
                                        ; implicit-def: $vgpr30
	s_and_saveexec_b64 s[2:3], s[24:25]
	s_cbranch_execnz .LBB109_42
.LBB109_156:
	s_or_b64 exec, exec, s[2:3]
                                        ; implicit-def: $vgpr31
	s_and_saveexec_b64 s[2:3], s[26:27]
	s_cbranch_execz .LBB109_43
.LBB109_157:
	v_add_co_u32_e32 v31, vcc, 0x1000, v13
	v_addc_co_u32_e32 v32, vcc, 0, v14, vcc
	global_load_ushort v31, v[31:32], off offset:1536
	s_or_b64 exec, exec, s[2:3]
                                        ; implicit-def: $vgpr32
	s_and_saveexec_b64 s[2:3], s[28:29]
	s_cbranch_execz .LBB109_45
	s_branch .LBB109_44
.LBB109_158:
                                        ; implicit-def: $vgpr5
                                        ; implicit-def: $vgpr3
                                        ; implicit-def: $vgpr4
                                        ; implicit-def: $vgpr6
                                        ; implicit-def: $vgpr7
                                        ; implicit-def: $vgpr8
                                        ; implicit-def: $vgpr9
                                        ; implicit-def: $vgpr17
                                        ; implicit-def: $vgpr18
                                        ; implicit-def: $vgpr31
                                        ; implicit-def: $vgpr32
                                        ; implicit-def: $vgpr33
                                        ; implicit-def: $vgpr34
                                        ; implicit-def: $vgpr35
	s_cbranch_execnz .LBB109_164
	s_branch .LBB109_191
.LBB109_159:
	s_and_saveexec_b64 s[40:41], s[28:29]
	s_cbranch_execz .LBB109_161
; %bb.160:
	v_and_b32_e32 v2, 0xff0000, v1
	v_max_i16_e32 v3, v43, v1
	v_cmp_eq_u32_e32 vcc, 0, v2
	s_mov_b32 s43, 0
	v_cndmask_b32_e32 v2, v1, v3, vcc
	v_and_b32_e32 v1, 0x10000, v1
	v_mov_b32_e32 v3, 1
	s_add_i32 s42, s6, 64
	v_and_b32_sdwa v3, v42, v3 dst_sel:WORD_1 dst_unused:UNUSED_PAD src0_sel:DWORD src1_sel:DWORD
	v_mov_b32_e32 v4, 0x10000
	v_cmp_eq_u32_e32 vcc, 0, v1
	s_lshl_b64 s[42:43], s[42:43], 3
	v_cndmask_b32_e32 v1, v4, v3, vcc
	s_add_u32 s42, s36, s42
	s_addc_u32 s43, s37, s43
	v_mov_b32_e32 v3, 0
	v_or_b32_sdwa v1, v1, v2 dst_sel:DWORD dst_unused:UNUSED_PAD src0_sel:DWORD src1_sel:WORD_0
	v_mov_b32_e32 v2, 2
	global_store_dwordx2 v3, v[1:2], s[42:43]
.LBB109_161:
	s_or_b64 exec, exec, s[40:41]
	v_cmp_eq_u32_e32 vcc, 0, v0
	s_and_b64 exec, exec, vcc
	s_cbranch_execz .LBB109_163
; %bb.162:
	v_mov_b32_e32 v1, 0
	ds_write_b16 v1, v43 offset:12
	ds_write_b8 v1, v42 offset:14
.LBB109_163:
	s_or_b64 exec, exec, s[34:35]
	v_mov_b32_e32 v1, 0
	s_waitcnt vmcnt(0) lgkmcnt(0)
	s_barrier
	ds_read_b32 v2, v1 offset:12
	s_mov_b64 vcc, s[28:29]
	v_cndmask_b32_sdwa v3, v31, v18, vcc dst_sel:DWORD dst_unused:UNUSED_PAD src0_sel:WORD_1 src1_sel:DWORD
	v_cndmask_b32_e64 v4, v31, v17, s[28:29]
	v_cmp_eq_u16_sdwa vcc, v3, v1 src0_sel:BYTE_0 src1_sel:DWORD
	s_waitcnt lgkmcnt(0)
	v_max_i16_e32 v5, v2, v4
	v_cndmask_b32_e32 v1, v4, v5, vcc
	v_cmp_eq_u32_e32 vcc, 0, v0
	v_cndmask_b32_e32 v5, v1, v2, vcc
	v_and_b32_e32 v1, 0xff0000, v29
	v_max_i16_e32 v2, v5, v29
	v_cmp_eq_u32_e32 vcc, 0, v1
	v_cndmask_b32_e32 v3, v29, v2, vcc
	v_max_i16_e32 v1, v3, v14
	v_cndmask_b32_e64 v4, v14, v1, s[2:3]
	v_max_i16_e32 v1, v4, v13
	v_cndmask_b32_e64 v6, v13, v1, s[30:31]
	v_max_i16_e32 v1, v6, v30
	v_cndmask_b32_e64 v7, v30, v1, s[8:9]
	v_max_i16_e32 v1, v7, v28
	v_cndmask_b32_e64 v8, v28, v1, s[10:11]
	v_max_i16_e32 v1, v8, v27
	v_cndmask_b32_e64 v9, v27, v1, s[12:13]
	v_max_i16_e32 v1, v9, v26
	v_cndmask_b32_e64 v17, v26, v1, s[14:15]
	v_max_i16_e32 v1, v17, v25
	v_cndmask_b32_e64 v18, v25, v1, s[16:17]
	v_max_i16_e32 v1, v18, v24
	v_cndmask_b32_e64 v31, v24, v1, s[18:19]
	v_max_i16_e32 v1, v31, v23
	v_cndmask_b32_e64 v32, v23, v1, s[20:21]
	v_max_i16_e32 v1, v32, v22
	v_cndmask_b32_e64 v33, v22, v1, s[22:23]
	v_max_i16_e32 v1, v33, v20
	v_cndmask_b32_e64 v34, v20, v1, s[24:25]
	v_max_i16_e32 v1, v34, v19
	v_cndmask_b32_e64 v35, v19, v1, s[26:27]
	s_branch .LBB109_191
.LBB109_164:
	s_cmp_eq_u64 s[46:47], 0
	v_mov_b32_e32 v1, s7
	s_cbranch_scc1 .LBB109_166
; %bb.165:
	v_mov_b32_e32 v1, 0
	global_load_ushort v1, v1, s[46:47]
.LBB109_166:
	s_mov_b32 s26, 0x10000
	v_cmp_gt_u32_e64 s[2:3], s26, v14
	v_cndmask_b32_e64 v2, v14, v16, s[2:3]
	v_max_i16_e32 v2, v2, v13
	v_cmp_gt_u32_e64 s[6:7], s26, v13
	v_cndmask_b32_e64 v2, v13, v2, s[6:7]
	v_max_i16_e32 v2, v2, v30
	;; [unrolled: 3-line block ×11, first 2 shown]
	v_cmp_gt_u32_e32 vcc, s26, v19
	v_or3_b32 v4, v15, v28, v30
	v_cndmask_b32_e32 v2, v19, v2, vcc
	v_or3_b32 v5, v4, v13, v14
	v_max_i16_e32 v2, v2, v10
	v_cmp_gt_u32_e64 s[26:27], s26, v10
	v_cndmask_b32_e64 v4, v10, v2, s[26:27]
	v_or3_b32 v2, v10, v12, v5
	v_and_b32_e32 v2, 0xff0000, v2
	v_and_b32_e32 v3, 0x10000, v29
	v_mov_b32_e32 v5, 0x10000
	v_cmp_eq_u32_e64 s[26:27], 0, v2
	v_cndmask_b32_e64 v5, v5, v3, s[26:27]
	v_mbcnt_hi_u32_b32 v2, -1, v11
	v_and_b32_e32 v8, 15, v2
	v_or_b32_sdwa v6, v5, v4 dst_sel:DWORD dst_unused:UNUSED_PAD src0_sel:DWORD src1_sel:WORD_0
	v_lshrrev_b32_e32 v3, 16, v5
	v_cmp_ne_u32_e64 s[26:27], 0, v8
	v_mov_b32_dpp v7, v6 row_shr:1 row_mask:0xf bank_mask:0xf
	s_and_saveexec_b64 s[28:29], s[26:27]
	s_cbranch_execz .LBB109_168
; %bb.167:
	v_and_b32_e32 v3, 0x10000, v5
	v_mov_b32_e32 v6, 1
	v_and_b32_sdwa v6, v7, v6 dst_sel:DWORD dst_unused:UNUSED_PAD src0_sel:WORD_1 src1_sel:DWORD
	v_cmp_ne_u32_e64 s[26:27], 0, v3
	v_cndmask_b32_e64 v3, v6, 1, s[26:27]
	v_max_i16_e32 v6, v7, v4
	v_cmp_eq_u32_e64 s[26:27], 0, v5
	v_cndmask_b32_e64 v4, v4, v6, s[26:27]
	v_lshlrev_b32_e32 v5, 16, v3
	v_or_b32_sdwa v6, v5, v4 dst_sel:DWORD dst_unused:UNUSED_PAD src0_sel:DWORD src1_sel:WORD_0
.LBB109_168:
	s_or_b64 exec, exec, s[28:29]
	v_lshrrev_b32_e32 v7, 16, v6
	v_mov_b32_dpp v9, v6 row_shr:2 row_mask:0xf bank_mask:0xf
	v_cmp_lt_u32_e64 s[26:27], 1, v8
	v_mov_b32_e32 v5, v6
	s_and_saveexec_b64 s[28:29], s[26:27]
	s_cbranch_execz .LBB109_170
; %bb.169:
	v_and_b32_e32 v3, 0x10000, v6
	v_mov_b32_e32 v4, 1
	v_and_b32_sdwa v4, v9, v4 dst_sel:DWORD dst_unused:UNUSED_PAD src0_sel:WORD_1 src1_sel:DWORD
	v_cmp_ne_u32_e64 s[26:27], 0, v3
	v_cndmask_b32_e64 v3, v4, 1, s[26:27]
	s_mov_b32 s26, 0x10000
	v_max_i16_e32 v4, v9, v6
	v_cmp_gt_u32_e64 s[26:27], s26, v6
	v_cndmask_b32_e64 v4, v6, v4, s[26:27]
	v_lshlrev_b32_e32 v5, 16, v3
	v_or_b32_sdwa v6, v5, v4 dst_sel:DWORD dst_unused:UNUSED_PAD src0_sel:DWORD src1_sel:WORD_0
	v_mov_b32_e32 v5, v4
	v_mov_b32_e32 v7, v3
.LBB109_170:
	s_or_b64 exec, exec, s[28:29]
	v_mov_b32_dpp v9, v6 row_shr:4 row_mask:0xf bank_mask:0xf
	v_cmp_lt_u32_e64 s[26:27], 3, v8
	s_and_saveexec_b64 s[28:29], s[26:27]
	s_cbranch_execz .LBB109_172
; %bb.171:
	v_and_b32_e32 v3, 1, v7
	v_mov_b32_e32 v4, 1
	v_and_b32_sdwa v4, v9, v4 dst_sel:DWORD dst_unused:UNUSED_PAD src0_sel:WORD_1 src1_sel:DWORD
	v_cmp_eq_u32_e64 s[26:27], 1, v3
	v_cndmask_b32_e64 v3, v4, 1, s[26:27]
	v_max_i16_e32 v4, v9, v5
	v_cmp_eq_u16_e64 s[26:27], 0, v7
	v_cndmask_b32_e64 v4, v5, v4, s[26:27]
	v_lshlrev_b32_e32 v5, 16, v3
	v_or_b32_sdwa v6, v5, v4 dst_sel:DWORD dst_unused:UNUSED_PAD src0_sel:DWORD src1_sel:WORD_0
	v_mov_b32_e32 v5, v4
	v_mov_b32_e32 v7, v3
.LBB109_172:
	s_or_b64 exec, exec, s[28:29]
	v_mov_b32_dpp v9, v6 row_shr:8 row_mask:0xf bank_mask:0xf
	v_cmp_lt_u32_e64 s[26:27], 7, v8
	s_and_saveexec_b64 s[28:29], s[26:27]
	s_cbranch_execz .LBB109_174
; %bb.173:
	v_and_b32_e32 v3, 1, v7
	v_mov_b32_e32 v4, 1
	v_and_b32_sdwa v4, v9, v4 dst_sel:DWORD dst_unused:UNUSED_PAD src0_sel:WORD_1 src1_sel:DWORD
	v_cmp_eq_u32_e64 s[26:27], 1, v3
	v_cndmask_b32_e64 v3, v4, 1, s[26:27]
	v_max_i16_e32 v4, v9, v5
	v_cmp_eq_u16_e64 s[26:27], 0, v7
	v_cndmask_b32_e64 v4, v5, v4, s[26:27]
	v_lshlrev_b32_e32 v5, 16, v3
	v_or_b32_sdwa v6, v5, v4 dst_sel:DWORD dst_unused:UNUSED_PAD src0_sel:DWORD src1_sel:WORD_0
	v_mov_b32_e32 v5, v4
	v_mov_b32_e32 v7, v3
.LBB109_174:
	s_or_b64 exec, exec, s[28:29]
	v_and_b32_e32 v9, 16, v2
	v_mov_b32_dpp v8, v6 row_bcast:15 row_mask:0xf bank_mask:0xf
	v_cmp_ne_u32_e64 s[26:27], 0, v9
	s_and_saveexec_b64 s[28:29], s[26:27]
	s_cbranch_execz .LBB109_176
; %bb.175:
	v_and_b32_e32 v3, 1, v7
	v_mov_b32_e32 v4, 1
	v_and_b32_sdwa v4, v8, v4 dst_sel:DWORD dst_unused:UNUSED_PAD src0_sel:WORD_1 src1_sel:DWORD
	v_cmp_eq_u32_e64 s[26:27], 1, v3
	v_cndmask_b32_e64 v3, v4, 1, s[26:27]
	v_max_i16_e32 v4, v8, v5
	v_cmp_eq_u16_e64 s[26:27], 0, v7
	v_cndmask_b32_e64 v4, v5, v4, s[26:27]
	v_lshlrev_b32_e32 v5, 16, v3
	v_or_b32_sdwa v6, v5, v4 dst_sel:DWORD dst_unused:UNUSED_PAD src0_sel:DWORD src1_sel:WORD_0
	v_mov_b32_e32 v5, v4
	v_mov_b32_e32 v7, v3
.LBB109_176:
	s_or_b64 exec, exec, s[28:29]
	v_mov_b32_dpp v6, v6 row_bcast:31 row_mask:0xf bank_mask:0xf
	v_cmp_lt_u32_e64 s[26:27], 31, v2
	s_and_saveexec_b64 s[28:29], s[26:27]
; %bb.177:
	v_and_b32_e32 v3, 1, v7
	v_mov_b32_e32 v4, 1
	v_and_b32_sdwa v4, v6, v4 dst_sel:DWORD dst_unused:UNUSED_PAD src0_sel:WORD_1 src1_sel:DWORD
	v_cmp_eq_u32_e64 s[26:27], 1, v3
	v_cndmask_b32_e64 v3, v4, 1, s[26:27]
	v_max_i16_e32 v4, v6, v5
	v_cmp_eq_u16_e64 s[26:27], 0, v7
	v_cndmask_b32_e64 v4, v5, v4, s[26:27]
; %bb.178:
	s_or_b64 exec, exec, s[28:29]
	v_lshrrev_b32_e32 v5, 6, v0
	v_or_b32_e32 v6, 63, v0
	v_cmp_eq_u32_e64 s[26:27], v0, v6
	v_lshlrev_b32_e32 v5, 2, v5
	s_and_saveexec_b64 s[28:29], s[26:27]
	s_cbranch_execz .LBB109_180
; %bb.179:
	ds_write_b16 v5, v4
	ds_write_b8 v5, v3 offset:2
.LBB109_180:
	s_or_b64 exec, exec, s[28:29]
	v_cmp_gt_u32_e64 s[26:27], 4, v0
	s_waitcnt vmcnt(0) lgkmcnt(0)
	s_barrier
	s_and_saveexec_b64 s[28:29], s[26:27]
	s_cbranch_execz .LBB109_186
; %bb.181:
	ds_read_b32 v6, v21
	v_and_b32_e32 v8, 3, v2
	v_cmp_ne_u32_e64 s[26:27], 0, v8
	s_waitcnt lgkmcnt(0)
	v_lshrrev_b32_e32 v7, 16, v6
	v_mov_b32_dpp v10, v6 row_shr:1 row_mask:0xf bank_mask:0xf
	v_mov_b32_e32 v9, v6
	s_and_saveexec_b64 s[30:31], s[26:27]
	s_cbranch_execz .LBB109_183
; %bb.182:
	v_and_b32_e32 v9, 0x10000, v6
	v_mov_b32_e32 v12, 1
	v_and_b32_sdwa v12, v10, v12 dst_sel:DWORD dst_unused:UNUSED_PAD src0_sel:WORD_1 src1_sel:DWORD
	v_cmp_ne_u32_e64 s[26:27], 0, v9
	v_mov_b32_e32 v9, 0
	v_cndmask_b32_e64 v12, v12, 1, s[26:27]
	v_max_i16_e32 v10, v10, v6
	v_cmp_eq_u16_sdwa s[26:27], v7, v9 src0_sel:BYTE_0 src1_sel:DWORD
	v_cndmask_b32_e64 v9, v6, v10, s[26:27]
	v_and_b32_e32 v11, 0xff000000, v6
	v_lshlrev_b32_e32 v6, 16, v12
	v_and_b32_e32 v7, 0xffff, v9
	v_or3_b32 v6, v6, v11, v7
	v_mov_b32_e32 v7, v12
.LBB109_183:
	s_or_b64 exec, exec, s[30:31]
	v_mov_b32_dpp v10, v6 row_shr:2 row_mask:0xf bank_mask:0xf
	v_cmp_lt_u32_e64 s[26:27], 1, v8
	s_and_saveexec_b64 s[30:31], s[26:27]
; %bb.184:
	v_and_b32_e32 v7, 0x10000, v6
	v_mov_b32_e32 v8, 1
	v_and_b32_sdwa v8, v10, v8 dst_sel:DWORD dst_unused:UNUSED_PAD src0_sel:WORD_1 src1_sel:DWORD
	v_cmp_eq_u32_e64 s[26:27], 0, v7
	v_cndmask_b32_e64 v7, 1, v8, s[26:27]
	v_and_b32_e32 v8, 0xff0000, v6
	v_max_i16_e32 v9, v10, v6
	v_cmp_eq_u32_e64 s[26:27], 0, v8
	v_cndmask_b32_e64 v9, v6, v9, s[26:27]
; %bb.185:
	s_or_b64 exec, exec, s[30:31]
	ds_write_b16 v21, v9
	ds_write_b8 v21, v7 offset:2
.LBB109_186:
	s_or_b64 exec, exec, s[28:29]
	v_cmp_lt_u32_e64 s[26:27], 63, v0
	v_mov_b32_e32 v7, 0
	v_mov_b32_e32 v6, v1
	s_waitcnt lgkmcnt(0)
	s_barrier
	s_and_saveexec_b64 s[28:29], s[26:27]
	s_cbranch_execz .LBB109_188
; %bb.187:
	v_add_u32_e32 v6, -4, v5
	v_add_u32_e32 v5, -2, v5
	ds_read_u16 v6, v6
	ds_read_u8 v5, v5
	s_waitcnt lgkmcnt(1)
	v_max_i16_e32 v7, v1, v6
	s_waitcnt lgkmcnt(0)
	v_cmp_eq_u32_e64 s[26:27], 0, v5
	v_cndmask_b32_e64 v6, v6, v7, s[26:27]
	v_lshlrev_b32_e32 v7, 16, v5
.LBB109_188:
	s_or_b64 exec, exec, s[28:29]
	v_max_i16_e32 v5, v6, v4
	v_cmp_eq_u16_e64 s[26:27], 0, v3
	v_and_b32_e32 v3, 1, v3
	v_cndmask_b32_e64 v4, v4, v5, s[26:27]
	v_mov_b32_e32 v5, 0x10000
	v_cmp_eq_u32_e64 s[26:27], 1, v3
	v_cndmask_b32_e64 v3, v7, v5, s[26:27]
	v_or_b32_sdwa v3, v3, v4 dst_sel:DWORD dst_unused:UNUSED_PAD src0_sel:DWORD src1_sel:WORD_0
	v_subrev_co_u32_e64 v4, s[26:27], 1, v2
	v_and_b32_e32 v5, 64, v2
	v_cmp_lt_i32_e64 s[28:29], v4, v5
	v_cndmask_b32_e64 v2, v4, v2, s[28:29]
	v_lshlrev_b32_e32 v2, 2, v2
	ds_bpermute_b32 v2, v2, v3
	v_and_b32_e32 v3, 0xff0000, v29
	v_cmp_eq_u32_e64 s[28:29], 0, v3
	s_waitcnt lgkmcnt(0)
	v_cndmask_b32_e64 v5, v2, v6, s[26:27]
	v_cmp_eq_u32_e64 s[26:27], 0, v0
	v_cndmask_b32_e64 v2, v5, v1, s[26:27]
	v_max_i16_e32 v2, v2, v29
	v_cndmask_b32_e64 v3, v29, v2, s[28:29]
	v_max_i16_e32 v2, v3, v14
	;; [unrolled: 2-line block ×13, first 2 shown]
	s_and_saveexec_b64 s[6:7], s[26:27]
	s_cbranch_execz .LBB109_190
; %bb.189:
	v_mov_b32_e32 v5, 0
	ds_read_u8 v10, v5 offset:14
	ds_read_u16 v12, v5 offset:12
	v_mov_b32_e32 v11, 2
	s_waitcnt lgkmcnt(1)
	v_cmp_eq_u32_e64 s[2:3], 0, v10
	s_waitcnt lgkmcnt(0)
	v_max_i32_sdwa v14, sext(v1), sext(v12) dst_sel:DWORD dst_unused:UNUSED_PAD src0_sel:WORD_0 src1_sel:WORD_0
	v_lshlrev_b32_e32 v13, 16, v10
	v_cndmask_b32_e64 v10, v12, v14, s[2:3]
	v_or_b32_sdwa v10, v13, v10 dst_sel:DWORD dst_unused:UNUSED_PAD src0_sel:DWORD src1_sel:WORD_0
	global_store_dwordx2 v5, v[10:11], s[36:37] offset:512
	v_mov_b32_e32 v5, v1
.LBB109_190:
	s_or_b64 exec, exec, s[6:7]
	v_cndmask_b32_e32 v35, v19, v2, vcc
.LBB109_191:
	s_load_dwordx2 s[2:3], s[4:5], 0x18
	v_mov_b32_e32 v1, 0
	s_waitcnt lgkmcnt(0)
	s_add_u32 s2, s2, s44
	s_addc_u32 s3, s3, s45
	s_and_b64 vcc, exec, s[0:1]
	s_cbranch_vccz .LBB109_247
; %bb.192:
	s_add_i32 s33, s33, s38
	v_mul_u32_u24_e32 v2, 14, v0
	v_cmp_gt_u32_e32 vcc, s33, v2
	v_mov_b32_e32 v10, 0
	v_mov_b32_e32 v11, 0
	;; [unrolled: 1-line block ×6, first 2 shown]
	s_and_saveexec_b64 s[0:1], vcc
	s_cbranch_execz .LBB109_220
; %bb.193:
	v_or_b32_e32 v10, 1, v2
	v_and_b32_e32 v1, 0xffff, v5
	v_cmp_gt_u32_e32 vcc, s33, v10
	v_mov_b32_e32 v10, 0
	v_mov_b32_e32 v11, 0
	;; [unrolled: 1-line block ×6, first 2 shown]
	s_and_saveexec_b64 s[4:5], vcc
	s_cbranch_execz .LBB109_219
; %bb.194:
	s_mov_b32 s6, 0x5040100
	v_add_u32_e32 v16, 2, v2
	v_perm_b32 v1, v3, v1, s6
	v_mov_b32_e32 v14, 0
	v_mov_b32_e32 v15, 0
	;; [unrolled: 1-line block ×6, first 2 shown]
	v_cmp_gt_u32_e32 vcc, s33, v16
	s_and_saveexec_b64 s[6:7], vcc
	s_cbranch_execz .LBB109_218
; %bb.195:
	s_mov_b32 s8, 0xffff
	v_add_u32_e32 v16, 3, v2
	v_bfi_b32 v10, s8, v4, 0
	v_mov_b32_e32 v14, 0
	v_mov_b32_e32 v15, 0
	;; [unrolled: 1-line block ×5, first 2 shown]
	v_cmp_gt_u32_e32 vcc, s33, v16
	s_and_saveexec_b64 s[8:9], vcc
	s_cbranch_execz .LBB109_217
; %bb.196:
	s_mov_b32 s10, 0x5040100
	v_add_u32_e32 v16, 4, v2
	v_perm_b32 v10, v6, v10, s10
	v_mov_b32_e32 v14, 0
	v_mov_b32_e32 v15, 0
	;; [unrolled: 1-line block ×5, first 2 shown]
	v_cmp_gt_u32_e32 vcc, s33, v16
	s_and_saveexec_b64 s[10:11], vcc
	s_cbranch_execz .LBB109_216
; %bb.197:
	s_mov_b32 s12, 0xffff
	v_add_u32_e32 v16, 5, v2
	v_bfi_b32 v11, s12, v7, 0
	v_mov_b32_e32 v14, 0
	v_mov_b32_e32 v15, 0
	v_mov_b32_e32 v13, 0
	v_mov_b32_e32 v12, 0
	v_cmp_gt_u32_e32 vcc, s33, v16
	s_and_saveexec_b64 s[12:13], vcc
	s_cbranch_execz .LBB109_215
; %bb.198:
	s_mov_b32 s14, 0x5040100
	v_add_u32_e32 v16, 6, v2
	v_perm_b32 v11, v8, v11, s14
	v_mov_b32_e32 v14, 0
	v_mov_b32_e32 v15, 0
	;; [unrolled: 1-line block ×4, first 2 shown]
	v_cmp_gt_u32_e32 vcc, s33, v16
	s_and_saveexec_b64 s[14:15], vcc
	s_cbranch_execz .LBB109_214
; %bb.199:
	s_mov_b32 s16, 0xffff
	v_add_u32_e32 v16, 7, v2
	v_bfi_b32 v12, s16, v9, 0
	v_mov_b32_e32 v14, 0
	v_mov_b32_e32 v15, 0
	;; [unrolled: 1-line block ×3, first 2 shown]
	v_cmp_gt_u32_e32 vcc, s33, v16
	s_and_saveexec_b64 s[16:17], vcc
	s_cbranch_execz .LBB109_213
; %bb.200:
	s_mov_b32 s18, 0x5040100
	v_add_u32_e32 v16, 8, v2
	v_perm_b32 v12, v17, v12, s18
	v_mov_b32_e32 v14, 0
	v_mov_b32_e32 v15, 0
	;; [unrolled: 1-line block ×3, first 2 shown]
	v_cmp_gt_u32_e32 vcc, s33, v16
	s_and_saveexec_b64 s[18:19], vcc
	s_cbranch_execz .LBB109_212
; %bb.201:
	s_mov_b32 s20, 0xffff
	v_add_u32_e32 v16, 9, v2
	v_bfi_b32 v13, s20, v18, 0
	v_mov_b32_e32 v14, 0
	v_mov_b32_e32 v15, 0
	v_cmp_gt_u32_e32 vcc, s33, v16
	s_and_saveexec_b64 s[20:21], vcc
	s_cbranch_execz .LBB109_211
; %bb.202:
	s_mov_b32 s22, 0x5040100
	v_add_u32_e32 v16, 10, v2
	v_perm_b32 v13, v31, v13, s22
	v_mov_b32_e32 v14, 0
	v_mov_b32_e32 v15, 0
	v_cmp_gt_u32_e32 vcc, s33, v16
	s_and_saveexec_b64 s[22:23], vcc
	s_cbranch_execz .LBB109_210
; %bb.203:
	s_mov_b32 s24, 0xffff
	v_add_u32_e32 v16, 11, v2
	v_bfi_b32 v15, s24, v32, 0
	v_mov_b32_e32 v14, 0
	v_cmp_gt_u32_e32 vcc, s33, v16
	s_and_saveexec_b64 s[24:25], vcc
	s_cbranch_execz .LBB109_209
; %bb.204:
	s_mov_b32 s26, 0x5040100
	v_add_u32_e32 v16, 12, v2
	v_perm_b32 v15, v33, v15, s26
	v_mov_b32_e32 v14, 0
	v_cmp_gt_u32_e32 vcc, s33, v16
	s_and_saveexec_b64 s[26:27], vcc
	s_cbranch_execz .LBB109_208
; %bb.205:
	s_mov_b32 s28, 0xffff
	v_add_u32_e32 v16, 13, v2
	v_bfi_b32 v14, s28, v34, 0
	v_cmp_gt_u32_e32 vcc, s33, v16
	s_and_saveexec_b64 s[28:29], vcc
; %bb.206:
	s_mov_b32 s30, 0x5040100
	v_perm_b32 v14, v35, v14, s30
; %bb.207:
	s_or_b64 exec, exec, s[28:29]
.LBB109_208:
	s_or_b64 exec, exec, s[26:27]
.LBB109_209:
	s_or_b64 exec, exec, s[24:25]
.LBB109_210:
	s_or_b64 exec, exec, s[22:23]
.LBB109_211:
	s_or_b64 exec, exec, s[20:21]
.LBB109_212:
	s_or_b64 exec, exec, s[18:19]
.LBB109_213:
	s_or_b64 exec, exec, s[16:17]
.LBB109_214:
	s_or_b64 exec, exec, s[14:15]
.LBB109_215:
	s_or_b64 exec, exec, s[12:13]
.LBB109_216:
	s_or_b64 exec, exec, s[10:11]
.LBB109_217:
	s_or_b64 exec, exec, s[8:9]
.LBB109_218:
	s_or_b64 exec, exec, s[6:7]
.LBB109_219:
	s_or_b64 exec, exec, s[4:5]
.LBB109_220:
	s_or_b64 exec, exec, s[0:1]
	v_lshlrev_b32_e32 v26, 1, v2
	s_movk_i32 s0, 0xffe6
	s_waitcnt vmcnt(0)
	s_barrier
	ds_write2_b32 v26, v1, v10 offset1:1
	ds_write2_b32 v26, v11, v12 offset0:2 offset1:3
	ds_write2_b32 v26, v13, v15 offset0:4 offset1:5
	ds_write_b32 v26, v14 offset:24
	v_mad_i32_i24 v1, v0, s0, v26
	s_waitcnt lgkmcnt(0)
	s_barrier
	ds_read_u16 v25, v1 offset:512
	ds_read_u16 v24, v1 offset:1024
	;; [unrolled: 1-line block ×13, first 2 shown]
	v_mov_b32_e32 v2, s3
	v_add_co_u32_e32 v1, vcc, s2, v21
	v_addc_co_u32_e32 v2, vcc, 0, v2, vcc
	v_cmp_gt_u32_e32 vcc, s33, v0
	s_and_saveexec_b64 s[0:1], vcc
	s_cbranch_execz .LBB109_222
; %bb.221:
	v_mul_i32_i24_e32 v27, 0xffffffe6, v0
	v_add_u32_e32 v26, v26, v27
	ds_read_i16 v26, v26
	s_waitcnt lgkmcnt(0)
	v_cvt_f32_i32_e32 v26, v26
	global_store_dword v[1:2], v26, off
.LBB109_222:
	s_or_b64 exec, exec, s[0:1]
	v_or_b32_e32 v26, 0x100, v0
	v_cmp_gt_u32_e32 vcc, s33, v26
	s_and_saveexec_b64 s[0:1], vcc
	s_cbranch_execz .LBB109_224
; %bb.223:
	s_waitcnt lgkmcnt(12)
	v_cvt_f32_i32_sdwa v25, sext(v25) dst_sel:DWORD dst_unused:UNUSED_PAD src0_sel:WORD_0
	global_store_dword v[1:2], v25, off offset:1024
.LBB109_224:
	s_or_b64 exec, exec, s[0:1]
	s_waitcnt lgkmcnt(12)
	v_or_b32_e32 v25, 0x200, v0
	v_cmp_gt_u32_e32 vcc, s33, v25
	s_and_saveexec_b64 s[0:1], vcc
	s_cbranch_execz .LBB109_226
; %bb.225:
	s_waitcnt lgkmcnt(11)
	v_cvt_f32_i32_sdwa v24, sext(v24) dst_sel:DWORD dst_unused:UNUSED_PAD src0_sel:WORD_0
	global_store_dword v[1:2], v24, off offset:2048
.LBB109_226:
	s_or_b64 exec, exec, s[0:1]
	s_waitcnt lgkmcnt(11)
	;; [unrolled: 11-line block ×3, first 2 shown]
	v_or_b32_e32 v23, 0x400, v0
	v_cmp_gt_u32_e32 vcc, s33, v23
	s_and_saveexec_b64 s[0:1], vcc
	s_cbranch_execz .LBB109_230
; %bb.229:
	s_waitcnt lgkmcnt(9)
	v_cvt_f32_i32_sdwa v24, sext(v22) dst_sel:DWORD dst_unused:UNUSED_PAD src0_sel:WORD_0
	v_add_co_u32_e32 v22, vcc, 0x1000, v1
	v_addc_co_u32_e32 v23, vcc, 0, v2, vcc
	global_store_dword v[22:23], v24, off
.LBB109_230:
	s_or_b64 exec, exec, s[0:1]
	s_waitcnt lgkmcnt(9)
	v_or_b32_e32 v22, 0x500, v0
	v_cmp_gt_u32_e32 vcc, s33, v22
	s_and_saveexec_b64 s[0:1], vcc
	s_cbranch_execz .LBB109_232
; %bb.231:
	s_waitcnt lgkmcnt(8)
	v_cvt_f32_i32_sdwa v20, sext(v20) dst_sel:DWORD dst_unused:UNUSED_PAD src0_sel:WORD_0
	v_add_co_u32_e32 v22, vcc, 0x1000, v1
	v_addc_co_u32_e32 v23, vcc, 0, v2, vcc
	global_store_dword v[22:23], v20, off offset:1024
.LBB109_232:
	s_or_b64 exec, exec, s[0:1]
	s_waitcnt lgkmcnt(8)
	v_or_b32_e32 v20, 0x600, v0
	v_cmp_gt_u32_e32 vcc, s33, v20
	s_and_saveexec_b64 s[0:1], vcc
	s_cbranch_execz .LBB109_234
; %bb.233:
	s_waitcnt lgkmcnt(7)
	v_cvt_f32_i32_sdwa v22, sext(v19) dst_sel:DWORD dst_unused:UNUSED_PAD src0_sel:WORD_0
	v_add_co_u32_e32 v19, vcc, 0x1000, v1
	v_addc_co_u32_e32 v20, vcc, 0, v2, vcc
	global_store_dword v[19:20], v22, off offset:2048
.LBB109_234:
	;; [unrolled: 13-line block ×3, first 2 shown]
	s_or_b64 exec, exec, s[0:1]
	s_waitcnt lgkmcnt(6)
	v_or_b32_e32 v16, 0x800, v0
	v_cmp_gt_u32_e32 vcc, s33, v16
	s_and_saveexec_b64 s[0:1], vcc
	s_cbranch_execz .LBB109_238
; %bb.237:
	s_waitcnt lgkmcnt(5)
	v_cvt_f32_i32_sdwa v19, sext(v15) dst_sel:DWORD dst_unused:UNUSED_PAD src0_sel:WORD_0
	v_add_co_u32_e32 v15, vcc, 0x2000, v1
	v_addc_co_u32_e32 v16, vcc, 0, v2, vcc
	global_store_dword v[15:16], v19, off
.LBB109_238:
	s_or_b64 exec, exec, s[0:1]
	s_waitcnt lgkmcnt(5)
	v_or_b32_e32 v15, 0x900, v0
	v_cmp_gt_u32_e32 vcc, s33, v15
	s_and_saveexec_b64 s[0:1], vcc
	s_cbranch_execz .LBB109_240
; %bb.239:
	s_waitcnt lgkmcnt(4)
	v_cvt_f32_i32_sdwa v16, sext(v14) dst_sel:DWORD dst_unused:UNUSED_PAD src0_sel:WORD_0
	v_add_co_u32_e32 v14, vcc, 0x2000, v1
	v_addc_co_u32_e32 v15, vcc, 0, v2, vcc
	global_store_dword v[14:15], v16, off offset:1024
.LBB109_240:
	s_or_b64 exec, exec, s[0:1]
	s_waitcnt lgkmcnt(4)
	v_or_b32_e32 v14, 0xa00, v0
	v_cmp_gt_u32_e32 vcc, s33, v14
	s_and_saveexec_b64 s[0:1], vcc
	s_cbranch_execz .LBB109_242
; %bb.241:
	s_waitcnt lgkmcnt(3)
	v_cvt_f32_i32_sdwa v15, sext(v13) dst_sel:DWORD dst_unused:UNUSED_PAD src0_sel:WORD_0
	v_add_co_u32_e32 v13, vcc, 0x2000, v1
	v_addc_co_u32_e32 v14, vcc, 0, v2, vcc
	global_store_dword v[13:14], v15, off offset:2048
.LBB109_242:
	;; [unrolled: 13-line block ×3, first 2 shown]
	s_or_b64 exec, exec, s[0:1]
	s_waitcnt lgkmcnt(2)
	v_or_b32_e32 v12, 0xc00, v0
	v_cmp_gt_u32_e32 vcc, s33, v12
	s_and_saveexec_b64 s[0:1], vcc
	s_cbranch_execz .LBB109_246
; %bb.245:
	s_waitcnt lgkmcnt(1)
	v_cvt_f32_i32_sdwa v11, sext(v11) dst_sel:DWORD dst_unused:UNUSED_PAD src0_sel:WORD_0
	v_add_co_u32_e32 v1, vcc, 0x3000, v1
	v_addc_co_u32_e32 v2, vcc, 0, v2, vcc
	global_store_dword v[1:2], v11, off
.LBB109_246:
	s_or_b64 exec, exec, s[0:1]
	v_or_b32_e32 v1, 0xd00, v0
	v_cmp_gt_u32_e64 s[0:1], s33, v1
	s_branch .LBB109_249
.LBB109_247:
	s_mov_b64 s[0:1], 0
                                        ; implicit-def: $vgpr10
	s_cbranch_execz .LBB109_249
; %bb.248:
	s_mov_b32 s4, 0x5040100
	v_mul_u32_u24_e32 v1, 28, v0
	v_perm_b32 v2, v6, v4, s4
	v_perm_b32 v3, v3, v5, s4
	s_waitcnt vmcnt(0) lgkmcnt(0)
	s_barrier
	ds_write2_b32 v1, v3, v2 offset1:1
	v_perm_b32 v2, v17, v9, s4
	v_perm_b32 v3, v8, v7, s4
	ds_write2_b32 v1, v3, v2 offset0:2 offset1:3
	v_perm_b32 v2, v33, v32, s4
	v_perm_b32 v3, v31, v18, s4
	ds_write2_b32 v1, v3, v2 offset0:4 offset1:5
	v_perm_b32 v2, v35, v34, s4
	ds_write_b32 v1, v2 offset:24
	v_mul_i32_i24_e32 v1, 0xffffffe6, v0
	v_mad_u32_u24 v1, v0, 28, v1
	s_waitcnt lgkmcnt(0)
	s_barrier
	ds_read_i16 v2, v1
	ds_read_i16 v3, v1 offset:512
	ds_read_i16 v4, v1 offset:1024
	;; [unrolled: 1-line block ×12, first 2 shown]
	ds_read_u16 v10, v1 offset:6656
	v_mov_b32_e32 v1, s3
	v_add_co_u32_e32 v16, vcc, s2, v21
	v_addc_co_u32_e32 v17, vcc, 0, v1, vcc
	s_waitcnt lgkmcnt(13)
	v_cvt_f32_i32_e32 v1, v2
	s_waitcnt lgkmcnt(12)
	v_cvt_f32_i32_e32 v2, v3
	;; [unrolled: 2-line block ×4, first 2 shown]
	s_movk_i32 s4, 0x1000
	global_store_dword v21, v1, s[2:3]
	global_store_dword v21, v2, s[2:3] offset:1024
	global_store_dword v21, v3, s[2:3] offset:2048
	;; [unrolled: 1-line block ×3, first 2 shown]
	s_waitcnt lgkmcnt(9)
	v_cvt_f32_i32_e32 v5, v6
	v_add_co_u32_e32 v1, vcc, s4, v16
	v_addc_co_u32_e32 v2, vcc, 0, v17, vcc
	s_movk_i32 s4, 0x2000
	s_waitcnt lgkmcnt(8)
	v_cvt_f32_i32_e32 v6, v7
	v_add_co_u32_e32 v3, vcc, s4, v16
	s_waitcnt lgkmcnt(7)
	v_cvt_f32_i32_e32 v7, v8
	v_addc_co_u32_e32 v4, vcc, 0, v17, vcc
	s_waitcnt lgkmcnt(6)
	v_cvt_f32_i32_e32 v8, v9
	global_store_dword v[3:4], v5, off offset:-4096
	global_store_dword v[1:2], v6, off offset:1024
	global_store_dword v[1:2], v7, off offset:2048
	;; [unrolled: 1-line block ×3, first 2 shown]
	s_waitcnt lgkmcnt(5)
	v_cvt_f32_i32_e32 v1, v11
	s_waitcnt lgkmcnt(4)
	v_cvt_f32_i32_e32 v2, v12
	;; [unrolled: 2-line block ×4, first 2 shown]
	global_store_dword v[3:4], v1, off
	global_store_dword v[3:4], v2, off offset:1024
	global_store_dword v[3:4], v5, off offset:2048
	;; [unrolled: 1-line block ×3, first 2 shown]
	s_waitcnt lgkmcnt(1)
	v_cvt_f32_i32_e32 v3, v15
	v_add_co_u32_e32 v1, vcc, 0x3000, v16
	v_addc_co_u32_e32 v2, vcc, 0, v17, vcc
	s_or_b64 s[0:1], s[0:1], exec
	global_store_dword v[1:2], v3, off
.LBB109_249:
	s_and_saveexec_b64 s[4:5], s[0:1]
	s_cbranch_execz .LBB109_251
; %bb.250:
	v_lshlrev_b32_e32 v0, 2, v0
	v_mov_b32_e32 v1, s3
	v_add_co_u32_e32 v0, vcc, s2, v0
	s_waitcnt lgkmcnt(0)
	v_cvt_f32_i32_sdwa v2, sext(v10) dst_sel:DWORD dst_unused:UNUSED_PAD src0_sel:WORD_0
	v_addc_co_u32_e32 v1, vcc, 0, v1, vcc
	v_add_co_u32_e32 v0, vcc, 0x3000, v0
	v_addc_co_u32_e32 v1, vcc, 0, v1, vcc
	global_store_dword v[0:1], v2, off offset:1024
	s_endpgm
.LBB109_251:
	s_endpgm
	.section	.rodata,"a",@progbits
	.p2align	6, 0x0
	.amdhsa_kernel _ZN7rocprim6detail25device_scan_by_key_kernelILNS0_25lookback_scan_determinismE0ELb1ENS0_26wrapped_scan_by_key_configINS_14default_configEisEEPiN6hipcub22TransformInputIteratorIsNS7_6CastOpIsEEPslEEPfsNS7_8EqualityENS7_3MaxENS0_19lookback_scan_stateINS_5tupleIJsbEEELb0ELb1EEEsEEvT2_T3_T4_T5_T6_T7_T8_mmmPKNSH_IJT9_bEEE
		.amdhsa_group_segment_fixed_size 16384
		.amdhsa_private_segment_fixed_size 0
		.amdhsa_kernarg_size 80
		.amdhsa_user_sgpr_count 6
		.amdhsa_user_sgpr_private_segment_buffer 1
		.amdhsa_user_sgpr_dispatch_ptr 0
		.amdhsa_user_sgpr_queue_ptr 0
		.amdhsa_user_sgpr_kernarg_segment_ptr 1
		.amdhsa_user_sgpr_dispatch_id 0
		.amdhsa_user_sgpr_flat_scratch_init 0
		.amdhsa_user_sgpr_private_segment_size 0
		.amdhsa_uses_dynamic_stack 0
		.amdhsa_system_sgpr_private_segment_wavefront_offset 0
		.amdhsa_system_sgpr_workgroup_id_x 1
		.amdhsa_system_sgpr_workgroup_id_y 0
		.amdhsa_system_sgpr_workgroup_id_z 0
		.amdhsa_system_sgpr_workgroup_info 0
		.amdhsa_system_vgpr_workitem_id 0
		.amdhsa_next_free_vgpr 51
		.amdhsa_next_free_sgpr 98
		.amdhsa_reserve_vcc 1
		.amdhsa_reserve_flat_scratch 0
		.amdhsa_float_round_mode_32 0
		.amdhsa_float_round_mode_16_64 0
		.amdhsa_float_denorm_mode_32 3
		.amdhsa_float_denorm_mode_16_64 3
		.amdhsa_dx10_clamp 1
		.amdhsa_ieee_mode 1
		.amdhsa_fp16_overflow 0
		.amdhsa_exception_fp_ieee_invalid_op 0
		.amdhsa_exception_fp_denorm_src 0
		.amdhsa_exception_fp_ieee_div_zero 0
		.amdhsa_exception_fp_ieee_overflow 0
		.amdhsa_exception_fp_ieee_underflow 0
		.amdhsa_exception_fp_ieee_inexact 0
		.amdhsa_exception_int_div_zero 0
	.end_amdhsa_kernel
	.section	.text._ZN7rocprim6detail25device_scan_by_key_kernelILNS0_25lookback_scan_determinismE0ELb1ENS0_26wrapped_scan_by_key_configINS_14default_configEisEEPiN6hipcub22TransformInputIteratorIsNS7_6CastOpIsEEPslEEPfsNS7_8EqualityENS7_3MaxENS0_19lookback_scan_stateINS_5tupleIJsbEEELb0ELb1EEEsEEvT2_T3_T4_T5_T6_T7_T8_mmmPKNSH_IJT9_bEEE,"axG",@progbits,_ZN7rocprim6detail25device_scan_by_key_kernelILNS0_25lookback_scan_determinismE0ELb1ENS0_26wrapped_scan_by_key_configINS_14default_configEisEEPiN6hipcub22TransformInputIteratorIsNS7_6CastOpIsEEPslEEPfsNS7_8EqualityENS7_3MaxENS0_19lookback_scan_stateINS_5tupleIJsbEEELb0ELb1EEEsEEvT2_T3_T4_T5_T6_T7_T8_mmmPKNSH_IJT9_bEEE,comdat
.Lfunc_end109:
	.size	_ZN7rocprim6detail25device_scan_by_key_kernelILNS0_25lookback_scan_determinismE0ELb1ENS0_26wrapped_scan_by_key_configINS_14default_configEisEEPiN6hipcub22TransformInputIteratorIsNS7_6CastOpIsEEPslEEPfsNS7_8EqualityENS7_3MaxENS0_19lookback_scan_stateINS_5tupleIJsbEEELb0ELb1EEEsEEvT2_T3_T4_T5_T6_T7_T8_mmmPKNSH_IJT9_bEEE, .Lfunc_end109-_ZN7rocprim6detail25device_scan_by_key_kernelILNS0_25lookback_scan_determinismE0ELb1ENS0_26wrapped_scan_by_key_configINS_14default_configEisEEPiN6hipcub22TransformInputIteratorIsNS7_6CastOpIsEEPslEEPfsNS7_8EqualityENS7_3MaxENS0_19lookback_scan_stateINS_5tupleIJsbEEELb0ELb1EEEsEEvT2_T3_T4_T5_T6_T7_T8_mmmPKNSH_IJT9_bEEE
                                        ; -- End function
	.set _ZN7rocprim6detail25device_scan_by_key_kernelILNS0_25lookback_scan_determinismE0ELb1ENS0_26wrapped_scan_by_key_configINS_14default_configEisEEPiN6hipcub22TransformInputIteratorIsNS7_6CastOpIsEEPslEEPfsNS7_8EqualityENS7_3MaxENS0_19lookback_scan_stateINS_5tupleIJsbEEELb0ELb1EEEsEEvT2_T3_T4_T5_T6_T7_T8_mmmPKNSH_IJT9_bEEE.num_vgpr, 51
	.set _ZN7rocprim6detail25device_scan_by_key_kernelILNS0_25lookback_scan_determinismE0ELb1ENS0_26wrapped_scan_by_key_configINS_14default_configEisEEPiN6hipcub22TransformInputIteratorIsNS7_6CastOpIsEEPslEEPfsNS7_8EqualityENS7_3MaxENS0_19lookback_scan_stateINS_5tupleIJsbEEELb0ELb1EEEsEEvT2_T3_T4_T5_T6_T7_T8_mmmPKNSH_IJT9_bEEE.num_agpr, 0
	.set _ZN7rocprim6detail25device_scan_by_key_kernelILNS0_25lookback_scan_determinismE0ELb1ENS0_26wrapped_scan_by_key_configINS_14default_configEisEEPiN6hipcub22TransformInputIteratorIsNS7_6CastOpIsEEPslEEPfsNS7_8EqualityENS7_3MaxENS0_19lookback_scan_stateINS_5tupleIJsbEEELb0ELb1EEEsEEvT2_T3_T4_T5_T6_T7_T8_mmmPKNSH_IJT9_bEEE.numbered_sgpr, 54
	.set _ZN7rocprim6detail25device_scan_by_key_kernelILNS0_25lookback_scan_determinismE0ELb1ENS0_26wrapped_scan_by_key_configINS_14default_configEisEEPiN6hipcub22TransformInputIteratorIsNS7_6CastOpIsEEPslEEPfsNS7_8EqualityENS7_3MaxENS0_19lookback_scan_stateINS_5tupleIJsbEEELb0ELb1EEEsEEvT2_T3_T4_T5_T6_T7_T8_mmmPKNSH_IJT9_bEEE.num_named_barrier, 0
	.set _ZN7rocprim6detail25device_scan_by_key_kernelILNS0_25lookback_scan_determinismE0ELb1ENS0_26wrapped_scan_by_key_configINS_14default_configEisEEPiN6hipcub22TransformInputIteratorIsNS7_6CastOpIsEEPslEEPfsNS7_8EqualityENS7_3MaxENS0_19lookback_scan_stateINS_5tupleIJsbEEELb0ELb1EEEsEEvT2_T3_T4_T5_T6_T7_T8_mmmPKNSH_IJT9_bEEE.private_seg_size, 0
	.set _ZN7rocprim6detail25device_scan_by_key_kernelILNS0_25lookback_scan_determinismE0ELb1ENS0_26wrapped_scan_by_key_configINS_14default_configEisEEPiN6hipcub22TransformInputIteratorIsNS7_6CastOpIsEEPslEEPfsNS7_8EqualityENS7_3MaxENS0_19lookback_scan_stateINS_5tupleIJsbEEELb0ELb1EEEsEEvT2_T3_T4_T5_T6_T7_T8_mmmPKNSH_IJT9_bEEE.uses_vcc, 1
	.set _ZN7rocprim6detail25device_scan_by_key_kernelILNS0_25lookback_scan_determinismE0ELb1ENS0_26wrapped_scan_by_key_configINS_14default_configEisEEPiN6hipcub22TransformInputIteratorIsNS7_6CastOpIsEEPslEEPfsNS7_8EqualityENS7_3MaxENS0_19lookback_scan_stateINS_5tupleIJsbEEELb0ELb1EEEsEEvT2_T3_T4_T5_T6_T7_T8_mmmPKNSH_IJT9_bEEE.uses_flat_scratch, 0
	.set _ZN7rocprim6detail25device_scan_by_key_kernelILNS0_25lookback_scan_determinismE0ELb1ENS0_26wrapped_scan_by_key_configINS_14default_configEisEEPiN6hipcub22TransformInputIteratorIsNS7_6CastOpIsEEPslEEPfsNS7_8EqualityENS7_3MaxENS0_19lookback_scan_stateINS_5tupleIJsbEEELb0ELb1EEEsEEvT2_T3_T4_T5_T6_T7_T8_mmmPKNSH_IJT9_bEEE.has_dyn_sized_stack, 0
	.set _ZN7rocprim6detail25device_scan_by_key_kernelILNS0_25lookback_scan_determinismE0ELb1ENS0_26wrapped_scan_by_key_configINS_14default_configEisEEPiN6hipcub22TransformInputIteratorIsNS7_6CastOpIsEEPslEEPfsNS7_8EqualityENS7_3MaxENS0_19lookback_scan_stateINS_5tupleIJsbEEELb0ELb1EEEsEEvT2_T3_T4_T5_T6_T7_T8_mmmPKNSH_IJT9_bEEE.has_recursion, 0
	.set _ZN7rocprim6detail25device_scan_by_key_kernelILNS0_25lookback_scan_determinismE0ELb1ENS0_26wrapped_scan_by_key_configINS_14default_configEisEEPiN6hipcub22TransformInputIteratorIsNS7_6CastOpIsEEPslEEPfsNS7_8EqualityENS7_3MaxENS0_19lookback_scan_stateINS_5tupleIJsbEEELb0ELb1EEEsEEvT2_T3_T4_T5_T6_T7_T8_mmmPKNSH_IJT9_bEEE.has_indirect_call, 0
	.section	.AMDGPU.csdata,"",@progbits
; Kernel info:
; codeLenInByte = 11960
; TotalNumSgprs: 58
; NumVgprs: 51
; ScratchSize: 0
; MemoryBound: 0
; FloatMode: 240
; IeeeMode: 1
; LDSByteSize: 16384 bytes/workgroup (compile time only)
; SGPRBlocks: 12
; VGPRBlocks: 12
; NumSGPRsForWavesPerEU: 102
; NumVGPRsForWavesPerEU: 51
; Occupancy: 4
; WaveLimiterHint : 1
; COMPUTE_PGM_RSRC2:SCRATCH_EN: 0
; COMPUTE_PGM_RSRC2:USER_SGPR: 6
; COMPUTE_PGM_RSRC2:TRAP_HANDLER: 0
; COMPUTE_PGM_RSRC2:TGID_X_EN: 1
; COMPUTE_PGM_RSRC2:TGID_Y_EN: 0
; COMPUTE_PGM_RSRC2:TGID_Z_EN: 0
; COMPUTE_PGM_RSRC2:TIDIG_COMP_CNT: 0
	.section	.text._ZN7rocprim6detail25device_scan_by_key_kernelILNS0_25lookback_scan_determinismE0ELb1ENS0_26wrapped_scan_by_key_configINS_14default_configEimEEPiN6hipcub22TransformInputIteratorImNS7_6CastOpImEEPmlEESB_mNS7_8EqualityENS7_3SumENS0_19lookback_scan_stateINS_5tupleIJmbEEELb1ELb0EEEmEEvT2_T3_T4_T5_T6_T7_T8_mmmPKNSG_IJT9_bEEE,"axG",@progbits,_ZN7rocprim6detail25device_scan_by_key_kernelILNS0_25lookback_scan_determinismE0ELb1ENS0_26wrapped_scan_by_key_configINS_14default_configEimEEPiN6hipcub22TransformInputIteratorImNS7_6CastOpImEEPmlEESB_mNS7_8EqualityENS7_3SumENS0_19lookback_scan_stateINS_5tupleIJmbEEELb1ELb0EEEmEEvT2_T3_T4_T5_T6_T7_T8_mmmPKNSG_IJT9_bEEE,comdat
	.protected	_ZN7rocprim6detail25device_scan_by_key_kernelILNS0_25lookback_scan_determinismE0ELb1ENS0_26wrapped_scan_by_key_configINS_14default_configEimEEPiN6hipcub22TransformInputIteratorImNS7_6CastOpImEEPmlEESB_mNS7_8EqualityENS7_3SumENS0_19lookback_scan_stateINS_5tupleIJmbEEELb1ELb0EEEmEEvT2_T3_T4_T5_T6_T7_T8_mmmPKNSG_IJT9_bEEE ; -- Begin function _ZN7rocprim6detail25device_scan_by_key_kernelILNS0_25lookback_scan_determinismE0ELb1ENS0_26wrapped_scan_by_key_configINS_14default_configEimEEPiN6hipcub22TransformInputIteratorImNS7_6CastOpImEEPmlEESB_mNS7_8EqualityENS7_3SumENS0_19lookback_scan_stateINS_5tupleIJmbEEELb1ELb0EEEmEEvT2_T3_T4_T5_T6_T7_T8_mmmPKNSG_IJT9_bEEE
	.globl	_ZN7rocprim6detail25device_scan_by_key_kernelILNS0_25lookback_scan_determinismE0ELb1ENS0_26wrapped_scan_by_key_configINS_14default_configEimEEPiN6hipcub22TransformInputIteratorImNS7_6CastOpImEEPmlEESB_mNS7_8EqualityENS7_3SumENS0_19lookback_scan_stateINS_5tupleIJmbEEELb1ELb0EEEmEEvT2_T3_T4_T5_T6_T7_T8_mmmPKNSG_IJT9_bEEE
	.p2align	8
	.type	_ZN7rocprim6detail25device_scan_by_key_kernelILNS0_25lookback_scan_determinismE0ELb1ENS0_26wrapped_scan_by_key_configINS_14default_configEimEEPiN6hipcub22TransformInputIteratorImNS7_6CastOpImEEPmlEESB_mNS7_8EqualityENS7_3SumENS0_19lookback_scan_stateINS_5tupleIJmbEEELb1ELb0EEEmEEvT2_T3_T4_T5_T6_T7_T8_mmmPKNSG_IJT9_bEEE,@function
_ZN7rocprim6detail25device_scan_by_key_kernelILNS0_25lookback_scan_determinismE0ELb1ENS0_26wrapped_scan_by_key_configINS_14default_configEimEEPiN6hipcub22TransformInputIteratorImNS7_6CastOpImEEPmlEESB_mNS7_8EqualityENS7_3SumENS0_19lookback_scan_stateINS_5tupleIJmbEEELb1ELb0EEEmEEvT2_T3_T4_T5_T6_T7_T8_mmmPKNSG_IJT9_bEEE: ; @_ZN7rocprim6detail25device_scan_by_key_kernelILNS0_25lookback_scan_determinismE0ELb1ENS0_26wrapped_scan_by_key_configINS_14default_configEimEEPiN6hipcub22TransformInputIteratorImNS7_6CastOpImEEPmlEESB_mNS7_8EqualityENS7_3SumENS0_19lookback_scan_stateINS_5tupleIJmbEEELb1ELb0EEEmEEvT2_T3_T4_T5_T6_T7_T8_mmmPKNSG_IJT9_bEEE
; %bb.0:
	s_endpgm
	.section	.rodata,"a",@progbits
	.p2align	6, 0x0
	.amdhsa_kernel _ZN7rocprim6detail25device_scan_by_key_kernelILNS0_25lookback_scan_determinismE0ELb1ENS0_26wrapped_scan_by_key_configINS_14default_configEimEEPiN6hipcub22TransformInputIteratorImNS7_6CastOpImEEPmlEESB_mNS7_8EqualityENS7_3SumENS0_19lookback_scan_stateINS_5tupleIJmbEEELb1ELb0EEEmEEvT2_T3_T4_T5_T6_T7_T8_mmmPKNSG_IJT9_bEEE
		.amdhsa_group_segment_fixed_size 0
		.amdhsa_private_segment_fixed_size 0
		.amdhsa_kernarg_size 104
		.amdhsa_user_sgpr_count 6
		.amdhsa_user_sgpr_private_segment_buffer 1
		.amdhsa_user_sgpr_dispatch_ptr 0
		.amdhsa_user_sgpr_queue_ptr 0
		.amdhsa_user_sgpr_kernarg_segment_ptr 1
		.amdhsa_user_sgpr_dispatch_id 0
		.amdhsa_user_sgpr_flat_scratch_init 0
		.amdhsa_user_sgpr_private_segment_size 0
		.amdhsa_uses_dynamic_stack 0
		.amdhsa_system_sgpr_private_segment_wavefront_offset 0
		.amdhsa_system_sgpr_workgroup_id_x 1
		.amdhsa_system_sgpr_workgroup_id_y 0
		.amdhsa_system_sgpr_workgroup_id_z 0
		.amdhsa_system_sgpr_workgroup_info 0
		.amdhsa_system_vgpr_workitem_id 0
		.amdhsa_next_free_vgpr 1
		.amdhsa_next_free_sgpr 0
		.amdhsa_reserve_vcc 0
		.amdhsa_reserve_flat_scratch 0
		.amdhsa_float_round_mode_32 0
		.amdhsa_float_round_mode_16_64 0
		.amdhsa_float_denorm_mode_32 3
		.amdhsa_float_denorm_mode_16_64 3
		.amdhsa_dx10_clamp 1
		.amdhsa_ieee_mode 1
		.amdhsa_fp16_overflow 0
		.amdhsa_exception_fp_ieee_invalid_op 0
		.amdhsa_exception_fp_denorm_src 0
		.amdhsa_exception_fp_ieee_div_zero 0
		.amdhsa_exception_fp_ieee_overflow 0
		.amdhsa_exception_fp_ieee_underflow 0
		.amdhsa_exception_fp_ieee_inexact 0
		.amdhsa_exception_int_div_zero 0
	.end_amdhsa_kernel
	.section	.text._ZN7rocprim6detail25device_scan_by_key_kernelILNS0_25lookback_scan_determinismE0ELb1ENS0_26wrapped_scan_by_key_configINS_14default_configEimEEPiN6hipcub22TransformInputIteratorImNS7_6CastOpImEEPmlEESB_mNS7_8EqualityENS7_3SumENS0_19lookback_scan_stateINS_5tupleIJmbEEELb1ELb0EEEmEEvT2_T3_T4_T5_T6_T7_T8_mmmPKNSG_IJT9_bEEE,"axG",@progbits,_ZN7rocprim6detail25device_scan_by_key_kernelILNS0_25lookback_scan_determinismE0ELb1ENS0_26wrapped_scan_by_key_configINS_14default_configEimEEPiN6hipcub22TransformInputIteratorImNS7_6CastOpImEEPmlEESB_mNS7_8EqualityENS7_3SumENS0_19lookback_scan_stateINS_5tupleIJmbEEELb1ELb0EEEmEEvT2_T3_T4_T5_T6_T7_T8_mmmPKNSG_IJT9_bEEE,comdat
.Lfunc_end110:
	.size	_ZN7rocprim6detail25device_scan_by_key_kernelILNS0_25lookback_scan_determinismE0ELb1ENS0_26wrapped_scan_by_key_configINS_14default_configEimEEPiN6hipcub22TransformInputIteratorImNS7_6CastOpImEEPmlEESB_mNS7_8EqualityENS7_3SumENS0_19lookback_scan_stateINS_5tupleIJmbEEELb1ELb0EEEmEEvT2_T3_T4_T5_T6_T7_T8_mmmPKNSG_IJT9_bEEE, .Lfunc_end110-_ZN7rocprim6detail25device_scan_by_key_kernelILNS0_25lookback_scan_determinismE0ELb1ENS0_26wrapped_scan_by_key_configINS_14default_configEimEEPiN6hipcub22TransformInputIteratorImNS7_6CastOpImEEPmlEESB_mNS7_8EqualityENS7_3SumENS0_19lookback_scan_stateINS_5tupleIJmbEEELb1ELb0EEEmEEvT2_T3_T4_T5_T6_T7_T8_mmmPKNSG_IJT9_bEEE
                                        ; -- End function
	.set _ZN7rocprim6detail25device_scan_by_key_kernelILNS0_25lookback_scan_determinismE0ELb1ENS0_26wrapped_scan_by_key_configINS_14default_configEimEEPiN6hipcub22TransformInputIteratorImNS7_6CastOpImEEPmlEESB_mNS7_8EqualityENS7_3SumENS0_19lookback_scan_stateINS_5tupleIJmbEEELb1ELb0EEEmEEvT2_T3_T4_T5_T6_T7_T8_mmmPKNSG_IJT9_bEEE.num_vgpr, 0
	.set _ZN7rocprim6detail25device_scan_by_key_kernelILNS0_25lookback_scan_determinismE0ELb1ENS0_26wrapped_scan_by_key_configINS_14default_configEimEEPiN6hipcub22TransformInputIteratorImNS7_6CastOpImEEPmlEESB_mNS7_8EqualityENS7_3SumENS0_19lookback_scan_stateINS_5tupleIJmbEEELb1ELb0EEEmEEvT2_T3_T4_T5_T6_T7_T8_mmmPKNSG_IJT9_bEEE.num_agpr, 0
	.set _ZN7rocprim6detail25device_scan_by_key_kernelILNS0_25lookback_scan_determinismE0ELb1ENS0_26wrapped_scan_by_key_configINS_14default_configEimEEPiN6hipcub22TransformInputIteratorImNS7_6CastOpImEEPmlEESB_mNS7_8EqualityENS7_3SumENS0_19lookback_scan_stateINS_5tupleIJmbEEELb1ELb0EEEmEEvT2_T3_T4_T5_T6_T7_T8_mmmPKNSG_IJT9_bEEE.numbered_sgpr, 0
	.set _ZN7rocprim6detail25device_scan_by_key_kernelILNS0_25lookback_scan_determinismE0ELb1ENS0_26wrapped_scan_by_key_configINS_14default_configEimEEPiN6hipcub22TransformInputIteratorImNS7_6CastOpImEEPmlEESB_mNS7_8EqualityENS7_3SumENS0_19lookback_scan_stateINS_5tupleIJmbEEELb1ELb0EEEmEEvT2_T3_T4_T5_T6_T7_T8_mmmPKNSG_IJT9_bEEE.num_named_barrier, 0
	.set _ZN7rocprim6detail25device_scan_by_key_kernelILNS0_25lookback_scan_determinismE0ELb1ENS0_26wrapped_scan_by_key_configINS_14default_configEimEEPiN6hipcub22TransformInputIteratorImNS7_6CastOpImEEPmlEESB_mNS7_8EqualityENS7_3SumENS0_19lookback_scan_stateINS_5tupleIJmbEEELb1ELb0EEEmEEvT2_T3_T4_T5_T6_T7_T8_mmmPKNSG_IJT9_bEEE.private_seg_size, 0
	.set _ZN7rocprim6detail25device_scan_by_key_kernelILNS0_25lookback_scan_determinismE0ELb1ENS0_26wrapped_scan_by_key_configINS_14default_configEimEEPiN6hipcub22TransformInputIteratorImNS7_6CastOpImEEPmlEESB_mNS7_8EqualityENS7_3SumENS0_19lookback_scan_stateINS_5tupleIJmbEEELb1ELb0EEEmEEvT2_T3_T4_T5_T6_T7_T8_mmmPKNSG_IJT9_bEEE.uses_vcc, 0
	.set _ZN7rocprim6detail25device_scan_by_key_kernelILNS0_25lookback_scan_determinismE0ELb1ENS0_26wrapped_scan_by_key_configINS_14default_configEimEEPiN6hipcub22TransformInputIteratorImNS7_6CastOpImEEPmlEESB_mNS7_8EqualityENS7_3SumENS0_19lookback_scan_stateINS_5tupleIJmbEEELb1ELb0EEEmEEvT2_T3_T4_T5_T6_T7_T8_mmmPKNSG_IJT9_bEEE.uses_flat_scratch, 0
	.set _ZN7rocprim6detail25device_scan_by_key_kernelILNS0_25lookback_scan_determinismE0ELb1ENS0_26wrapped_scan_by_key_configINS_14default_configEimEEPiN6hipcub22TransformInputIteratorImNS7_6CastOpImEEPmlEESB_mNS7_8EqualityENS7_3SumENS0_19lookback_scan_stateINS_5tupleIJmbEEELb1ELb0EEEmEEvT2_T3_T4_T5_T6_T7_T8_mmmPKNSG_IJT9_bEEE.has_dyn_sized_stack, 0
	.set _ZN7rocprim6detail25device_scan_by_key_kernelILNS0_25lookback_scan_determinismE0ELb1ENS0_26wrapped_scan_by_key_configINS_14default_configEimEEPiN6hipcub22TransformInputIteratorImNS7_6CastOpImEEPmlEESB_mNS7_8EqualityENS7_3SumENS0_19lookback_scan_stateINS_5tupleIJmbEEELb1ELb0EEEmEEvT2_T3_T4_T5_T6_T7_T8_mmmPKNSG_IJT9_bEEE.has_recursion, 0
	.set _ZN7rocprim6detail25device_scan_by_key_kernelILNS0_25lookback_scan_determinismE0ELb1ENS0_26wrapped_scan_by_key_configINS_14default_configEimEEPiN6hipcub22TransformInputIteratorImNS7_6CastOpImEEPmlEESB_mNS7_8EqualityENS7_3SumENS0_19lookback_scan_stateINS_5tupleIJmbEEELb1ELb0EEEmEEvT2_T3_T4_T5_T6_T7_T8_mmmPKNSG_IJT9_bEEE.has_indirect_call, 0
	.section	.AMDGPU.csdata,"",@progbits
; Kernel info:
; codeLenInByte = 4
; TotalNumSgprs: 4
; NumVgprs: 0
; ScratchSize: 0
; MemoryBound: 0
; FloatMode: 240
; IeeeMode: 1
; LDSByteSize: 0 bytes/workgroup (compile time only)
; SGPRBlocks: 0
; VGPRBlocks: 0
; NumSGPRsForWavesPerEU: 4
; NumVGPRsForWavesPerEU: 1
; Occupancy: 10
; WaveLimiterHint : 0
; COMPUTE_PGM_RSRC2:SCRATCH_EN: 0
; COMPUTE_PGM_RSRC2:USER_SGPR: 6
; COMPUTE_PGM_RSRC2:TRAP_HANDLER: 0
; COMPUTE_PGM_RSRC2:TGID_X_EN: 1
; COMPUTE_PGM_RSRC2:TGID_Y_EN: 0
; COMPUTE_PGM_RSRC2:TGID_Z_EN: 0
; COMPUTE_PGM_RSRC2:TIDIG_COMP_CNT: 0
	.section	.text._ZN7rocprim6detail25device_scan_by_key_kernelILNS0_25lookback_scan_determinismE0ELb1ENS0_26wrapped_scan_by_key_configINS_14default_configEimEEPiN6hipcub22TransformInputIteratorImNS7_6CastOpImEEPmlEESB_mNS7_8EqualityENS7_3SumENS0_19lookback_scan_stateINS_5tupleIJmbEEELb0ELb0EEEmEEvT2_T3_T4_T5_T6_T7_T8_mmmPKNSG_IJT9_bEEE,"axG",@progbits,_ZN7rocprim6detail25device_scan_by_key_kernelILNS0_25lookback_scan_determinismE0ELb1ENS0_26wrapped_scan_by_key_configINS_14default_configEimEEPiN6hipcub22TransformInputIteratorImNS7_6CastOpImEEPmlEESB_mNS7_8EqualityENS7_3SumENS0_19lookback_scan_stateINS_5tupleIJmbEEELb0ELb0EEEmEEvT2_T3_T4_T5_T6_T7_T8_mmmPKNSG_IJT9_bEEE,comdat
	.protected	_ZN7rocprim6detail25device_scan_by_key_kernelILNS0_25lookback_scan_determinismE0ELb1ENS0_26wrapped_scan_by_key_configINS_14default_configEimEEPiN6hipcub22TransformInputIteratorImNS7_6CastOpImEEPmlEESB_mNS7_8EqualityENS7_3SumENS0_19lookback_scan_stateINS_5tupleIJmbEEELb0ELb0EEEmEEvT2_T3_T4_T5_T6_T7_T8_mmmPKNSG_IJT9_bEEE ; -- Begin function _ZN7rocprim6detail25device_scan_by_key_kernelILNS0_25lookback_scan_determinismE0ELb1ENS0_26wrapped_scan_by_key_configINS_14default_configEimEEPiN6hipcub22TransformInputIteratorImNS7_6CastOpImEEPmlEESB_mNS7_8EqualityENS7_3SumENS0_19lookback_scan_stateINS_5tupleIJmbEEELb0ELb0EEEmEEvT2_T3_T4_T5_T6_T7_T8_mmmPKNSG_IJT9_bEEE
	.globl	_ZN7rocprim6detail25device_scan_by_key_kernelILNS0_25lookback_scan_determinismE0ELb1ENS0_26wrapped_scan_by_key_configINS_14default_configEimEEPiN6hipcub22TransformInputIteratorImNS7_6CastOpImEEPmlEESB_mNS7_8EqualityENS7_3SumENS0_19lookback_scan_stateINS_5tupleIJmbEEELb0ELb0EEEmEEvT2_T3_T4_T5_T6_T7_T8_mmmPKNSG_IJT9_bEEE
	.p2align	8
	.type	_ZN7rocprim6detail25device_scan_by_key_kernelILNS0_25lookback_scan_determinismE0ELb1ENS0_26wrapped_scan_by_key_configINS_14default_configEimEEPiN6hipcub22TransformInputIteratorImNS7_6CastOpImEEPmlEESB_mNS7_8EqualityENS7_3SumENS0_19lookback_scan_stateINS_5tupleIJmbEEELb0ELb0EEEmEEvT2_T3_T4_T5_T6_T7_T8_mmmPKNSG_IJT9_bEEE,@function
_ZN7rocprim6detail25device_scan_by_key_kernelILNS0_25lookback_scan_determinismE0ELb1ENS0_26wrapped_scan_by_key_configINS_14default_configEimEEPiN6hipcub22TransformInputIteratorImNS7_6CastOpImEEPmlEESB_mNS7_8EqualityENS7_3SumENS0_19lookback_scan_stateINS_5tupleIJmbEEELb0ELb0EEEmEEvT2_T3_T4_T5_T6_T7_T8_mmmPKNSG_IJT9_bEEE: ; @_ZN7rocprim6detail25device_scan_by_key_kernelILNS0_25lookback_scan_determinismE0ELb1ENS0_26wrapped_scan_by_key_configINS_14default_configEimEEPiN6hipcub22TransformInputIteratorImNS7_6CastOpImEEPmlEESB_mNS7_8EqualityENS7_3SumENS0_19lookback_scan_stateINS_5tupleIJmbEEELb0ELb0EEEmEEvT2_T3_T4_T5_T6_T7_T8_mmmPKNSG_IJT9_bEEE
; %bb.0:
	s_load_dwordx4 s[0:3], s[4:5], 0x0
	s_load_dwordx4 s[44:47], s[4:5], 0x18
	s_load_dwordx8 s[36:43], s[4:5], 0x30
	s_load_dwordx2 s[50:51], s[4:5], 0x60
	s_load_dwordx4 s[8:11], s[4:5], 0x50
	s_mul_i32 s4, s6, 0x3c0
	s_mov_b32 s5, 0
	s_lshl_b64 s[12:13], s[4:5], 2
	s_waitcnt lgkmcnt(0)
	s_add_u32 s54, s0, s12
	s_addc_u32 s55, s1, s13
	s_lshl_b64 s[48:49], s[4:5], 3
	s_add_u32 s52, s2, s48
	s_addc_u32 s53, s3, s49
	s_add_u32 s0, s8, s6
	s_addc_u32 s1, s9, 0
	s_add_u32 s2, s10, -1
	s_addc_u32 s3, s11, -1
	v_mov_b32_e32 v1, s2
	v_mov_b32_e32 v2, s3
	v_cmp_ge_u64_e64 s[0:1], s[0:1], v[1:2]
	s_mov_b64 s[56:57], -1
	s_and_b64 vcc, exec, s[0:1]
	s_mul_i32 s33, s2, 0xfffffc40
	v_lshlrev_b32_e32 v78, 2, v0
	s_cbranch_vccz .LBB111_47
; %bb.1:
	s_load_dword s34, s[54:55], 0x0
	v_mov_b32_e32 v2, s55
	v_add_co_u32_e32 v1, vcc, s54, v78
	s_add_i32 s7, s33, s42
	v_addc_co_u32_e32 v2, vcc, 0, v2, vcc
	v_cmp_gt_u32_e32 vcc, s7, v0
	s_waitcnt lgkmcnt(0)
	v_mov_b32_e32 v3, s34
	s_and_saveexec_b64 s[2:3], vcc
	s_cbranch_execz .LBB111_3
; %bb.2:
	global_load_dword v3, v[1:2], off
.LBB111_3:
	s_or_b64 exec, exec, s[2:3]
	v_or_b32_e32 v4, 64, v0
	v_cmp_gt_u32_e64 s[2:3], s7, v4
	v_mov_b32_e32 v4, s34
	s_and_saveexec_b64 s[4:5], s[2:3]
	s_cbranch_execz .LBB111_5
; %bb.4:
	global_load_dword v4, v[1:2], off offset:256
.LBB111_5:
	s_or_b64 exec, exec, s[4:5]
	v_or_b32_e32 v5, 0x80, v0
	v_cmp_gt_u32_e64 s[30:31], s7, v5
	v_mov_b32_e32 v5, s34
	s_and_saveexec_b64 s[4:5], s[30:31]
	s_cbranch_execz .LBB111_7
; %bb.6:
	global_load_dword v5, v[1:2], off offset:512
.LBB111_7:
	;; [unrolled: 9-line block ×14, first 2 shown]
	s_or_b64 exec, exec, s[34:35]
	v_mad_u32_u24 v1, v0, 56, v78
	s_waitcnt vmcnt(0)
	ds_write2st64_b32 v78, v3, v4 offset1:1
	ds_write2st64_b32 v78, v5, v6 offset0:2 offset1:3
	ds_write2st64_b32 v78, v7, v8 offset0:4 offset1:5
	;; [unrolled: 1-line block ×6, first 2 shown]
	ds_write_b32 v78, v17 offset:3584
	s_waitcnt lgkmcnt(0)
	; wave barrier
	ds_read_b32 v102, v1
	ds_read2_b32 v[69:70], v1 offset0:1 offset1:2
	ds_read2_b32 v[67:68], v1 offset0:3 offset1:4
	;; [unrolled: 1-line block ×7, first 2 shown]
	s_load_dword s43, s[54:55], 0x0
	s_movk_i32 s34, 0xffc8
	v_mad_i32_i24 v33, v0, s34, v1
	v_cmp_ne_u32_e64 s[34:35], 63, v0
	s_waitcnt lgkmcnt(0)
	ds_write_b32 v33, v102 offset:4096
	v_mov_b32_e32 v97, s43
	s_waitcnt lgkmcnt(0)
	; wave barrier
	s_and_saveexec_b64 s[56:57], s[34:35]
; %bb.32:
	ds_read_b32 v97, v33 offset:4100
; %bb.33:
	s_or_b64 exec, exec, s[56:57]
	v_lshlrev_b32_e32 v1, 3, v0
	v_mov_b32_e32 v2, s53
	v_add_co_u32_e64 v3, s[34:35], s52, v1
	v_addc_co_u32_e64 v4, s[34:35], 0, v2, s[34:35]
	s_waitcnt lgkmcnt(0)
	; wave barrier
                                        ; implicit-def: $vgpr1_vgpr2
	s_and_saveexec_b64 s[34:35], vcc
	s_cbranch_execz .LBB111_48
; %bb.34:
	global_load_dwordx2 v[1:2], v[3:4], off
	s_or_b64 exec, exec, s[34:35]
                                        ; implicit-def: $vgpr5_vgpr6
	s_and_saveexec_b64 s[34:35], s[2:3]
	s_cbranch_execnz .LBB111_49
.LBB111_35:
	s_or_b64 exec, exec, s[34:35]
                                        ; implicit-def: $vgpr7_vgpr8
	s_and_saveexec_b64 s[2:3], s[30:31]
	s_cbranch_execz .LBB111_50
.LBB111_36:
	global_load_dwordx2 v[7:8], v[3:4], off offset:1024
	s_or_b64 exec, exec, s[2:3]
                                        ; implicit-def: $vgpr9_vgpr10
	s_and_saveexec_b64 s[2:3], s[8:9]
	s_cbranch_execnz .LBB111_51
.LBB111_37:
	s_or_b64 exec, exec, s[2:3]
                                        ; implicit-def: $vgpr11_vgpr12
	s_and_saveexec_b64 s[2:3], s[12:13]
	s_cbranch_execz .LBB111_52
.LBB111_38:
	global_load_dwordx2 v[11:12], v[3:4], off offset:2048
	s_or_b64 exec, exec, s[2:3]
                                        ; implicit-def: $vgpr13_vgpr14
	s_and_saveexec_b64 s[2:3], s[16:17]
	s_cbranch_execnz .LBB111_53
.LBB111_39:
	s_or_b64 exec, exec, s[2:3]
                                        ; implicit-def: $vgpr15_vgpr16
	s_and_saveexec_b64 s[2:3], s[20:21]
	s_cbranch_execz .LBB111_54
.LBB111_40:
	global_load_dwordx2 v[15:16], v[3:4], off offset:3072
	s_or_b64 exec, exec, s[2:3]
                                        ; implicit-def: $vgpr17_vgpr18
	s_and_saveexec_b64 s[2:3], s[24:25]
	s_cbranch_execnz .LBB111_55
.LBB111_41:
	s_or_b64 exec, exec, s[2:3]
                                        ; implicit-def: $vgpr19_vgpr20
	s_and_saveexec_b64 s[2:3], s[28:29]
	s_cbranch_execz .LBB111_56
.LBB111_42:
	v_add_co_u32_e32 v19, vcc, 0x1000, v3
	v_addc_co_u32_e32 v20, vcc, 0, v4, vcc
	global_load_dwordx2 v[19:20], v[19:20], off
	s_or_b64 exec, exec, s[2:3]
                                        ; implicit-def: $vgpr21_vgpr22
	s_and_saveexec_b64 s[2:3], s[26:27]
	s_cbranch_execnz .LBB111_57
.LBB111_43:
	s_or_b64 exec, exec, s[2:3]
                                        ; implicit-def: $vgpr23_vgpr24
	s_and_saveexec_b64 s[2:3], s[22:23]
	s_cbranch_execz .LBB111_58
.LBB111_44:
	v_add_co_u32_e32 v23, vcc, 0x1000, v3
	v_addc_co_u32_e32 v24, vcc, 0, v4, vcc
	global_load_dwordx2 v[23:24], v[23:24], off offset:1024
	s_or_b64 exec, exec, s[2:3]
                                        ; implicit-def: $vgpr25_vgpr26
	s_and_saveexec_b64 s[2:3], s[18:19]
	s_cbranch_execnz .LBB111_59
.LBB111_45:
	s_or_b64 exec, exec, s[2:3]
                                        ; implicit-def: $vgpr27_vgpr28
	s_and_saveexec_b64 s[2:3], s[14:15]
	s_cbranch_execz .LBB111_60
.LBB111_46:
	v_add_co_u32_e32 v27, vcc, 0x1000, v3
	v_addc_co_u32_e32 v28, vcc, 0, v4, vcc
	global_load_dwordx2 v[27:28], v[27:28], off offset:2048
	s_or_b64 exec, exec, s[2:3]
                                        ; implicit-def: $vgpr29_vgpr30
	s_and_saveexec_b64 s[2:3], s[10:11]
	s_cbranch_execz .LBB111_62
	s_branch .LBB111_61
.LBB111_47:
	s_mov_b64 s[2:3], 0
                                        ; implicit-def: $sgpr34_sgpr35
                                        ; implicit-def: $vgpr29_vgpr30
                                        ; implicit-def: $vgpr85
                                        ; implicit-def: $vgpr39_vgpr40
                                        ; implicit-def: $vgpr86
                                        ; implicit-def: $vgpr49_vgpr50
                                        ; implicit-def: $vgpr88
                                        ; implicit-def: $vgpr55_vgpr56
                                        ; implicit-def: $vgpr89
                                        ; implicit-def: $vgpr53_vgpr54
                                        ; implicit-def: $vgpr90
                                        ; implicit-def: $vgpr51_vgpr52
                                        ; implicit-def: $vgpr91
                                        ; implicit-def: $vgpr47_vgpr48
                                        ; implicit-def: $vgpr92
                                        ; implicit-def: $vgpr45_vgpr46
                                        ; implicit-def: $vgpr93
                                        ; implicit-def: $vgpr43_vgpr44
                                        ; implicit-def: $vgpr94
                                        ; implicit-def: $vgpr41_vgpr42
                                        ; implicit-def: $vgpr95
                                        ; implicit-def: $vgpr37_vgpr38
                                        ; implicit-def: $vgpr96
                                        ; implicit-def: $vgpr35_vgpr36
                                        ; implicit-def: $vgpr98
                                        ; implicit-def: $vgpr33_vgpr34
                                        ; implicit-def: $vgpr99
                                        ; implicit-def: $vgpr31_vgpr32
                                        ; implicit-def: $vgpr101
                                        ; implicit-def: $vgpr11_vgpr12
                                        ; implicit-def: $vgpr72
                                        ; implicit-def: $vgpr1_vgpr2
                                        ; implicit-def: $vgpr71
                                        ; implicit-def: $vgpr5_vgpr6
                                        ; implicit-def: $vgpr73
                                        ; implicit-def: $vgpr7_vgpr8
                                        ; implicit-def: $vgpr74
                                        ; implicit-def: $vgpr9_vgpr10
                                        ; implicit-def: $vgpr75
                                        ; implicit-def: $vgpr13_vgpr14
                                        ; implicit-def: $vgpr76
                                        ; implicit-def: $vgpr15_vgpr16
                                        ; implicit-def: $vgpr77
                                        ; implicit-def: $vgpr17_vgpr18
                                        ; implicit-def: $vgpr79
                                        ; implicit-def: $vgpr19_vgpr20
                                        ; implicit-def: $vgpr80
                                        ; implicit-def: $vgpr21_vgpr22
                                        ; implicit-def: $vgpr81
                                        ; implicit-def: $vgpr23_vgpr24
                                        ; implicit-def: $vgpr82
                                        ; implicit-def: $vgpr25_vgpr26
                                        ; implicit-def: $vgpr84
                                        ; implicit-def: $vgpr27_vgpr28
                                        ; implicit-def: $vgpr87
                                        ; implicit-def: $vgpr3_vgpr4
                                        ; implicit-def: $vgpr83
	s_and_b64 vcc, exec, s[56:57]
	s_cbranch_vccz .LBB111_100
	s_branch .LBB111_95
.LBB111_48:
	s_or_b64 exec, exec, s[34:35]
                                        ; implicit-def: $vgpr5_vgpr6
	s_and_saveexec_b64 s[34:35], s[2:3]
	s_cbranch_execz .LBB111_35
.LBB111_49:
	global_load_dwordx2 v[5:6], v[3:4], off offset:512
	s_or_b64 exec, exec, s[34:35]
                                        ; implicit-def: $vgpr7_vgpr8
	s_and_saveexec_b64 s[2:3], s[30:31]
	s_cbranch_execnz .LBB111_36
.LBB111_50:
	s_or_b64 exec, exec, s[2:3]
                                        ; implicit-def: $vgpr9_vgpr10
	s_and_saveexec_b64 s[2:3], s[8:9]
	s_cbranch_execz .LBB111_37
.LBB111_51:
	global_load_dwordx2 v[9:10], v[3:4], off offset:1536
	s_or_b64 exec, exec, s[2:3]
                                        ; implicit-def: $vgpr11_vgpr12
	s_and_saveexec_b64 s[2:3], s[12:13]
	s_cbranch_execnz .LBB111_38
.LBB111_52:
	s_or_b64 exec, exec, s[2:3]
                                        ; implicit-def: $vgpr13_vgpr14
	s_and_saveexec_b64 s[2:3], s[16:17]
	s_cbranch_execz .LBB111_39
.LBB111_53:
	global_load_dwordx2 v[13:14], v[3:4], off offset:2560
	s_or_b64 exec, exec, s[2:3]
                                        ; implicit-def: $vgpr15_vgpr16
	s_and_saveexec_b64 s[2:3], s[20:21]
	s_cbranch_execnz .LBB111_40
.LBB111_54:
	s_or_b64 exec, exec, s[2:3]
                                        ; implicit-def: $vgpr17_vgpr18
	s_and_saveexec_b64 s[2:3], s[24:25]
	s_cbranch_execz .LBB111_41
.LBB111_55:
	global_load_dwordx2 v[17:18], v[3:4], off offset:3584
	s_or_b64 exec, exec, s[2:3]
                                        ; implicit-def: $vgpr19_vgpr20
	s_and_saveexec_b64 s[2:3], s[28:29]
	s_cbranch_execnz .LBB111_42
.LBB111_56:
	s_or_b64 exec, exec, s[2:3]
                                        ; implicit-def: $vgpr21_vgpr22
	s_and_saveexec_b64 s[2:3], s[26:27]
	s_cbranch_execz .LBB111_43
.LBB111_57:
	v_add_co_u32_e32 v21, vcc, 0x1000, v3
	v_addc_co_u32_e32 v22, vcc, 0, v4, vcc
	global_load_dwordx2 v[21:22], v[21:22], off offset:512
	s_or_b64 exec, exec, s[2:3]
                                        ; implicit-def: $vgpr23_vgpr24
	s_and_saveexec_b64 s[2:3], s[22:23]
	s_cbranch_execnz .LBB111_44
.LBB111_58:
	s_or_b64 exec, exec, s[2:3]
                                        ; implicit-def: $vgpr25_vgpr26
	s_and_saveexec_b64 s[2:3], s[18:19]
	s_cbranch_execz .LBB111_45
.LBB111_59:
	v_add_co_u32_e32 v25, vcc, 0x1000, v3
	v_addc_co_u32_e32 v26, vcc, 0, v4, vcc
	global_load_dwordx2 v[25:26], v[25:26], off offset:1536
	s_or_b64 exec, exec, s[2:3]
                                        ; implicit-def: $vgpr27_vgpr28
	s_and_saveexec_b64 s[2:3], s[14:15]
	s_cbranch_execnz .LBB111_46
.LBB111_60:
	s_or_b64 exec, exec, s[2:3]
                                        ; implicit-def: $vgpr29_vgpr30
	s_and_saveexec_b64 s[2:3], s[10:11]
	s_cbranch_execz .LBB111_62
.LBB111_61:
	v_add_co_u32_e32 v29, vcc, 0x1000, v3
	v_addc_co_u32_e32 v30, vcc, 0, v4, vcc
	global_load_dwordx2 v[29:30], v[29:30], off offset:2560
.LBB111_62:
	s_or_b64 exec, exec, s[2:3]
	v_mul_u32_u24_e32 v100, 15, v0
                                        ; implicit-def: $vgpr31_vgpr32
	s_and_saveexec_b64 s[2:3], s[4:5]
	s_cbranch_execz .LBB111_64
; %bb.63:
	v_add_co_u32_e32 v3, vcc, 0x1000, v3
	v_addc_co_u32_e32 v4, vcc, 0, v4, vcc
	global_load_dwordx2 v[31:32], v[3:4], off offset:3072
.LBB111_64:
	s_or_b64 exec, exec, s[2:3]
	v_lshl_add_u32 v103, v0, 2, v33
	s_waitcnt vmcnt(0)
	ds_write2st64_b64 v103, v[1:2], v[5:6] offset1:1
	ds_write2st64_b64 v103, v[7:8], v[9:10] offset0:2 offset1:3
	ds_write2st64_b64 v103, v[11:12], v[13:14] offset0:4 offset1:5
	;; [unrolled: 1-line block ×6, first 2 shown]
	ds_write_b64 v103, v[31:32] offset:7168
	v_mov_b32_e32 v29, 0
	v_mov_b32_e32 v39, 0
	;; [unrolled: 1-line block ×28, first 2 shown]
	v_cmp_gt_u32_e32 vcc, s7, v100
	s_mov_b64 s[56:57], 0
	v_mov_b32_e32 v85, 0
	v_mov_b32_e32 v30, 0
	s_mov_b64 s[2:3], 0
	v_mov_b32_e32 v40, 0
	v_mov_b32_e32 v86, 0
	;; [unrolled: 1-line block ×54, first 2 shown]
	s_waitcnt lgkmcnt(0)
	; wave barrier
                                        ; implicit-def: $sgpr34_sgpr35
	s_and_saveexec_b64 s[58:59], vcc
	s_cbranch_execz .LBB111_94
; %bb.65:
	s_movk_i32 s2, 0x70
	v_mad_u32_u24 v1, v0, s2, v103
	ds_read_b64 v[1:2], v1
	v_mov_b32_e32 v4, s46
	v_cmp_ne_u32_e32 vcc, v102, v69
	v_mov_b32_e32 v3, s47
	v_mov_b32_e32 v39, 0
	s_waitcnt lgkmcnt(0)
	v_cndmask_b32_e32 v29, v1, v4, vcc
	v_add_u32_e32 v1, 1, v100
	v_cndmask_b32_e32 v30, v2, v3, vcc
	v_cmp_gt_u32_e64 s[2:3], s7, v1
	v_mov_b32_e32 v49, 0
	v_mov_b32_e32 v55, 0
	;; [unrolled: 1-line block ×26, first 2 shown]
	s_mov_b64 s[4:5], 0
	v_mov_b32_e32 v40, 0
	v_mov_b32_e32 v85, 0
	;; [unrolled: 1-line block ×53, first 2 shown]
                                        ; implicit-def: $sgpr34_sgpr35
	s_and_saveexec_b64 s[60:61], s[2:3]
	s_cbranch_execz .LBB111_93
; %bb.66:
	v_mul_u32_u24_e32 v1, 0x70, v0
	v_add_u32_e32 v83, v103, v1
	ds_read2_b64 v[1:4], v83 offset0:1 offset1:2
	v_mov_b32_e32 v6, s46
	v_cmp_ne_u32_e64 s[2:3], v69, v70
	v_mov_b32_e32 v5, s47
	v_mov_b32_e32 v39, 0
	s_waitcnt lgkmcnt(0)
	v_cndmask_b32_e64 v31, v1, v6, s[2:3]
	v_add_u32_e32 v1, 2, v100
	v_cndmask_b32_e64 v32, v2, v5, s[2:3]
	v_cmp_gt_u32_e64 s[4:5], s7, v1
	v_mov_b32_e32 v49, 0
	v_mov_b32_e32 v55, 0
	;; [unrolled: 1-line block ×24, first 2 shown]
	s_mov_b64 s[8:9], 0
	v_mov_b32_e32 v40, 0
	v_mov_b32_e32 v85, 0
	;; [unrolled: 1-line block ×49, first 2 shown]
                                        ; implicit-def: $sgpr34_sgpr35
	s_and_saveexec_b64 s[62:63], s[4:5]
	s_cbranch_execz .LBB111_92
; %bb.67:
	v_mov_b32_e32 v1, s47
	v_cmp_ne_u32_e64 s[4:5], v70, v67
	v_cndmask_b32_e64 v34, v4, v1, s[4:5]
	v_mov_b32_e32 v1, s46
	v_cndmask_b32_e64 v33, v3, v1, s[4:5]
	v_add_u32_e32 v1, 3, v100
	v_cmp_gt_u32_e64 s[8:9], s7, v1
	v_mov_b32_e32 v39, 0
	v_mov_b32_e32 v49, 0
	;; [unrolled: 1-line block ×23, first 2 shown]
	s_mov_b64 s[10:11], 0
	v_mov_b32_e32 v40, 0
	v_mov_b32_e32 v85, 0
	;; [unrolled: 1-line block ×45, first 2 shown]
                                        ; implicit-def: $sgpr34_sgpr35
	s_and_saveexec_b64 s[64:65], s[8:9]
	s_cbranch_execz .LBB111_91
; %bb.68:
	ds_read2_b64 v[1:4], v83 offset0:3 offset1:4
	v_mov_b32_e32 v6, s46
	v_cmp_ne_u32_e64 s[28:29], v67, v68
	v_mov_b32_e32 v5, s47
	v_mov_b32_e32 v39, 0
	s_waitcnt lgkmcnt(0)
	v_cndmask_b32_e64 v35, v1, v6, s[28:29]
	v_add_u32_e32 v1, 4, v100
	v_cndmask_b32_e64 v36, v2, v5, s[28:29]
	v_cmp_gt_u32_e64 s[8:9], s7, v1
	v_mov_b32_e32 v49, 0
	v_mov_b32_e32 v55, 0
	;; [unrolled: 1-line block ×61, first 2 shown]
                                        ; implicit-def: $sgpr34_sgpr35
	s_and_saveexec_b64 s[66:67], s[8:9]
	s_cbranch_execz .LBB111_90
; %bb.69:
	v_mov_b32_e32 v1, s47
	v_cmp_ne_u32_e64 s[8:9], v68, v65
	v_cndmask_b32_e64 v38, v4, v1, s[8:9]
	v_mov_b32_e32 v1, s46
	v_cndmask_b32_e64 v37, v3, v1, s[8:9]
	v_add_u32_e32 v1, 5, v100
	v_cmp_gt_u32_e64 s[10:11], s7, v1
	v_mov_b32_e32 v39, 0
	v_mov_b32_e32 v49, 0
	;; [unrolled: 1-line block ×19, first 2 shown]
	s_mov_b64 s[12:13], 0
	v_mov_b32_e32 v40, 0
	v_mov_b32_e32 v85, 0
	;; [unrolled: 1-line block ×37, first 2 shown]
                                        ; implicit-def: $sgpr34_sgpr35
	s_and_saveexec_b64 s[68:69], s[10:11]
	s_cbranch_execz .LBB111_89
; %bb.70:
	ds_read2_b64 v[1:4], v83 offset0:5 offset1:6
	v_mov_b32_e32 v6, s46
	v_cmp_ne_u32_e64 s[10:11], v65, v66
	v_mov_b32_e32 v5, s47
	v_mov_b32_e32 v39, 0
	s_waitcnt lgkmcnt(0)
	v_cndmask_b32_e64 v41, v1, v6, s[10:11]
	v_add_u32_e32 v1, 6, v100
	v_cndmask_b32_e64 v42, v2, v5, s[10:11]
	v_cmp_gt_u32_e64 s[12:13], s7, v1
	v_mov_b32_e32 v49, 0
	v_mov_b32_e32 v55, 0
	;; [unrolled: 1-line block ×16, first 2 shown]
	s_mov_b64 s[14:15], 0
	v_mov_b32_e32 v40, 0
	v_mov_b32_e32 v85, 0
	;; [unrolled: 1-line block ×33, first 2 shown]
                                        ; implicit-def: $sgpr34_sgpr35
	s_and_saveexec_b64 s[70:71], s[12:13]
	s_cbranch_execz .LBB111_88
; %bb.71:
	v_mov_b32_e32 v1, s47
	v_cmp_ne_u32_e64 s[12:13], v66, v63
	v_cndmask_b32_e64 v44, v4, v1, s[12:13]
	v_mov_b32_e32 v1, s46
	v_cndmask_b32_e64 v43, v3, v1, s[12:13]
	v_add_u32_e32 v1, 7, v100
	v_cmp_gt_u32_e64 s[14:15], s7, v1
	v_mov_b32_e32 v39, 0
	v_mov_b32_e32 v49, 0
	;; [unrolled: 1-line block ×15, first 2 shown]
	s_mov_b64 s[16:17], 0
	v_mov_b32_e32 v40, 0
	v_mov_b32_e32 v85, 0
	;; [unrolled: 1-line block ×29, first 2 shown]
                                        ; implicit-def: $sgpr34_sgpr35
	s_and_saveexec_b64 s[72:73], s[14:15]
	s_cbranch_execz .LBB111_87
; %bb.72:
	ds_read2_b64 v[1:4], v83 offset0:7 offset1:8
	v_mov_b32_e32 v6, s46
	v_cmp_ne_u32_e64 s[14:15], v63, v64
	v_mov_b32_e32 v5, s47
	v_mov_b32_e32 v39, 0
	s_waitcnt lgkmcnt(0)
	v_cndmask_b32_e64 v45, v1, v6, s[14:15]
	v_add_u32_e32 v1, 8, v100
	v_cndmask_b32_e64 v46, v2, v5, s[14:15]
	v_cmp_gt_u32_e64 s[16:17], s7, v1
	v_mov_b32_e32 v49, 0
	v_mov_b32_e32 v55, 0
	;; [unrolled: 1-line block ×12, first 2 shown]
	s_mov_b64 s[18:19], 0
	v_mov_b32_e32 v40, 0
	v_mov_b32_e32 v85, 0
	;; [unrolled: 1-line block ×25, first 2 shown]
                                        ; implicit-def: $sgpr34_sgpr35
	s_and_saveexec_b64 s[74:75], s[16:17]
	s_cbranch_execz .LBB111_86
; %bb.73:
	v_mov_b32_e32 v1, s47
	v_cmp_ne_u32_e64 s[16:17], v64, v61
	v_cndmask_b32_e64 v48, v4, v1, s[16:17]
	v_mov_b32_e32 v1, s46
	v_cndmask_b32_e64 v47, v3, v1, s[16:17]
	v_add_u32_e32 v1, 9, v100
	v_cmp_gt_u32_e64 s[18:19], s7, v1
	v_mov_b32_e32 v39, 0
	v_mov_b32_e32 v49, 0
	;; [unrolled: 1-line block ×11, first 2 shown]
	s_mov_b64 s[20:21], 0
	v_mov_b32_e32 v40, 0
	v_mov_b32_e32 v85, 0
	;; [unrolled: 1-line block ×21, first 2 shown]
                                        ; implicit-def: $sgpr34_sgpr35
	s_and_saveexec_b64 s[76:77], s[18:19]
	s_cbranch_execz .LBB111_85
; %bb.74:
	ds_read2_b64 v[1:4], v83 offset0:9 offset1:10
	v_mov_b32_e32 v6, s46
	v_cmp_ne_u32_e64 s[18:19], v61, v62
	v_mov_b32_e32 v5, s47
	v_mov_b32_e32 v39, 0
	s_waitcnt lgkmcnt(0)
	v_cndmask_b32_e64 v51, v1, v6, s[18:19]
	v_add_u32_e32 v1, 10, v100
	v_cndmask_b32_e64 v52, v2, v5, s[18:19]
	v_cmp_gt_u32_e64 s[20:21], s7, v1
	v_mov_b32_e32 v49, 0
	v_mov_b32_e32 v55, 0
	;; [unrolled: 1-line block ×8, first 2 shown]
	s_mov_b64 s[22:23], 0
	v_mov_b32_e32 v40, 0
	v_mov_b32_e32 v85, 0
	;; [unrolled: 1-line block ×17, first 2 shown]
                                        ; implicit-def: $sgpr34_sgpr35
	s_and_saveexec_b64 s[78:79], s[20:21]
	s_cbranch_execz .LBB111_84
; %bb.75:
	v_mov_b32_e32 v1, s47
	v_cmp_ne_u32_e64 s[20:21], v62, v59
	v_cndmask_b32_e64 v54, v4, v1, s[20:21]
	v_mov_b32_e32 v1, s46
	v_cndmask_b32_e64 v53, v3, v1, s[20:21]
	v_add_u32_e32 v1, 11, v100
	v_cmp_gt_u32_e64 s[22:23], s7, v1
	v_mov_b32_e32 v39, 0
	v_mov_b32_e32 v49, 0
	;; [unrolled: 1-line block ×7, first 2 shown]
	s_mov_b64 s[24:25], 0
	v_mov_b32_e32 v40, 0
	v_mov_b32_e32 v85, 0
	;; [unrolled: 1-line block ×13, first 2 shown]
                                        ; implicit-def: $sgpr34_sgpr35
	s_and_saveexec_b64 s[80:81], s[22:23]
	s_cbranch_execz .LBB111_83
; %bb.76:
	ds_read2_b64 v[1:4], v83 offset0:11 offset1:12
	v_mov_b32_e32 v5, s47
	v_mov_b32_e32 v6, s46
	v_cmp_ne_u32_e64 s[22:23], v59, v60
	v_mov_b32_e32 v39, 0
	s_waitcnt lgkmcnt(0)
	v_cndmask_b32_e64 v56, v2, v5, s[22:23]
	v_cndmask_b32_e64 v55, v1, v6, s[22:23]
	v_add_u32_e32 v1, 12, v100
	v_mov_b32_e32 v49, 0
	v_mov_b32_e32 v11, 0
	;; [unrolled: 1-line block ×3, first 2 shown]
	v_cmp_gt_u32_e64 s[24:25], s7, v1
	s_mov_b64 s[26:27], 0
	v_mov_b32_e32 v40, 0
	v_mov_b32_e32 v85, 0
	;; [unrolled: 1-line block ×7, first 2 shown]
                                        ; implicit-def: $sgpr34_sgpr35
	s_and_saveexec_b64 s[82:83], s[24:25]
	s_cbranch_execz .LBB111_82
; %bb.77:
	v_mov_b32_e32 v1, s47
	v_cmp_ne_u32_e64 s[24:25], v60, v57
	v_cndmask_b32_e64 v50, v4, v1, s[24:25]
	v_mov_b32_e32 v1, s46
	v_cndmask_b32_e64 v49, v3, v1, s[24:25]
	v_add_u32_e32 v1, 13, v100
	v_mov_b32_e32 v39, 0
	v_mov_b32_e32 v11, 0
	v_cmp_gt_u32_e64 s[26:27], s7, v1
	s_mov_b64 s[30:31], 0
	v_mov_b32_e32 v40, 0
	v_mov_b32_e32 v12, 0
	;; [unrolled: 1-line block ×3, first 2 shown]
                                        ; implicit-def: $sgpr34_sgpr35
	s_and_saveexec_b64 s[84:85], s[26:27]
	s_cbranch_execz .LBB111_81
; %bb.78:
	ds_read2_b64 v[1:4], v83 offset0:13 offset1:14
	v_mov_b32_e32 v6, s46
	v_cmp_ne_u32_e64 s[26:27], v57, v58
	v_mov_b32_e32 v5, s47
	v_mov_b32_e32 v11, 0
	s_waitcnt lgkmcnt(0)
	v_cndmask_b32_e64 v39, v1, v6, s[26:27]
	v_add_u32_e32 v1, 14, v100
	v_cndmask_b32_e64 v40, v2, v5, s[26:27]
	v_cmp_gt_u32_e64 s[30:31], s7, v1
	v_mov_b32_e32 v12, 0
	s_mov_b64 s[86:87], 0
                                        ; implicit-def: $sgpr34_sgpr35
	s_and_saveexec_b64 s[88:89], s[30:31]
	s_xor_b64 s[30:31], exec, s[88:89]
; %bb.79:
	v_mov_b32_e32 v1, s47
	v_cmp_ne_u32_e64 s[34:35], v58, v97
	v_cndmask_b32_e64 v12, v4, v1, s[34:35]
	v_mov_b32_e32 v1, s46
	s_mov_b64 s[86:87], exec
	v_cndmask_b32_e64 v11, v3, v1, s[34:35]
; %bb.80:
	s_or_b64 exec, exec, s[30:31]
	v_cndmask_b32_e64 v85, 0, 1, s[26:27]
	s_and_b64 s[30:31], s[86:87], exec
.LBB111_81:
	s_or_b64 exec, exec, s[84:85]
	v_cndmask_b32_e64 v86, 0, 1, s[24:25]
	v_mov_b32_e32 v5, v49
	s_and_b64 s[26:27], s[30:31], exec
	v_mov_b32_e32 v71, v86
	v_mov_b32_e32 v6, v50
.LBB111_82:
	s_or_b64 exec, exec, s[82:83]
	v_cndmask_b32_e64 v88, 0, 1, s[22:23]
	v_mov_b32_e32 v1, v39
	v_mov_b32_e32 v7, v55
	s_and_b64 s[24:25], s[26:27], exec
	v_mov_b32_e32 v72, v85
	v_mov_b32_e32 v2, v40
	;; [unrolled: 1-line block ×4, first 2 shown]
.LBB111_83:
	s_or_b64 exec, exec, s[80:81]
	v_cndmask_b32_e64 v89, 0, 1, s[20:21]
	v_mov_b32_e32 v9, v53
	s_and_b64 s[22:23], s[24:25], exec
	v_mov_b32_e32 v74, v89
	v_mov_b32_e32 v10, v54
.LBB111_84:
	s_or_b64 exec, exec, s[78:79]
	v_cndmask_b32_e64 v90, 0, 1, s[18:19]
	v_mov_b32_e32 v13, v51
	s_and_b64 s[20:21], s[22:23], exec
	v_mov_b32_e32 v75, v90
	v_mov_b32_e32 v14, v52
.LBB111_85:
	s_or_b64 exec, exec, s[76:77]
	v_cndmask_b32_e64 v91, 0, 1, s[16:17]
	v_mov_b32_e32 v15, v47
	s_and_b64 s[18:19], s[20:21], exec
	v_mov_b32_e32 v76, v91
	v_mov_b32_e32 v16, v48
.LBB111_86:
	s_or_b64 exec, exec, s[74:75]
	v_cndmask_b32_e64 v92, 0, 1, s[14:15]
	v_mov_b32_e32 v17, v45
	s_and_b64 s[16:17], s[18:19], exec
	v_mov_b32_e32 v77, v92
	v_mov_b32_e32 v18, v46
.LBB111_87:
	s_or_b64 exec, exec, s[72:73]
	v_cndmask_b32_e64 v93, 0, 1, s[12:13]
	v_mov_b32_e32 v19, v43
	s_and_b64 s[14:15], s[16:17], exec
	v_mov_b32_e32 v79, v93
	v_mov_b32_e32 v20, v44
.LBB111_88:
	s_or_b64 exec, exec, s[70:71]
	v_cndmask_b32_e64 v94, 0, 1, s[10:11]
	v_mov_b32_e32 v21, v41
	s_and_b64 s[12:13], s[14:15], exec
	v_mov_b32_e32 v80, v94
	v_mov_b32_e32 v22, v42
.LBB111_89:
	s_or_b64 exec, exec, s[68:69]
	v_cndmask_b32_e64 v95, 0, 1, s[8:9]
	v_mov_b32_e32 v23, v37
	s_and_b64 s[10:11], s[12:13], exec
	v_mov_b32_e32 v81, v95
	v_mov_b32_e32 v24, v38
.LBB111_90:
	s_or_b64 exec, exec, s[66:67]
	v_cndmask_b32_e64 v96, 0, 1, s[28:29]
	v_mov_b32_e32 v25, v35
	s_and_b64 s[10:11], s[10:11], exec
	v_mov_b32_e32 v82, v96
	v_mov_b32_e32 v26, v36
.LBB111_91:
	s_or_b64 exec, exec, s[64:65]
	v_cndmask_b32_e64 v98, 0, 1, s[4:5]
	v_mov_b32_e32 v27, v33
	s_and_b64 s[8:9], s[10:11], exec
	v_mov_b32_e32 v84, v98
	v_mov_b32_e32 v28, v34
.LBB111_92:
	s_or_b64 exec, exec, s[62:63]
	v_cndmask_b32_e64 v99, 0, 1, s[2:3]
	v_mov_b32_e32 v3, v31
	s_and_b64 s[4:5], s[8:9], exec
	v_mov_b32_e32 v87, v99
	v_mov_b32_e32 v4, v32
.LBB111_93:
	s_or_b64 exec, exec, s[60:61]
	v_cndmask_b32_e64 v101, 0, 1, vcc
	s_and_b64 s[2:3], s[4:5], exec
	v_mov_b32_e32 v83, v101
.LBB111_94:
	s_or_b64 exec, exec, s[58:59]
	s_and_b64 vcc, exec, s[56:57]
	s_cbranch_vccz .LBB111_100
.LBB111_95:
	global_load_dword v2, v78, s[54:55]
	global_load_dword v3, v78, s[54:55] offset:256
	global_load_dword v4, v78, s[54:55] offset:512
	;; [unrolled: 1-line block ×14, first 2 shown]
	v_mad_u32_u24 v17, v0, 56, v78
	s_movk_i32 s2, 0xffc8
	v_mad_i32_i24 v1, v0, s2, v17
	v_cmp_ne_u32_e32 vcc, 63, v0
	s_waitcnt vmcnt(13)
	ds_write2st64_b32 v78, v2, v3 offset1:1
	s_waitcnt vmcnt(11)
	ds_write2st64_b32 v78, v4, v5 offset0:2 offset1:3
	s_waitcnt vmcnt(9)
	ds_write2st64_b32 v78, v6, v7 offset0:4 offset1:5
	;; [unrolled: 2-line block ×6, first 2 shown]
	s_waitcnt vmcnt(0)
	ds_write_b32 v78, v16 offset:3584
	s_waitcnt lgkmcnt(0)
	; wave barrier
	ds_read_b32 v29, v17
	ds_read2_b32 v[41:42], v17 offset0:1 offset1:2
	ds_read2_b32 v[39:40], v17 offset0:3 offset1:4
	;; [unrolled: 1-line block ×3, first 2 shown]
	s_load_dword s2, s[54:55], 0xf00
	ds_read2_b32 v[35:36], v17 offset0:7 offset1:8
	ds_read2_b32 v[33:34], v17 offset0:9 offset1:10
	ds_read2_b32 v[31:32], v17 offset0:11 offset1:12
	ds_read2_b32 v[56:57], v17 offset0:13 offset1:14
	s_waitcnt lgkmcnt(0)
	ds_write_b32 v1, v29 offset:4096
	s_waitcnt lgkmcnt(0)
	; wave barrier
	v_mov_b32_e32 v58, s2
	s_and_saveexec_b64 s[2:3], vcc
; %bb.96:
	ds_read_b32 v58, v1 offset:4100
; %bb.97:
	s_or_b64 exec, exec, s[2:3]
	v_lshlrev_b32_e32 v18, 3, v0
	v_mov_b32_e32 v2, s53
	v_add_co_u32_e32 v19, vcc, s52, v18
	v_addc_co_u32_e32 v20, vcc, 0, v2, vcc
	s_movk_i32 s2, 0x1000
	s_waitcnt lgkmcnt(0)
	; wave barrier
	global_load_dwordx2 v[2:3], v18, s[52:53]
	global_load_dwordx2 v[4:5], v18, s[52:53] offset:512
	global_load_dwordx2 v[6:7], v18, s[52:53] offset:1024
	global_load_dwordx2 v[8:9], v18, s[52:53] offset:1536
	global_load_dwordx2 v[10:11], v18, s[52:53] offset:2048
	global_load_dwordx2 v[12:13], v18, s[52:53] offset:2560
	global_load_dwordx2 v[14:15], v18, s[52:53] offset:3072
	global_load_dwordx2 v[16:17], v18, s[52:53] offset:3584
	v_add_co_u32_e32 v18, vcc, s2, v19
	v_addc_co_u32_e32 v19, vcc, 0, v20, vcc
	global_load_dwordx2 v[20:21], v[18:19], off
	global_load_dwordx2 v[22:23], v[18:19], off offset:512
	global_load_dwordx2 v[24:25], v[18:19], off offset:1024
	;; [unrolled: 1-line block ×6, first 2 shown]
	v_lshl_add_u32 v43, v0, 2, v1
	s_movk_i32 s2, 0x70
	v_mad_u32_u24 v1, v0, s2, v43
	v_cmp_ne_u32_e32 vcc, v29, v41
	v_cmp_eq_u32_e64 s[2:3], v29, v41
	v_mov_b32_e32 v29, s46
	v_mov_b32_e32 v30, s47
	s_waitcnt vmcnt(13)
	ds_write2st64_b64 v43, v[2:3], v[4:5] offset1:1
	s_waitcnt vmcnt(11)
	ds_write2st64_b64 v43, v[6:7], v[8:9] offset0:2 offset1:3
	s_waitcnt vmcnt(9)
	ds_write2st64_b64 v43, v[10:11], v[12:13] offset0:4 offset1:5
	;; [unrolled: 2-line block ×6, first 2 shown]
	s_waitcnt vmcnt(0)
	ds_write_b64 v43, v[48:49] offset:7168
	s_waitcnt lgkmcnt(0)
	; wave barrier
	ds_read2_b64 v[25:28], v1 offset0:1 offset1:2
	ds_read2_b64 v[21:24], v1 offset0:3 offset1:4
	;; [unrolled: 1-line block ×7, first 2 shown]
	s_and_saveexec_b64 s[4:5], s[2:3]
; %bb.98:
	v_mul_u32_u24_e32 v29, 0x70, v0
	v_add_u32_e32 v29, v43, v29
	ds_read_b64 v[29:30], v29
; %bb.99:
	s_or_b64 exec, exec, s[4:5]
	v_cndmask_b32_e64 v101, 0, 1, vcc
	v_cmp_ne_u32_e32 vcc, v41, v42
	v_mov_b32_e32 v59, s47
	v_cmp_ne_u32_e64 s[2:3], v42, v39
	v_cmp_ne_u32_e64 s[4:5], v39, v40
	;; [unrolled: 1-line block ×12, first 2 shown]
	s_waitcnt lgkmcnt(6)
	v_cndmask_b32_e32 v32, v26, v59, vcc
	v_mov_b32_e32 v26, s46
	v_cndmask_b32_e32 v31, v25, v26, vcc
	v_cndmask_b32_e64 v33, v27, v26, s[2:3]
	s_waitcnt lgkmcnt(5)
	v_cndmask_b32_e64 v35, v21, v26, s[4:5]
	v_cndmask_b32_e64 v37, v23, v26, s[8:9]
	s_waitcnt lgkmcnt(4)
	v_cndmask_b32_e64 v41, v17, v26, s[10:11]
	;; [unrolled: 3-line block ×6, first 2 shown]
	v_cmp_ne_u32_e64 s[34:35], v57, v58
	v_cndmask_b32_e64 v99, 0, 1, vcc
	v_cndmask_b32_e64 v98, 0, 1, s[2:3]
	v_cndmask_b32_e64 v96, 0, 1, s[4:5]
	;; [unrolled: 1-line block ×26, first 2 shown]
	v_mov_b32_e32 v1, v39
	v_mov_b32_e32 v5, v49
	;; [unrolled: 1-line block ×13, first 2 shown]
	s_mov_b64 s[2:3], -1
	v_mov_b32_e32 v72, v85
	v_mov_b32_e32 v2, v40
	;; [unrolled: 1-line block ×27, first 2 shown]
.LBB111_100:
	v_mov_b32_e32 v63, 0
	s_and_saveexec_b64 s[4:5], s[2:3]
	s_cbranch_execz .LBB111_102
; %bb.101:
	v_mov_b32_e32 v3, v31
	v_mov_b32_e32 v27, v33
	;; [unrolled: 1-line block ×13, first 2 shown]
	v_cndmask_b32_e64 v63, 0, 1, s[34:35]
	v_mov_b32_e32 v83, v101
	v_mov_b32_e32 v4, v32
	;; [unrolled: 1-line block ×27, first 2 shown]
.LBB111_102:
	s_or_b64 exec, exec, s[4:5]
	v_and_b32_e32 v88, 1, v83
	v_and_b32_e32 v85, 1, v82
	;; [unrolled: 1-line block ×5, first 2 shown]
	s_cmp_lg_u32 s6, 0
	v_or_b32_e32 v86, v84, v87
	v_or_b32_e32 v78, v80, v81
	;; [unrolled: 1-line block ×4, first 2 shown]
	v_cmp_eq_u32_e32 vcc, 1, v88
	v_cmp_eq_u32_e64 s[8:9], 1, v85
	v_cmp_eq_u32_e64 s[4:5], 1, v70
	;; [unrolled: 1-line block ×4, first 2 shown]
	v_cmp_eq_u16_e64 s[28:29], 0, v63
	v_or_b32_e32 v65, v63, v72
	v_mbcnt_lo_u32_b32 v64, -1, 0
	; wave barrier
	s_cbranch_scc0 .LBB111_156
; %bb.103:
	v_mov_b32_e32 v33, 0
	v_cmp_eq_u16_sdwa s[26:27], v87, v33 src0_sel:BYTE_0 src1_sel:DWORD
	v_cndmask_b32_e64 v32, 0, v29, s[26:27]
	v_cndmask_b32_e64 v31, 0, v30, s[26:27]
	v_add_co_u32_e64 v32, s[10:11], v32, v3
	v_cmp_eq_u16_sdwa s[20:21], v84, v33 src0_sel:BYTE_0 src1_sel:DWORD
	v_addc_co_u32_e64 v31, s[10:11], v31, v4, s[10:11]
	v_cndmask_b32_e64 v32, 0, v32, s[20:21]
	v_cndmask_b32_e64 v31, 0, v31, s[20:21]
	v_add_co_u32_e64 v32, s[10:11], v32, v27
	v_cmp_eq_u16_sdwa s[22:23], v82, v33 src0_sel:BYTE_0 src1_sel:DWORD
	v_addc_co_u32_e64 v31, s[10:11], v31, v28, s[10:11]
	v_cndmask_b32_e64 v32, 0, v32, s[22:23]
	v_cndmask_b32_e64 v31, 0, v31, s[22:23]
	v_add_co_u32_e64 v32, s[10:11], v32, v25
	v_cmp_eq_u16_sdwa s[24:25], v81, v33 src0_sel:BYTE_0 src1_sel:DWORD
	v_cmp_ne_u16_sdwa s[12:13], v86, v33 src0_sel:BYTE_0 src1_sel:DWORD
	v_addc_co_u32_e64 v31, s[10:11], v31, v26, s[10:11]
	v_cndmask_b32_e64 v32, 0, v32, s[24:25]
	s_or_b64 s[52:53], s[12:13], s[8:9]
	v_cndmask_b32_e64 v31, 0, v31, s[24:25]
	v_add_co_u32_e64 v32, s[8:9], v32, v23
	v_cmp_eq_u16_sdwa s[14:15], v80, v33 src0_sel:BYTE_0 src1_sel:DWORD
	v_addc_co_u32_e64 v31, s[8:9], v31, v24, s[8:9]
	v_cndmask_b32_e64 v32, 0, v32, s[14:15]
	v_cndmask_b32_e64 v31, 0, v31, s[14:15]
	v_add_co_u32_e64 v32, s[8:9], v32, v21
	v_cmp_eq_u16_sdwa s[16:17], v79, v33 src0_sel:BYTE_0 src1_sel:DWORD
	v_addc_co_u32_e64 v31, s[8:9], v31, v22, s[8:9]
	v_cndmask_b32_e64 v32, 0, v32, s[16:17]
	v_cndmask_b32_e64 v31, 0, v31, s[16:17]
	v_add_co_u32_e64 v32, s[8:9], v32, v19
	v_cmp_eq_u16_sdwa s[18:19], v77, v33 src0_sel:BYTE_0 src1_sel:DWORD
	v_cmp_ne_u16_sdwa s[10:11], v78, v33 src0_sel:BYTE_0 src1_sel:DWORD
	v_addc_co_u32_e64 v31, s[8:9], v31, v20, s[8:9]
	v_cndmask_b32_e64 v32, 0, v32, s[18:19]
	s_or_b64 s[54:55], s[10:11], s[4:5]
	v_cndmask_b32_e64 v31, 0, v31, s[18:19]
	v_add_co_u32_e64 v32, s[4:5], v32, v17
	v_cmp_eq_u16_sdwa s[8:9], v76, v33 src0_sel:BYTE_0 src1_sel:DWORD
	v_addc_co_u32_e64 v31, s[4:5], v31, v18, s[4:5]
	v_cndmask_b32_e64 v32, 0, v32, s[8:9]
	v_cndmask_b32_e64 v31, 0, v31, s[8:9]
	v_add_co_u32_e64 v32, s[4:5], v32, v15
	v_cmp_eq_u16_sdwa s[10:11], v75, v33 src0_sel:BYTE_0 src1_sel:DWORD
	v_addc_co_u32_e64 v31, s[4:5], v31, v16, s[4:5]
	v_cmp_ne_u16_sdwa s[12:13], v69, v33 src0_sel:BYTE_0 src1_sel:DWORD
	v_cndmask_b32_e64 v32, 0, v32, s[10:11]
	v_cndmask_b32_e64 v31, 0, v31, s[10:11]
	v_add_co_u32_e64 v32, s[4:5], v32, v13
	s_or_b64 s[56:57], s[12:13], s[2:3]
	v_cmp_eq_u16_sdwa s[12:13], v74, v33 src0_sel:BYTE_0 src1_sel:DWORD
	v_addc_co_u32_e64 v31, s[4:5], v31, v14, s[4:5]
	v_cndmask_b32_e64 v32, 0, v32, s[12:13]
	v_cndmask_b32_e64 v31, 0, v31, s[12:13]
	v_add_co_u32_e64 v32, s[2:3], v32, v9
	v_addc_co_u32_e64 v31, s[2:3], v31, v10, s[2:3]
	v_cmp_eq_u16_sdwa s[2:3], v73, v33 src0_sel:BYTE_0 src1_sel:DWORD
	v_cndmask_b32_e64 v32, 0, v32, s[2:3]
	v_cndmask_b32_e64 v31, 0, v31, s[2:3]
	v_add_co_u32_e64 v32, s[4:5], v32, v7
	v_addc_co_u32_e64 v31, s[4:5], v31, v8, s[4:5]
	v_cmp_eq_u16_sdwa s[4:5], v71, v33 src0_sel:BYTE_0 src1_sel:DWORD
	v_cmp_ne_u16_sdwa s[58:59], v67, v33 src0_sel:BYTE_0 src1_sel:DWORD
	v_cndmask_b32_e64 v32, 0, v32, s[4:5]
	v_cndmask_b32_e64 v31, 0, v31, s[4:5]
	v_add_co_u32_e64 v32, s[34:35], v32, v5
	s_or_b64 s[58:59], s[58:59], s[30:31]
	v_cmp_eq_u16_sdwa s[30:31], v72, v33 src0_sel:BYTE_0 src1_sel:DWORD
	v_addc_co_u32_e64 v31, s[34:35], v31, v6, s[34:35]
	v_cndmask_b32_e64 v32, 0, v32, s[30:31]
	v_cndmask_b32_e64 v31, 0, v31, s[30:31]
	v_add_co_u32_e64 v32, s[34:35], v32, v1
	v_addc_co_u32_e64 v31, s[34:35], v31, v2, s[34:35]
	v_cndmask_b32_e64 v34, 0, v31, s[28:29]
	v_cndmask_b32_e64 v31, 0, v32, s[28:29]
	v_add_co_u32_e64 v31, s[28:29], v31, v11
	v_addc_co_u32_e64 v32, s[28:29], v34, v12, s[28:29]
	v_cmp_ne_u16_sdwa s[28:29], v65, v33 src0_sel:BYTE_0 src1_sel:DWORD
	s_or_b64 s[28:29], s[28:29], s[58:59]
	s_or_b64 s[28:29], s[28:29], s[56:57]
	;; [unrolled: 1-line block ×4, first 2 shown]
	s_or_b64 s[34:35], s[28:29], vcc
	v_mbcnt_hi_u32_b32 v38, -1, v64
	v_and_b32_e32 v35, 15, v38
	v_cndmask_b32_e64 v34, 0, 1, s[34:35]
	v_cndmask_b32_e64 v33, 0, 1, s[34:35]
	v_mov_b32_dpp v36, v31 row_shr:1 row_mask:0xf bank_mask:0xf
	v_mov_b32_dpp v37, v32 row_shr:1 row_mask:0xf bank_mask:0xf
	;; [unrolled: 1-line block ×3, first 2 shown]
	v_cmp_ne_u32_e32 vcc, 0, v35
	s_and_saveexec_b64 s[28:29], vcc
; %bb.104:
	v_and_b32_e32 v34, 1, v39
	v_cndmask_b32_e64 v36, v36, 0, s[34:35]
	v_or_b32_e32 v33, v34, v33
	v_cndmask_b32_e64 v34, v37, 0, s[34:35]
	v_add_co_u32_e32 v31, vcc, v36, v31
	v_addc_co_u32_e32 v32, vcc, v34, v32, vcc
	v_and_b32_e32 v34, 0xffff, v33
; %bb.105:
	s_or_b64 exec, exec, s[28:29]
	v_mov_b32_dpp v36, v31 row_shr:2 row_mask:0xf bank_mask:0xf
	v_mov_b32_dpp v37, v32 row_shr:2 row_mask:0xf bank_mask:0xf
	v_mov_b32_dpp v39, v34 row_shr:2 row_mask:0xf bank_mask:0xf
	v_cmp_lt_u32_e32 vcc, 1, v35
	s_and_saveexec_b64 s[34:35], vcc
	s_cbranch_execz .LBB111_107
; %bb.106:
	v_and_b32_e32 v34, 1, v33
	v_cmp_eq_u32_e32 vcc, 1, v34
	v_and_b32_e32 v34, 1, v39
	v_cmp_eq_u32_e64 s[28:29], 1, v34
	s_or_b64 s[28:29], vcc, s[28:29]
	v_cmp_eq_u16_e32 vcc, 0, v33
	v_cndmask_b32_e32 v34, 0, v36, vcc
	v_cndmask_b32_e64 v39, 0, 1, s[28:29]
	v_cndmask_b32_e32 v33, 0, v37, vcc
	v_add_co_u32_e32 v31, vcc, v34, v31
	v_addc_co_u32_e32 v32, vcc, v33, v32, vcc
	v_cndmask_b32_e64 v34, 0, 1, s[28:29]
	v_mov_b32_e32 v33, v39
.LBB111_107:
	s_or_b64 exec, exec, s[34:35]
	v_mov_b32_dpp v36, v31 row_shr:4 row_mask:0xf bank_mask:0xf
	v_mov_b32_dpp v37, v32 row_shr:4 row_mask:0xf bank_mask:0xf
	v_mov_b32_dpp v39, v34 row_shr:4 row_mask:0xf bank_mask:0xf
	v_cmp_lt_u32_e32 vcc, 3, v35
	s_and_saveexec_b64 s[34:35], vcc
	s_cbranch_execz .LBB111_109
; %bb.108:
	v_and_b32_e32 v34, 1, v33
	v_cmp_eq_u32_e32 vcc, 1, v34
	v_and_b32_e32 v34, 1, v39
	v_cmp_eq_u32_e64 s[28:29], 1, v34
	s_or_b64 s[28:29], vcc, s[28:29]
	v_cmp_eq_u16_e32 vcc, 0, v33
	v_cndmask_b32_e32 v34, 0, v36, vcc
	v_cndmask_b32_e64 v39, 0, 1, s[28:29]
	v_cndmask_b32_e32 v33, 0, v37, vcc
	v_add_co_u32_e32 v31, vcc, v34, v31
	v_addc_co_u32_e32 v32, vcc, v33, v32, vcc
	v_cndmask_b32_e64 v34, 0, 1, s[28:29]
	v_mov_b32_e32 v33, v39
.LBB111_109:
	;; [unrolled: 22-line block ×3, first 2 shown]
	s_or_b64 exec, exec, s[34:35]
	v_and_b32_e32 v39, 16, v38
	v_mov_b32_dpp v35, v31 row_bcast:15 row_mask:0xf bank_mask:0xf
	v_mov_b32_dpp v36, v32 row_bcast:15 row_mask:0xf bank_mask:0xf
	;; [unrolled: 1-line block ×3, first 2 shown]
	v_cmp_ne_u32_e32 vcc, 0, v39
	s_and_saveexec_b64 s[34:35], vcc
	s_cbranch_execz .LBB111_113
; %bb.112:
	v_and_b32_e32 v34, 1, v33
	v_cmp_eq_u32_e32 vcc, 1, v34
	v_and_b32_e32 v34, 1, v37
	v_cmp_eq_u32_e64 s[28:29], 1, v34
	s_or_b64 s[28:29], vcc, s[28:29]
	v_cmp_eq_u16_e32 vcc, 0, v33
	v_cndmask_b32_e32 v34, 0, v35, vcc
	v_cndmask_b32_e64 v37, 0, 1, s[28:29]
	v_cndmask_b32_e32 v33, 0, v36, vcc
	v_add_co_u32_e32 v31, vcc, v34, v31
	v_addc_co_u32_e32 v32, vcc, v33, v32, vcc
	v_cndmask_b32_e64 v34, 0, 1, s[28:29]
	v_mov_b32_e32 v33, v37
.LBB111_113:
	s_or_b64 exec, exec, s[34:35]
	v_mov_b32_dpp v35, v31 row_bcast:31 row_mask:0xf bank_mask:0xf
	v_mov_b32_dpp v36, v32 row_bcast:31 row_mask:0xf bank_mask:0xf
	;; [unrolled: 1-line block ×3, first 2 shown]
	v_cmp_lt_u32_e32 vcc, 31, v38
	s_and_saveexec_b64 s[34:35], vcc
	s_cbranch_execz .LBB111_115
; %bb.114:
	v_and_b32_e32 v37, 1, v33
	v_and_b32_e32 v34, 1, v34
	v_cmp_eq_u32_e32 vcc, 1, v37
	v_cmp_eq_u32_e64 s[28:29], 1, v34
	s_or_b64 s[28:29], vcc, s[28:29]
	v_cmp_eq_u16_e32 vcc, 0, v33
	v_cndmask_b32_e32 v35, 0, v35, vcc
	v_cndmask_b32_e64 v34, 0, 1, s[28:29]
	v_cndmask_b32_e32 v33, 0, v36, vcc
	v_add_co_u32_e32 v31, vcc, v35, v31
	v_addc_co_u32_e32 v32, vcc, v33, v32, vcc
	v_mov_b32_e32 v33, v34
.LBB111_115:
	s_or_b64 exec, exec, s[34:35]
	v_cmp_eq_u32_e32 vcc, 63, v0
	s_and_saveexec_b64 s[28:29], vcc
	s_cbranch_execz .LBB111_117
; %bb.116:
	v_mov_b32_e32 v34, 0
	ds_write_b64 v34, v[31:32]
	ds_write_b8 v34, v33 offset:8
.LBB111_117:
	s_or_b64 exec, exec, s[28:29]
	v_add_u32_e32 v34, -1, v38
	v_and_b32_e32 v35, 64, v38
	v_cmp_lt_i32_e32 vcc, v34, v35
	v_cndmask_b32_e32 v34, v34, v38, vcc
	v_lshlrev_b32_e32 v34, 2, v34
	ds_bpermute_b32 v41, v34, v31
	v_and_b32_e32 v31, 0xffff, v33
	ds_bpermute_b32 v42, v34, v32
	ds_bpermute_b32 v43, v34, v31
	v_cmp_gt_u32_e32 vcc, 64, v0
	s_waitcnt lgkmcnt(0)
	; wave barrier
	s_and_saveexec_b64 s[52:53], vcc
	s_cbranch_execz .LBB111_161
; %bb.118:
	v_mov_b32_e32 v35, 0
	ds_read_b64 v[31:32], v35
	ds_read_u8 v44, v35 offset:8
	s_mov_b32 s55, 0
	v_cmp_eq_u32_e64 s[28:29], 0, v38
	s_and_saveexec_b64 s[34:35], s[28:29]
	s_cbranch_execz .LBB111_120
; %bb.119:
	s_add_i32 s54, s6, 64
	s_lshl_b64 s[56:57], s[54:55], 4
	s_add_u32 s56, s36, s56
	s_addc_u32 s57, s37, s57
	v_mov_b32_e32 v33, 1
	v_mov_b32_e32 v34, s54
	s_waitcnt lgkmcnt(1)
	global_store_dwordx2 v35, v[31:32], s[56:57]
	s_waitcnt lgkmcnt(0)
	global_store_byte v35, v44, s[56:57] offset:8
	s_waitcnt vmcnt(0)
	buffer_wbinvl1_vol
	global_store_byte v34, v33, s[40:41]
.LBB111_120:
	s_or_b64 exec, exec, s[34:35]
	v_xad_u32 v33, v38, -1, s6
	v_add_u32_e32 v34, 64, v33
	global_load_ubyte v45, v34, s[40:41] glc
	s_waitcnt vmcnt(0)
	v_cmp_eq_u16_e32 vcc, 0, v45
	s_and_saveexec_b64 s[34:35], vcc
	s_cbranch_execz .LBB111_124
; %bb.121:
	v_mov_b32_e32 v37, s41
	v_add_co_u32_e32 v36, vcc, s40, v34
	v_addc_co_u32_e32 v37, vcc, 0, v37, vcc
	s_mov_b64 s[54:55], 0
.LBB111_122:                            ; =>This Inner Loop Header: Depth=1
	global_load_ubyte v45, v[36:37], off glc
	s_waitcnt vmcnt(0)
	v_cmp_ne_u16_e32 vcc, 0, v45
	s_or_b64 s[54:55], vcc, s[54:55]
	s_andn2_b64 exec, exec, s[54:55]
	s_cbranch_execnz .LBB111_122
; %bb.123:
	s_or_b64 exec, exec, s[54:55]
.LBB111_124:
	s_or_b64 exec, exec, s[34:35]
	v_mov_b32_e32 v36, s39
	v_mov_b32_e32 v37, s37
	v_cmp_eq_u16_e32 vcc, 1, v45
	v_cndmask_b32_e32 v36, v36, v37, vcc
	v_mov_b32_e32 v37, s38
	v_mov_b32_e32 v39, s36
	v_lshlrev_b64 v[34:35], 4, v[34:35]
	v_cndmask_b32_e32 v37, v37, v39, vcc
	v_add_co_u32_e32 v34, vcc, v37, v34
	v_addc_co_u32_e32 v35, vcc, v36, v35, vcc
	s_waitcnt lgkmcnt(0)
	buffer_wbinvl1_vol
	global_load_dwordx2 v[39:40], v[34:35], off
	global_load_ubyte v60, v[34:35], off offset:8
	v_and_b32_e32 v37, 63, v38
	v_lshlrev_b64 v[35:36], v38, -1
	v_cmp_ne_u32_e64 s[34:35], 63, v37
	v_cmp_eq_u16_e32 vcc, 2, v45
	v_addc_co_u32_e64 v34, s[34:35], 0, v38, s[34:35]
	v_and_b32_e32 v47, vcc_hi, v36
	v_lshlrev_b32_e32 v46, 2, v34
	v_or_b32_e32 v34, 0x80000000, v47
	v_and_b32_e32 v51, vcc_lo, v35
	v_ffbl_b32_e32 v34, v34
	v_add_u32_e32 v34, 32, v34
	v_ffbl_b32_e32 v47, v51
	v_min_u32_e32 v34, v47, v34
	v_add_u32_e32 v47, 1, v38
	v_cmp_le_u32_e32 vcc, v47, v34
	s_waitcnt vmcnt(1)
	ds_bpermute_b32 v49, v46, v39
	s_waitcnt vmcnt(0)
	v_and_b32_e32 v56, 1, v60
	ds_bpermute_b32 v50, v46, v40
	ds_bpermute_b32 v48, v46, v56
	s_and_saveexec_b64 s[34:35], vcc
	s_cbranch_execz .LBB111_126
; %bb.125:
	v_mov_b32_e32 v51, 0
	v_cmp_eq_u16_sdwa vcc, v60, v51 src0_sel:BYTE_0 src1_sel:DWORD
	s_waitcnt lgkmcnt(2)
	v_cndmask_b32_e32 v49, 0, v49, vcc
	s_waitcnt lgkmcnt(0)
	v_and_b32_e32 v48, 1, v48
	v_cndmask_b32_e32 v50, 0, v50, vcc
	v_add_co_u32_e32 v39, vcc, v49, v39
	v_or_b32_e32 v60, v48, v60
	v_addc_co_u32_e32 v40, vcc, v50, v40, vcc
	v_and_b32_e32 v56, 0xff, v60
.LBB111_126:
	s_or_b64 exec, exec, s[34:35]
	v_cmp_gt_u32_e32 vcc, 62, v37
	s_waitcnt lgkmcnt(0)
	v_cndmask_b32_e64 v48, 0, 2, vcc
	v_add_lshl_u32 v48, v48, v38, 2
	ds_bpermute_b32 v51, v48, v39
	ds_bpermute_b32 v52, v48, v40
	ds_bpermute_b32 v50, v48, v56
	v_add_u32_e32 v49, 2, v38
	v_cmp_le_u32_e32 vcc, v49, v34
	s_and_saveexec_b64 s[54:55], vcc
	s_cbranch_execz .LBB111_128
; %bb.127:
	v_mov_b32_e32 v53, 0
	v_cmp_eq_u16_sdwa vcc, v60, v53 src0_sel:BYTE_0 src1_sel:DWORD
	s_waitcnt lgkmcnt(2)
	v_cndmask_b32_e32 v51, 0, v51, vcc
	s_waitcnt lgkmcnt(1)
	v_cndmask_b32_e32 v52, 0, v52, vcc
	v_add_co_u32_e32 v39, vcc, v51, v39
	v_addc_co_u32_e32 v40, vcc, v52, v40, vcc
	v_and_b32_e32 v51, 1, v60
	s_waitcnt lgkmcnt(0)
	v_and_b32_e32 v50, 1, v50
	v_cmp_eq_u32_e32 vcc, 1, v51
	v_cmp_eq_u32_e64 s[34:35], 1, v50
	s_or_b64 s[34:35], vcc, s[34:35]
	v_cndmask_b32_e64 v60, 0, 1, s[34:35]
	v_cndmask_b32_e64 v56, 0, 1, s[34:35]
.LBB111_128:
	s_or_b64 exec, exec, s[54:55]
	v_cmp_gt_u32_e32 vcc, 60, v37
	s_waitcnt lgkmcnt(0)
	v_cndmask_b32_e64 v50, 0, 4, vcc
	v_add_lshl_u32 v50, v50, v38, 2
	ds_bpermute_b32 v53, v50, v39
	ds_bpermute_b32 v54, v50, v40
	ds_bpermute_b32 v52, v50, v56
	v_add_u32_e32 v51, 4, v38
	v_cmp_le_u32_e32 vcc, v51, v34
	s_and_saveexec_b64 s[54:55], vcc
	s_cbranch_execz .LBB111_130
; %bb.129:
	v_mov_b32_e32 v55, 0
	v_cmp_eq_u16_sdwa vcc, v60, v55 src0_sel:BYTE_0 src1_sel:DWORD
	s_waitcnt lgkmcnt(2)
	v_cndmask_b32_e32 v53, 0, v53, vcc
	s_waitcnt lgkmcnt(1)
	v_cndmask_b32_e32 v54, 0, v54, vcc
	v_add_co_u32_e32 v39, vcc, v53, v39
	v_addc_co_u32_e32 v40, vcc, v54, v40, vcc
	v_and_b32_e32 v53, 1, v60
	s_waitcnt lgkmcnt(0)
	v_and_b32_e32 v52, 1, v52
	v_cmp_eq_u32_e32 vcc, 1, v53
	v_cmp_eq_u32_e64 s[34:35], 1, v52
	s_or_b64 s[34:35], vcc, s[34:35]
	v_cndmask_b32_e64 v60, 0, 1, s[34:35]
	v_cndmask_b32_e64 v56, 0, 1, s[34:35]
.LBB111_130:
	;; [unrolled: 30-line block ×3, first 2 shown]
	s_or_b64 exec, exec, s[54:55]
	v_cmp_gt_u32_e32 vcc, 48, v37
	v_cndmask_b32_e64 v37, 0, 16, vcc
	s_waitcnt lgkmcnt(0)
	v_add_lshl_u32 v54, v37, v38, 2
	ds_bpermute_b32 v57, v54, v39
	ds_bpermute_b32 v58, v54, v40
	;; [unrolled: 1-line block ×3, first 2 shown]
	v_add_u32_e32 v55, 16, v38
	v_cmp_le_u32_e32 vcc, v55, v34
	s_and_saveexec_b64 s[54:55], vcc
	s_cbranch_execz .LBB111_134
; %bb.133:
	v_mov_b32_e32 v56, 0
	v_cmp_eq_u16_sdwa vcc, v60, v56 src0_sel:BYTE_0 src1_sel:DWORD
	s_waitcnt lgkmcnt(2)
	v_cndmask_b32_e32 v57, 0, v57, vcc
	s_waitcnt lgkmcnt(1)
	v_cndmask_b32_e32 v56, 0, v58, vcc
	v_add_co_u32_e32 v39, vcc, v57, v39
	v_addc_co_u32_e32 v40, vcc, v56, v40, vcc
	v_and_b32_e32 v56, 1, v60
	s_waitcnt lgkmcnt(0)
	v_and_b32_e32 v37, 1, v37
	v_cmp_eq_u32_e32 vcc, 1, v56
	v_cmp_eq_u32_e64 s[34:35], 1, v37
	s_or_b64 s[34:35], vcc, s[34:35]
	v_cndmask_b32_e64 v60, 0, 1, s[34:35]
	v_cndmask_b32_e64 v56, 0, 1, s[34:35]
.LBB111_134:
	s_or_b64 exec, exec, s[54:55]
	s_waitcnt lgkmcnt(0)
	v_mov_b32_e32 v37, 0x80
	v_lshl_or_b32 v57, v38, 2, v37
	ds_bpermute_b32 v59, v57, v39
	ds_bpermute_b32 v61, v57, v40
	;; [unrolled: 1-line block ×3, first 2 shown]
	v_add_u32_e32 v58, 32, v38
	v_cmp_le_u32_e32 vcc, v58, v34
	s_and_saveexec_b64 s[54:55], vcc
	s_cbranch_execz .LBB111_136
; %bb.135:
	v_mov_b32_e32 v34, 0
	v_cmp_eq_u16_sdwa vcc, v60, v34 src0_sel:BYTE_0 src1_sel:DWORD
	s_waitcnt lgkmcnt(2)
	v_cndmask_b32_e32 v38, 0, v59, vcc
	s_waitcnt lgkmcnt(1)
	v_cndmask_b32_e32 v34, 0, v61, vcc
	v_add_co_u32_e32 v39, vcc, v38, v39
	v_addc_co_u32_e32 v40, vcc, v34, v40, vcc
	v_and_b32_e32 v34, 1, v60
	v_cmp_eq_u32_e32 vcc, 1, v34
	s_waitcnt lgkmcnt(0)
	v_and_b32_e32 v34, 1, v37
	v_cmp_eq_u32_e64 s[34:35], 1, v34
	s_or_b64 s[34:35], vcc, s[34:35]
	v_cndmask_b32_e64 v60, 0, 1, s[34:35]
.LBB111_136:
	s_or_b64 exec, exec, s[54:55]
	v_mov_b32_e32 v34, 0
	s_waitcnt lgkmcnt(2)
	v_mov_b32_e32 v59, 2
	s_branch .LBB111_139
.LBB111_137:                            ;   in Loop: Header=BB111_139 Depth=1
	s_or_b64 exec, exec, s[56:57]
	v_cmp_eq_u16_sdwa vcc, v56, v34 src0_sel:BYTE_0 src1_sel:DWORD
	v_cndmask_b32_e32 v39, 0, v39, vcc
	v_cndmask_b32_e32 v40, 0, v40, vcc
	v_add_co_u32_e32 v39, vcc, v39, v37
	v_addc_co_u32_e32 v40, vcc, v40, v38, vcc
	v_and_b32_e32 v60, 1, v56
	v_cmp_eq_u32_e32 vcc, 1, v60
	s_or_b64 s[34:35], vcc, s[54:55]
	v_subrev_u32_e32 v33, 64, v33
	v_cndmask_b32_e64 v60, 0, 1, s[34:35]
	s_mov_b64 s[34:35], 0
.LBB111_138:                            ;   in Loop: Header=BB111_139 Depth=1
	s_and_b64 vcc, exec, s[34:35]
	s_cbranch_vccnz .LBB111_157
.LBB111_139:                            ; =>This Loop Header: Depth=1
                                        ;     Child Loop BB111_142 Depth 2
	s_waitcnt lgkmcnt(0)
	v_mov_b32_e32 v37, v39
	v_cmp_ne_u16_sdwa s[34:35], v45, v59 src0_sel:BYTE_0 src1_sel:DWORD
	v_mov_b32_e32 v56, v60
	v_mov_b32_e32 v38, v40
	s_cmp_lg_u64 s[34:35], exec
	s_mov_b64 s[34:35], -1
                                        ; implicit-def: $vgpr60
                                        ; implicit-def: $vgpr39_vgpr40
                                        ; implicit-def: $vgpr45
	s_cbranch_scc1 .LBB111_138
; %bb.140:                              ;   in Loop: Header=BB111_139 Depth=1
	global_load_ubyte v45, v33, s[40:41] glc
	s_waitcnt vmcnt(0)
	v_cmp_eq_u16_e32 vcc, 0, v45
	s_and_saveexec_b64 s[34:35], vcc
	s_cbranch_execz .LBB111_144
; %bb.141:                              ;   in Loop: Header=BB111_139 Depth=1
	v_mov_b32_e32 v40, s41
	v_add_co_u32_e32 v39, vcc, s40, v33
	v_addc_co_u32_e32 v40, vcc, 0, v40, vcc
	s_mov_b64 s[54:55], 0
.LBB111_142:                            ;   Parent Loop BB111_139 Depth=1
                                        ; =>  This Inner Loop Header: Depth=2
	global_load_ubyte v45, v[39:40], off glc
	s_waitcnt vmcnt(0)
	v_cmp_ne_u16_e32 vcc, 0, v45
	s_or_b64 s[54:55], vcc, s[54:55]
	s_andn2_b64 exec, exec, s[54:55]
	s_cbranch_execnz .LBB111_142
; %bb.143:                              ;   in Loop: Header=BB111_139 Depth=1
	s_or_b64 exec, exec, s[54:55]
.LBB111_144:                            ;   in Loop: Header=BB111_139 Depth=1
	s_or_b64 exec, exec, s[34:35]
	v_mov_b32_e32 v39, s39
	v_mov_b32_e32 v40, s37
	v_cmp_eq_u16_e32 vcc, 1, v45
	v_cndmask_b32_e32 v61, v39, v40, vcc
	v_mov_b32_e32 v39, s38
	v_mov_b32_e32 v40, s36
	v_cndmask_b32_e32 v60, v39, v40, vcc
	v_lshlrev_b64 v[39:40], 4, v[33:34]
	buffer_wbinvl1_vol
	v_add_co_u32_e32 v60, vcc, v60, v39
	v_addc_co_u32_e32 v61, vcc, v61, v40, vcc
	global_load_dwordx2 v[39:40], v[60:61], off
	s_nop 0
	global_load_ubyte v60, v[60:61], off offset:8
	v_cmp_eq_u16_e32 vcc, 2, v45
	v_and_b32_e32 v61, vcc_hi, v36
	v_or_b32_e32 v61, 0x80000000, v61
	v_and_b32_e32 v92, vcc_lo, v35
	v_ffbl_b32_e32 v61, v61
	v_add_u32_e32 v61, 32, v61
	v_ffbl_b32_e32 v92, v92
	v_min_u32_e32 v61, v92, v61
	v_cmp_le_u32_e32 vcc, v47, v61
	s_waitcnt vmcnt(1)
	ds_bpermute_b32 v90, v46, v39
	s_waitcnt vmcnt(0)
	v_and_b32_e32 v62, 1, v60
	ds_bpermute_b32 v91, v46, v40
	ds_bpermute_b32 v89, v46, v62
	v_cmp_eq_u32_e64 s[54:55], 1, v62
	s_and_saveexec_b64 s[34:35], vcc
	s_cbranch_execz .LBB111_146
; %bb.145:                              ;   in Loop: Header=BB111_139 Depth=1
	v_cmp_eq_u16_sdwa vcc, v60, v34 src0_sel:BYTE_0 src1_sel:DWORD
	s_waitcnt lgkmcnt(2)
	v_cndmask_b32_e32 v90, 0, v90, vcc
	s_waitcnt lgkmcnt(1)
	v_cndmask_b32_e32 v62, 0, v91, vcc
	v_add_co_u32_e32 v39, vcc, v90, v39
	v_addc_co_u32_e32 v40, vcc, v62, v40, vcc
	s_waitcnt lgkmcnt(0)
	v_and_b32_e32 v62, 1, v89
	v_or_b32_e32 v60, v62, v60
	v_and_b32_e32 v89, 1, v60
	v_cmp_eq_u32_e32 vcc, 1, v89
	s_andn2_b64 s[54:55], s[54:55], exec
	s_and_b64 s[56:57], vcc, exec
	v_and_b32_e32 v62, 0xff, v60
	s_or_b64 s[54:55], s[54:55], s[56:57]
.LBB111_146:                            ;   in Loop: Header=BB111_139 Depth=1
	s_or_b64 exec, exec, s[34:35]
	s_waitcnt lgkmcnt(2)
	ds_bpermute_b32 v90, v48, v39
	s_waitcnt lgkmcnt(2)
	ds_bpermute_b32 v91, v48, v40
	s_waitcnt lgkmcnt(2)
	ds_bpermute_b32 v89, v48, v62
	v_cmp_le_u32_e32 vcc, v49, v61
	s_and_saveexec_b64 s[56:57], vcc
	s_cbranch_execz .LBB111_148
; %bb.147:                              ;   in Loop: Header=BB111_139 Depth=1
	v_cmp_eq_u16_sdwa vcc, v60, v34 src0_sel:BYTE_0 src1_sel:DWORD
	s_waitcnt lgkmcnt(2)
	v_cndmask_b32_e32 v90, 0, v90, vcc
	s_waitcnt lgkmcnt(1)
	v_cndmask_b32_e32 v62, 0, v91, vcc
	v_add_co_u32_e32 v39, vcc, v90, v39
	v_addc_co_u32_e32 v40, vcc, v62, v40, vcc
	v_and_b32_e32 v60, 1, v60
	v_cmp_eq_u32_e32 vcc, 1, v60
	s_waitcnt lgkmcnt(0)
	v_and_b32_e32 v60, 1, v89
	v_cmp_eq_u32_e64 s[34:35], 1, v60
	s_or_b64 s[34:35], vcc, s[34:35]
	v_cndmask_b32_e64 v60, 0, 1, s[34:35]
	v_cndmask_b32_e64 v62, 0, 1, s[34:35]
	s_andn2_b64 s[54:55], s[54:55], exec
	s_and_b64 s[34:35], s[34:35], exec
	s_or_b64 s[54:55], s[54:55], s[34:35]
.LBB111_148:                            ;   in Loop: Header=BB111_139 Depth=1
	s_or_b64 exec, exec, s[56:57]
	s_waitcnt lgkmcnt(2)
	ds_bpermute_b32 v90, v50, v39
	s_waitcnt lgkmcnt(2)
	ds_bpermute_b32 v91, v50, v40
	s_waitcnt lgkmcnt(2)
	ds_bpermute_b32 v89, v50, v62
	v_cmp_le_u32_e32 vcc, v51, v61
	s_and_saveexec_b64 s[56:57], vcc
	s_cbranch_execz .LBB111_150
; %bb.149:                              ;   in Loop: Header=BB111_139 Depth=1
	v_cmp_eq_u16_sdwa vcc, v60, v34 src0_sel:BYTE_0 src1_sel:DWORD
	s_waitcnt lgkmcnt(2)
	v_cndmask_b32_e32 v90, 0, v90, vcc
	s_waitcnt lgkmcnt(1)
	v_cndmask_b32_e32 v62, 0, v91, vcc
	v_add_co_u32_e32 v39, vcc, v90, v39
	v_addc_co_u32_e32 v40, vcc, v62, v40, vcc
	v_and_b32_e32 v60, 1, v60
	v_cmp_eq_u32_e32 vcc, 1, v60
	s_waitcnt lgkmcnt(0)
	v_and_b32_e32 v60, 1, v89
	v_cmp_eq_u32_e64 s[34:35], 1, v60
	s_or_b64 s[34:35], vcc, s[34:35]
	v_cndmask_b32_e64 v60, 0, 1, s[34:35]
	v_cndmask_b32_e64 v62, 0, 1, s[34:35]
	s_andn2_b64 s[54:55], s[54:55], exec
	s_and_b64 s[34:35], s[34:35], exec
	s_or_b64 s[54:55], s[54:55], s[34:35]
.LBB111_150:                            ;   in Loop: Header=BB111_139 Depth=1
	;; [unrolled: 30-line block ×4, first 2 shown]
	s_or_b64 exec, exec, s[56:57]
	s_waitcnt lgkmcnt(0)
	ds_bpermute_b32 v89, v57, v39
	ds_bpermute_b32 v90, v57, v40
	;; [unrolled: 1-line block ×3, first 2 shown]
	v_cmp_le_u32_e32 vcc, v58, v61
	s_and_saveexec_b64 s[56:57], vcc
	s_cbranch_execz .LBB111_137
; %bb.155:                              ;   in Loop: Header=BB111_139 Depth=1
	v_cmp_eq_u16_sdwa vcc, v60, v34 src0_sel:BYTE_0 src1_sel:DWORD
	s_waitcnt lgkmcnt(2)
	v_cndmask_b32_e32 v89, 0, v89, vcc
	s_waitcnt lgkmcnt(1)
	v_cndmask_b32_e32 v61, 0, v90, vcc
	v_add_co_u32_e32 v39, vcc, v89, v39
	v_addc_co_u32_e32 v40, vcc, v61, v40, vcc
	v_and_b32_e32 v60, 1, v60
	v_cmp_eq_u32_e32 vcc, 1, v60
	s_waitcnt lgkmcnt(0)
	v_and_b32_e32 v60, 1, v62
	v_cmp_eq_u32_e64 s[34:35], 1, v60
	s_or_b64 s[34:35], vcc, s[34:35]
	s_andn2_b64 s[54:55], s[54:55], exec
	s_and_b64 s[34:35], s[34:35], exec
	s_or_b64 s[54:55], s[54:55], s[34:35]
	s_branch .LBB111_137
.LBB111_156:
                                        ; implicit-def: $vgpr31_vgpr32
                                        ; implicit-def: $vgpr61_vgpr62
                                        ; implicit-def: $vgpr57_vgpr58
                                        ; implicit-def: $vgpr53_vgpr54
                                        ; implicit-def: $vgpr49_vgpr50
                                        ; implicit-def: $vgpr45_vgpr46
                                        ; implicit-def: $vgpr41_vgpr42
                                        ; implicit-def: $vgpr37_vgpr38
                                        ; implicit-def: $vgpr55_vgpr56
                                        ; implicit-def: $vgpr51_vgpr52
                                        ; implicit-def: $vgpr47_vgpr48
                                        ; implicit-def: $vgpr43_vgpr44
                                        ; implicit-def: $vgpr39_vgpr40
                                        ; implicit-def: $vgpr35_vgpr36
                                        ; implicit-def: $vgpr33_vgpr34
	s_cbranch_execnz .LBB111_162
	s_branch .LBB111_181
.LBB111_157:
	s_and_saveexec_b64 s[34:35], s[28:29]
	s_cbranch_execz .LBB111_159
; %bb.158:
	v_mov_b32_e32 v33, 0
	s_mov_b32 s7, 0
	v_cmp_eq_u32_sdwa vcc, v44, v33 src0_sel:BYTE_0 src1_sel:DWORD
	s_add_i32 s6, s6, 64
	v_cndmask_b32_e32 v35, 0, v37, vcc
	s_lshl_b64 s[28:29], s[6:7], 4
	v_cndmask_b32_e32 v34, 0, v38, vcc
	v_add_co_u32_e32 v31, vcc, v35, v31
	s_add_u32 s28, s38, s28
	v_addc_co_u32_e32 v32, vcc, v34, v32, vcc
	v_or_b32_e32 v34, v44, v56
	s_addc_u32 s29, s39, s29
	v_and_b32_e32 v34, 1, v34
	global_store_dwordx2 v33, v[31:32], s[28:29]
	global_store_byte v33, v34, s[28:29] offset:8
	v_mov_b32_e32 v31, 2
	v_mov_b32_e32 v32, s6
	s_waitcnt vmcnt(0) lgkmcnt(0)
	buffer_wbinvl1_vol
	global_store_byte v32, v31, s[40:41]
.LBB111_159:
	s_or_b64 exec, exec, s[34:35]
	v_cmp_eq_u32_e32 vcc, 0, v0
	s_and_b64 exec, exec, vcc
	s_cbranch_execz .LBB111_161
; %bb.160:
	v_mov_b32_e32 v31, 0
	ds_write_b64 v31, v[37:38]
	ds_write_b8 v31, v56 offset:8
.LBB111_161:
	s_or_b64 exec, exec, s[52:53]
	v_mov_b32_e32 v33, 0
	s_waitcnt lgkmcnt(0)
	; wave barrier
	ds_read_b64 v[31:32], v33
	v_cmp_eq_u32_sdwa vcc, v43, v33 src0_sel:BYTE_0 src1_sel:DWORD
	s_waitcnt lgkmcnt(0)
	v_cndmask_b32_e32 v35, 0, v31, vcc
	v_cndmask_b32_e32 v34, 0, v32, vcc
	v_add_co_u32_e32 v35, vcc, v41, v35
	v_addc_co_u32_e32 v34, vcc, v42, v34, vcc
	v_cmp_eq_u32_e32 vcc, 0, v0
	v_cndmask_b32_e32 v32, v34, v32, vcc
	v_cndmask_b32_e32 v31, v35, v31, vcc
	v_cmp_eq_u16_sdwa vcc, v83, v33 src0_sel:BYTE_0 src1_sel:DWORD
	v_cndmask_b32_e32 v33, 0, v31, vcc
	v_cndmask_b32_e32 v34, 0, v32, vcc
	v_add_co_u32_e32 v33, vcc, v33, v29
	v_addc_co_u32_e32 v34, vcc, v34, v30, vcc
	v_cndmask_b32_e64 v35, 0, v33, s[26:27]
	v_cndmask_b32_e64 v36, 0, v34, s[26:27]
	v_add_co_u32_e32 v35, vcc, v35, v3
	v_addc_co_u32_e32 v36, vcc, v36, v4, vcc
	v_cndmask_b32_e64 v37, 0, v35, s[20:21]
	v_cndmask_b32_e64 v38, 0, v36, s[20:21]
	;; [unrolled: 4-line block ×13, first 2 shown]
	s_branch .LBB111_181
.LBB111_162:
	v_mov_b32_e32 v60, s47
	s_cmp_eq_u64 s[50:51], 0
	v_mov_b32_e32 v59, s46
	s_cbranch_scc1 .LBB111_164
; %bb.163:
	v_mov_b32_e32 v31, 0
	global_load_dwordx2 v[59:60], v31, s[50:51]
.LBB111_164:
	v_mov_b32_e32 v31, 0
	v_cmp_eq_u16_sdwa s[16:17], v87, v31 src0_sel:BYTE_0 src1_sel:DWORD
	v_cndmask_b32_e64 v33, 0, v29, s[16:17]
	v_cndmask_b32_e64 v32, 0, v30, s[16:17]
	v_add_co_u32_e32 v33, vcc, v33, v3
	v_addc_co_u32_e32 v32, vcc, v32, v4, vcc
	v_cmp_eq_u16_sdwa vcc, v84, v31 src0_sel:BYTE_0 src1_sel:DWORD
	v_cndmask_b32_e32 v33, 0, v33, vcc
	v_cndmask_b32_e32 v32, 0, v32, vcc
	v_add_co_u32_e64 v33, s[2:3], v33, v27
	v_addc_co_u32_e64 v32, s[2:3], v32, v28, s[2:3]
	v_cmp_eq_u16_sdwa s[2:3], v82, v31 src0_sel:BYTE_0 src1_sel:DWORD
	v_cndmask_b32_e64 v33, 0, v33, s[2:3]
	v_cndmask_b32_e64 v32, 0, v32, s[2:3]
	v_add_co_u32_e64 v33, s[4:5], v33, v25
	v_addc_co_u32_e64 v32, s[4:5], v32, v26, s[4:5]
	v_cmp_eq_u16_sdwa s[18:19], v81, v31 src0_sel:BYTE_0 src1_sel:DWORD
	v_cmp_ne_u16_sdwa s[6:7], v86, v31 src0_sel:BYTE_0 src1_sel:DWORD
	v_cmp_eq_u32_e64 s[4:5], 1, v85
	v_cndmask_b32_e64 v33, 0, v33, s[18:19]
	s_or_b64 s[30:31], s[6:7], s[4:5]
	v_cndmask_b32_e64 v32, 0, v32, s[18:19]
	v_add_co_u32_e64 v33, s[4:5], v33, v23
	v_addc_co_u32_e64 v32, s[4:5], v32, v24, s[4:5]
	v_cmp_eq_u16_sdwa s[4:5], v80, v31 src0_sel:BYTE_0 src1_sel:DWORD
	v_cndmask_b32_e64 v33, 0, v33, s[4:5]
	v_cndmask_b32_e64 v32, 0, v32, s[4:5]
	v_add_co_u32_e64 v33, s[6:7], v33, v21
	v_addc_co_u32_e64 v32, s[6:7], v32, v22, s[6:7]
	v_cmp_eq_u16_sdwa s[6:7], v79, v31 src0_sel:BYTE_0 src1_sel:DWORD
	v_cndmask_b32_e64 v33, 0, v33, s[6:7]
	v_cndmask_b32_e64 v32, 0, v32, s[6:7]
	v_add_co_u32_e64 v33, s[8:9], v33, v19
	v_addc_co_u32_e64 v32, s[8:9], v32, v20, s[8:9]
	v_cmp_eq_u16_sdwa s[20:21], v77, v31 src0_sel:BYTE_0 src1_sel:DWORD
	v_cmp_ne_u16_sdwa s[10:11], v78, v31 src0_sel:BYTE_0 src1_sel:DWORD
	v_cmp_eq_u32_e64 s[8:9], 1, v70
	v_cndmask_b32_e64 v33, 0, v33, s[20:21]
	s_or_b64 s[34:35], s[10:11], s[8:9]
	v_cndmask_b32_e64 v32, 0, v32, s[20:21]
	v_add_co_u32_e64 v33, s[8:9], v33, v17
	v_addc_co_u32_e64 v32, s[8:9], v32, v18, s[8:9]
	v_cmp_eq_u16_sdwa s[8:9], v76, v31 src0_sel:BYTE_0 src1_sel:DWORD
	v_cndmask_b32_e64 v33, 0, v33, s[8:9]
	v_cndmask_b32_e64 v32, 0, v32, s[8:9]
	;; [unrolled: 18-line block ×3, first 2 shown]
	v_add_co_u32_e64 v33, s[14:15], v33, v7
	v_addc_co_u32_e64 v32, s[14:15], v32, v8, s[14:15]
	v_cmp_eq_u16_sdwa s[14:15], v71, v31 src0_sel:BYTE_0 src1_sel:DWORD
	v_cndmask_b32_e64 v33, 0, v33, s[14:15]
	v_cndmask_b32_e64 v32, 0, v32, s[14:15]
	v_add_co_u32_e64 v33, s[24:25], v33, v5
	v_addc_co_u32_e64 v32, s[24:25], v32, v6, s[24:25]
	v_cmp_ne_u16_sdwa s[28:29], v67, v31 src0_sel:BYTE_0 src1_sel:DWORD
	v_cmp_eq_u32_e64 s[24:25], 1, v66
	s_or_b64 s[46:47], s[28:29], s[24:25]
	v_cmp_eq_u16_sdwa s[24:25], v72, v31 src0_sel:BYTE_0 src1_sel:DWORD
	v_cndmask_b32_e64 v33, 0, v33, s[24:25]
	v_cndmask_b32_e64 v32, 0, v32, s[24:25]
	v_add_co_u32_e64 v33, s[28:29], v33, v1
	v_addc_co_u32_e64 v32, s[28:29], v32, v2, s[28:29]
	v_cmp_eq_u16_e64 s[28:29], 0, v63
	v_cndmask_b32_e64 v33, 0, v33, s[28:29]
	v_cndmask_b32_e64 v32, 0, v32, s[28:29]
	v_add_co_u32_e64 v11, s[28:29], v33, v11
	v_addc_co_u32_e64 v12, s[28:29], v32, v12, s[28:29]
	v_cmp_ne_u16_sdwa s[28:29], v65, v31 src0_sel:BYTE_0 src1_sel:DWORD
	s_or_b64 s[28:29], s[28:29], s[46:47]
	s_or_b64 s[28:29], s[28:29], s[36:37]
	;; [unrolled: 1-line block ×3, first 2 shown]
	v_cmp_eq_u32_e64 s[26:27], 1, v88
	s_or_b64 s[28:29], s[28:29], s[30:31]
	s_or_b64 s[28:29], s[28:29], s[26:27]
	v_mbcnt_hi_u32_b32 v31, -1, v64
	v_and_b32_e32 v34, 15, v31
	v_cndmask_b32_e64 v33, 0, 1, s[28:29]
	v_cndmask_b32_e64 v32, 0, 1, s[28:29]
	v_mov_b32_dpp v35, v11 row_shr:1 row_mask:0xf bank_mask:0xf
	v_mov_b32_dpp v36, v12 row_shr:1 row_mask:0xf bank_mask:0xf
	;; [unrolled: 1-line block ×3, first 2 shown]
	v_cmp_ne_u32_e64 s[26:27], 0, v34
	s_and_saveexec_b64 s[30:31], s[26:27]
; %bb.165:
	v_and_b32_e32 v33, 1, v37
	v_cndmask_b32_e64 v35, v35, 0, s[28:29]
	v_or_b32_e32 v32, v33, v32
	v_cndmask_b32_e64 v33, v36, 0, s[28:29]
	v_add_co_u32_e64 v11, s[26:27], v35, v11
	v_addc_co_u32_e64 v12, s[26:27], v33, v12, s[26:27]
	v_and_b32_e32 v33, 0xffff, v32
; %bb.166:
	s_or_b64 exec, exec, s[30:31]
	v_mov_b32_dpp v35, v11 row_shr:2 row_mask:0xf bank_mask:0xf
	v_mov_b32_dpp v36, v12 row_shr:2 row_mask:0xf bank_mask:0xf
	v_mov_b32_dpp v37, v33 row_shr:2 row_mask:0xf bank_mask:0xf
	v_cmp_lt_u32_e64 s[26:27], 1, v34
	s_and_saveexec_b64 s[30:31], s[26:27]
	s_cbranch_execz .LBB111_168
; %bb.167:
	v_and_b32_e32 v33, 1, v32
	v_cmp_eq_u32_e64 s[26:27], 1, v33
	v_and_b32_e32 v33, 1, v37
	v_cmp_eq_u32_e64 s[28:29], 1, v33
	s_or_b64 s[28:29], s[26:27], s[28:29]
	v_cmp_eq_u16_e64 s[26:27], 0, v32
	v_cndmask_b32_e64 v33, 0, v35, s[26:27]
	v_cndmask_b32_e64 v37, 0, 1, s[28:29]
	v_cndmask_b32_e64 v32, 0, v36, s[26:27]
	v_add_co_u32_e64 v11, s[26:27], v33, v11
	v_addc_co_u32_e64 v12, s[26:27], v32, v12, s[26:27]
	v_cndmask_b32_e64 v33, 0, 1, s[28:29]
	v_mov_b32_e32 v32, v37
.LBB111_168:
	s_or_b64 exec, exec, s[30:31]
	v_mov_b32_dpp v35, v11 row_shr:4 row_mask:0xf bank_mask:0xf
	v_mov_b32_dpp v36, v12 row_shr:4 row_mask:0xf bank_mask:0xf
	v_mov_b32_dpp v37, v33 row_shr:4 row_mask:0xf bank_mask:0xf
	v_cmp_lt_u32_e64 s[26:27], 3, v34
	s_and_saveexec_b64 s[30:31], s[26:27]
	s_cbranch_execz .LBB111_170
; %bb.169:
	v_and_b32_e32 v33, 1, v32
	v_cmp_eq_u32_e64 s[26:27], 1, v33
	v_and_b32_e32 v33, 1, v37
	v_cmp_eq_u32_e64 s[28:29], 1, v33
	s_or_b64 s[28:29], s[26:27], s[28:29]
	v_cmp_eq_u16_e64 s[26:27], 0, v32
	v_cndmask_b32_e64 v33, 0, v35, s[26:27]
	v_cndmask_b32_e64 v37, 0, 1, s[28:29]
	v_cndmask_b32_e64 v32, 0, v36, s[26:27]
	v_add_co_u32_e64 v11, s[26:27], v33, v11
	v_addc_co_u32_e64 v12, s[26:27], v32, v12, s[26:27]
	v_cndmask_b32_e64 v33, 0, 1, s[28:29]
	v_mov_b32_e32 v32, v37
.LBB111_170:
	s_or_b64 exec, exec, s[30:31]
	v_mov_b32_dpp v35, v11 row_shr:8 row_mask:0xf bank_mask:0xf
	v_mov_b32_dpp v36, v12 row_shr:8 row_mask:0xf bank_mask:0xf
	v_mov_b32_dpp v37, v33 row_shr:8 row_mask:0xf bank_mask:0xf
	v_cmp_lt_u32_e64 s[26:27], 7, v34
	s_and_saveexec_b64 s[30:31], s[26:27]
	s_cbranch_execz .LBB111_172
; %bb.171:
	v_and_b32_e32 v33, 1, v32
	v_cmp_eq_u32_e64 s[26:27], 1, v33
	v_and_b32_e32 v33, 1, v37
	v_cmp_eq_u32_e64 s[28:29], 1, v33
	s_or_b64 s[28:29], s[26:27], s[28:29]
	v_cmp_eq_u16_e64 s[26:27], 0, v32
	v_cndmask_b32_e64 v33, 0, v35, s[26:27]
	v_cndmask_b32_e64 v34, 0, 1, s[28:29]
	v_cndmask_b32_e64 v32, 0, v36, s[26:27]
	v_add_co_u32_e64 v11, s[26:27], v33, v11
	v_addc_co_u32_e64 v12, s[26:27], v32, v12, s[26:27]
	v_cndmask_b32_e64 v33, 0, 1, s[28:29]
	v_mov_b32_e32 v32, v34
.LBB111_172:
	s_or_b64 exec, exec, s[30:31]
	v_and_b32_e32 v37, 16, v31
	v_mov_b32_dpp v34, v11 row_bcast:15 row_mask:0xf bank_mask:0xf
	v_mov_b32_dpp v35, v12 row_bcast:15 row_mask:0xf bank_mask:0xf
	;; [unrolled: 1-line block ×3, first 2 shown]
	v_cmp_ne_u32_e64 s[26:27], 0, v37
	s_and_saveexec_b64 s[30:31], s[26:27]
	s_cbranch_execz .LBB111_174
; %bb.173:
	v_and_b32_e32 v33, 1, v32
	v_cmp_eq_u32_e64 s[26:27], 1, v33
	v_and_b32_e32 v33, 1, v36
	v_cmp_eq_u32_e64 s[28:29], 1, v33
	s_or_b64 s[28:29], s[26:27], s[28:29]
	v_cmp_eq_u16_e64 s[26:27], 0, v32
	v_cndmask_b32_e64 v33, 0, v34, s[26:27]
	v_cndmask_b32_e64 v36, 0, 1, s[28:29]
	;; [unrolled: 1-line block ×3, first 2 shown]
	v_add_co_u32_e64 v11, s[26:27], v33, v11
	v_addc_co_u32_e64 v12, s[26:27], v32, v12, s[26:27]
	v_cndmask_b32_e64 v33, 0, 1, s[28:29]
	v_mov_b32_e32 v32, v36
.LBB111_174:
	s_or_b64 exec, exec, s[30:31]
	v_mov_b32_dpp v34, v11 row_bcast:31 row_mask:0xf bank_mask:0xf
	v_mov_b32_dpp v35, v12 row_bcast:31 row_mask:0xf bank_mask:0xf
	;; [unrolled: 1-line block ×3, first 2 shown]
	v_cmp_lt_u32_e64 s[26:27], 31, v31
	s_and_saveexec_b64 s[30:31], s[26:27]
	s_cbranch_execz .LBB111_176
; %bb.175:
	v_and_b32_e32 v36, 1, v32
	v_and_b32_e32 v33, 1, v33
	v_cmp_eq_u32_e64 s[26:27], 1, v36
	v_cmp_eq_u32_e64 s[28:29], 1, v33
	s_or_b64 s[26:27], s[26:27], s[28:29]
	v_cndmask_b32_e64 v33, 0, 1, s[26:27]
	v_cmp_eq_u16_e64 s[26:27], 0, v32
	v_cndmask_b32_e64 v34, 0, v34, s[26:27]
	v_cndmask_b32_e64 v32, 0, v35, s[26:27]
	v_add_co_u32_e64 v11, s[26:27], v34, v11
	v_addc_co_u32_e64 v12, s[26:27], v32, v12, s[26:27]
	v_mov_b32_e32 v32, v33
.LBB111_176:
	s_or_b64 exec, exec, s[30:31]
	v_cmp_eq_u32_e64 s[26:27], 63, v0
	s_and_saveexec_b64 s[28:29], s[26:27]
	s_cbranch_execz .LBB111_178
; %bb.177:
	v_mov_b32_e32 v33, 0
	ds_write_b64 v33, v[11:12]
	ds_write_b8 v33, v32 offset:8
.LBB111_178:
	s_or_b64 exec, exec, s[28:29]
	v_cmp_eq_u16_e64 s[26:27], 0, v32
	s_waitcnt vmcnt(0)
	v_cndmask_b32_e64 v33, 0, v59, s[26:27]
	v_cndmask_b32_e64 v32, 0, v60, s[26:27]
	v_add_co_u32_e64 v11, s[26:27], v33, v11
	v_addc_co_u32_e64 v12, s[26:27], v32, v12, s[26:27]
	v_subrev_co_u32_e64 v32, s[26:27], 1, v31
	v_and_b32_e32 v33, 64, v31
	v_cmp_lt_i32_e64 s[28:29], v32, v33
	v_cndmask_b32_e64 v31, v32, v31, s[28:29]
	v_lshlrev_b32_e32 v31, 2, v31
	ds_bpermute_b32 v11, v31, v11
	ds_bpermute_b32 v12, v31, v12
	v_cmp_eq_u32_e64 s[28:29], 0, v0
	s_or_b64 s[26:27], s[28:29], s[26:27]
	s_waitcnt lgkmcnt(0)
	v_cndmask_b32_e64 v31, v11, v59, s[26:27]
	v_mov_b32_e32 v11, 0
	v_cndmask_b32_e64 v32, v12, v60, s[26:27]
	v_cmp_eq_u16_sdwa s[26:27], v83, v11 src0_sel:BYTE_0 src1_sel:DWORD
	v_cndmask_b32_e64 v33, 0, v31, s[26:27]
	v_cndmask_b32_e64 v12, 0, v32, s[26:27]
	v_add_co_u32_e64 v33, s[26:27], v33, v29
	v_addc_co_u32_e64 v34, s[26:27], v12, v30, s[26:27]
	v_cndmask_b32_e64 v29, 0, v33, s[16:17]
	v_cndmask_b32_e64 v12, 0, v34, s[16:17]
	v_add_co_u32_e64 v35, s[16:17], v29, v3
	v_addc_co_u32_e64 v36, s[16:17], v12, v4, s[16:17]
	v_cndmask_b32_e32 v4, 0, v35, vcc
	v_cndmask_b32_e32 v3, 0, v36, vcc
	v_add_co_u32_e32 v37, vcc, v4, v27
	v_addc_co_u32_e32 v38, vcc, v3, v28, vcc
	v_cndmask_b32_e64 v4, 0, v37, s[2:3]
	v_cndmask_b32_e64 v3, 0, v38, s[2:3]
	v_add_co_u32_e32 v39, vcc, v4, v25
	v_addc_co_u32_e32 v40, vcc, v3, v26, vcc
	v_cndmask_b32_e64 v4, 0, v39, s[18:19]
	v_cndmask_b32_e64 v3, 0, v40, s[18:19]
	;; [unrolled: 4-line block ×11, first 2 shown]
	; wave barrier
	s_and_saveexec_b64 s[2:3], s[28:29]
	s_cbranch_execz .LBB111_180
; %bb.179:
	ds_read_u8 v5, v11 offset:8
	ds_read_b64 v[3:4], v11
	v_mov_b32_e32 v31, v59
	v_mov_b32_e32 v32, v60
	s_waitcnt lgkmcnt(1)
	v_cmp_eq_u32_sdwa vcc, v5, v11 src0_sel:WORD_0 src1_sel:DWORD
	v_cndmask_b32_e32 v7, 0, v59, vcc
	v_cndmask_b32_e32 v6, 0, v60, vcc
	s_waitcnt lgkmcnt(0)
	v_add_co_u32_e32 v3, vcc, v7, v3
	v_addc_co_u32_e32 v4, vcc, v6, v4, vcc
	global_store_dwordx2 v11, v[3:4], s[38:39] offset:1024
	global_store_byte v11, v5, s[38:39] offset:1032
	v_mov_b32_e32 v3, 2
	s_waitcnt vmcnt(0)
	buffer_wbinvl1_vol
	global_store_byte v11, v3, s[40:41] offset:64
.LBB111_180:
	s_or_b64 exec, exec, s[2:3]
.LBB111_181:
	v_add_co_u32_e32 v29, vcc, v61, v1
	v_addc_co_u32_e32 v30, vcc, v62, v2, vcc
	s_add_u32 s2, s44, s48
	s_addc_u32 s3, s45, s49
	s_and_b64 vcc, exec, s[0:1]
	s_cbranch_vccz .LBB111_235
; %bb.182:
	s_add_i32 s33, s33, s42
	v_mul_u32_u24_e32 v1, 15, v0
	v_cmp_gt_u32_e32 vcc, s33, v1
	s_and_saveexec_b64 s[0:1], vcc
	s_cbranch_execz .LBB111_206
; %bb.183:
	v_add_u32_e32 v2, 1, v1
	v_cmp_gt_u32_e32 vcc, s33, v2
	s_and_saveexec_b64 s[4:5], vcc
	s_cbranch_execz .LBB111_205
; %bb.184:
	v_add_u32_e32 v2, 2, v1
	;; [unrolled: 5-line block ×11, first 2 shown]
	v_cmp_gt_u32_e32 vcc, s33, v2
	s_and_saveexec_b64 s[24:25], vcc
; %bb.194:
	v_add_u32_e32 v2, 12, v1
	v_cmp_gt_u32_e32 vcc, s33, v2
	s_and_saveexec_b64 s[26:27], vcc
	s_or_b64 exec, exec, s[26:27]
; %bb.195:
	s_or_b64 exec, exec, s[24:25]
.LBB111_196:
	s_or_b64 exec, exec, s[22:23]
.LBB111_197:
	s_or_b64 exec, exec, s[20:21]
.LBB111_198:
	s_or_b64 exec, exec, s[18:19]
.LBB111_199:
	s_or_b64 exec, exec, s[16:17]
.LBB111_200:
	s_or_b64 exec, exec, s[14:15]
.LBB111_201:
	s_or_b64 exec, exec, s[12:13]
.LBB111_202:
	s_or_b64 exec, exec, s[10:11]
.LBB111_203:
	s_or_b64 exec, exec, s[8:9]
.LBB111_204:
	s_or_b64 exec, exec, s[6:7]
.LBB111_205:
	s_or_b64 exec, exec, s[4:5]
.LBB111_206:
	s_or_b64 exec, exec, s[0:1]
	v_lshlrev_b32_e32 v61, 3, v1
	s_movk_i32 s0, 0xff90
	v_mad_i32_i24 v1, v0, s0, v61
	; wave barrier
	ds_write2_b64 v61, v[31:32], v[33:34] offset1:1
	ds_write2_b64 v61, v[35:36], v[37:38] offset0:2 offset1:3
	ds_write2_b64 v61, v[39:40], v[41:42] offset0:4 offset1:5
	;; [unrolled: 1-line block ×6, first 2 shown]
	ds_write_b64 v61, v[29:30] offset:112
	s_waitcnt lgkmcnt(0)
	; wave barrier
	ds_read2st64_b64 v[25:28], v1 offset0:1 offset1:2
	ds_read2st64_b64 v[21:24], v1 offset0:3 offset1:4
	;; [unrolled: 1-line block ×7, first 2 shown]
	v_lshlrev_b32_e32 v59, 3, v0
	v_mov_b32_e32 v60, s3
	v_add_co_u32_e32 v59, vcc, s2, v59
	v_addc_co_u32_e32 v60, vcc, 0, v60, vcc
	v_cmp_gt_u32_e32 vcc, s33, v0
	s_and_saveexec_b64 s[0:1], vcc
	s_cbranch_execz .LBB111_208
; %bb.207:
	v_mul_i32_i24_e32 v62, 0xffffff90, v0
	v_add_u32_e32 v61, v61, v62
	ds_read_b64 v[61:62], v61
	s_waitcnt lgkmcnt(0)
	global_store_dwordx2 v[59:60], v[61:62], off
.LBB111_208:
	s_or_b64 exec, exec, s[0:1]
	v_or_b32_e32 v61, 64, v0
	v_cmp_gt_u32_e32 vcc, s33, v61
	s_and_saveexec_b64 s[0:1], vcc
	s_cbranch_execz .LBB111_210
; %bb.209:
	s_waitcnt lgkmcnt(6)
	global_store_dwordx2 v[59:60], v[25:26], off offset:512
.LBB111_210:
	s_or_b64 exec, exec, s[0:1]
	s_waitcnt lgkmcnt(6)
	v_or_b32_e32 v25, 0x80, v0
	v_cmp_gt_u32_e32 vcc, s33, v25
	s_and_saveexec_b64 s[0:1], vcc
	s_cbranch_execz .LBB111_212
; %bb.211:
	global_store_dwordx2 v[59:60], v[27:28], off offset:1024
.LBB111_212:
	s_or_b64 exec, exec, s[0:1]
	v_or_b32_e32 v25, 0xc0, v0
	v_cmp_gt_u32_e32 vcc, s33, v25
	s_and_saveexec_b64 s[0:1], vcc
	s_cbranch_execz .LBB111_214
; %bb.213:
	s_waitcnt lgkmcnt(5)
	global_store_dwordx2 v[59:60], v[21:22], off offset:1536
.LBB111_214:
	s_or_b64 exec, exec, s[0:1]
	s_waitcnt lgkmcnt(5)
	v_or_b32_e32 v21, 0x100, v0
	v_cmp_gt_u32_e32 vcc, s33, v21
	s_and_saveexec_b64 s[0:1], vcc
	s_cbranch_execz .LBB111_216
; %bb.215:
	global_store_dwordx2 v[59:60], v[23:24], off offset:2048
.LBB111_216:
	;; [unrolled: 18-line block ×3, first 2 shown]
	s_or_b64 exec, exec, s[0:1]
	v_or_b32_e32 v17, 0x1c0, v0
	v_cmp_gt_u32_e32 vcc, s33, v17
	s_and_saveexec_b64 s[0:1], vcc
	s_cbranch_execz .LBB111_222
; %bb.221:
	s_waitcnt lgkmcnt(3)
	global_store_dwordx2 v[59:60], v[13:14], off offset:3584
.LBB111_222:
	s_or_b64 exec, exec, s[0:1]
	s_waitcnt lgkmcnt(3)
	v_or_b32_e32 v13, 0x200, v0
	v_cmp_gt_u32_e32 vcc, s33, v13
	s_and_saveexec_b64 s[0:1], vcc
	s_cbranch_execz .LBB111_224
; %bb.223:
	v_add_co_u32_e32 v13, vcc, 0x1000, v59
	v_addc_co_u32_e32 v14, vcc, 0, v60, vcc
	global_store_dwordx2 v[13:14], v[15:16], off
.LBB111_224:
	s_or_b64 exec, exec, s[0:1]
	v_or_b32_e32 v13, 0x240, v0
	v_cmp_gt_u32_e32 vcc, s33, v13
	s_and_saveexec_b64 s[0:1], vcc
	s_cbranch_execz .LBB111_226
; %bb.225:
	v_add_co_u32_e32 v13, vcc, 0x1000, v59
	v_addc_co_u32_e32 v14, vcc, 0, v60, vcc
	s_waitcnt lgkmcnt(2)
	global_store_dwordx2 v[13:14], v[9:10], off offset:512
.LBB111_226:
	s_or_b64 exec, exec, s[0:1]
	s_waitcnt lgkmcnt(2)
	v_or_b32_e32 v9, 0x280, v0
	v_cmp_gt_u32_e32 vcc, s33, v9
	s_and_saveexec_b64 s[0:1], vcc
	s_cbranch_execz .LBB111_228
; %bb.227:
	v_add_co_u32_e32 v9, vcc, 0x1000, v59
	v_addc_co_u32_e32 v10, vcc, 0, v60, vcc
	global_store_dwordx2 v[9:10], v[11:12], off offset:1024
.LBB111_228:
	s_or_b64 exec, exec, s[0:1]
	v_or_b32_e32 v9, 0x2c0, v0
	v_cmp_gt_u32_e32 vcc, s33, v9
	s_and_saveexec_b64 s[0:1], vcc
	s_cbranch_execz .LBB111_230
; %bb.229:
	v_add_co_u32_e32 v9, vcc, 0x1000, v59
	v_addc_co_u32_e32 v10, vcc, 0, v60, vcc
	s_waitcnt lgkmcnt(1)
	global_store_dwordx2 v[9:10], v[5:6], off offset:1536
.LBB111_230:
	s_or_b64 exec, exec, s[0:1]
	s_waitcnt lgkmcnt(1)
	v_or_b32_e32 v5, 0x300, v0
	v_cmp_gt_u32_e32 vcc, s33, v5
	s_and_saveexec_b64 s[0:1], vcc
	s_cbranch_execz .LBB111_232
; %bb.231:
	v_add_co_u32_e32 v5, vcc, 0x1000, v59
	v_addc_co_u32_e32 v6, vcc, 0, v60, vcc
	global_store_dwordx2 v[5:6], v[7:8], off offset:2048
.LBB111_232:
	s_or_b64 exec, exec, s[0:1]
	v_or_b32_e32 v5, 0x340, v0
	v_cmp_gt_u32_e32 vcc, s33, v5
	s_and_saveexec_b64 s[0:1], vcc
	s_cbranch_execz .LBB111_234
; %bb.233:
	v_add_co_u32_e32 v5, vcc, 0x1000, v59
	v_addc_co_u32_e32 v6, vcc, 0, v60, vcc
	s_waitcnt lgkmcnt(0)
	global_store_dwordx2 v[5:6], v[1:2], off offset:2560
.LBB111_234:
	s_or_b64 exec, exec, s[0:1]
	s_waitcnt lgkmcnt(0)
	v_or_b32_e32 v1, 0x380, v0
	v_cmp_gt_u32_e64 s[0:1], s33, v1
	s_branch .LBB111_237
.LBB111_235:
	s_mov_b64 s[0:1], 0
                                        ; implicit-def: $vgpr3_vgpr4
	s_cbranch_execz .LBB111_237
; %bb.236:
	v_mul_u32_u24_e32 v1, 0x78, v0
	; wave barrier
	s_movk_i32 s4, 0x78
	ds_write2_b64 v1, v[31:32], v[33:34] offset1:1
	ds_write2_b64 v1, v[35:36], v[37:38] offset0:2 offset1:3
	ds_write2_b64 v1, v[39:40], v[41:42] offset0:4 offset1:5
	ds_write2_b64 v1, v[43:44], v[45:46] offset0:6 offset1:7
	ds_write2_b64 v1, v[47:48], v[49:50] offset0:8 offset1:9
	ds_write2_b64 v1, v[51:52], v[53:54] offset0:10 offset1:11
	ds_write2_b64 v1, v[55:56], v[57:58] offset0:12 offset1:13
	ds_write_b64 v1, v[29:30] offset:112
	v_mul_i32_i24_e32 v1, 0xffffff90, v0
	v_mad_u32_u24 v1, v0, s4, v1
	s_waitcnt lgkmcnt(0)
	; wave barrier
	ds_read2st64_b64 v[5:8], v1 offset1:1
	ds_read2st64_b64 v[9:12], v1 offset0:2 offset1:3
	ds_read2st64_b64 v[13:16], v1 offset0:4 offset1:5
	;; [unrolled: 1-line block ×6, first 2 shown]
	ds_read_b64 v[3:4], v1 offset:7168
	v_lshlrev_b32_e32 v1, 3, v0
	v_mov_b32_e32 v2, s3
	v_add_co_u32_e32 v33, vcc, s2, v1
	v_addc_co_u32_e32 v2, vcc, 0, v2, vcc
	s_waitcnt lgkmcnt(7)
	global_store_dwordx2 v1, v[5:6], s[2:3]
	global_store_dwordx2 v1, v[7:8], s[2:3] offset:512
	s_waitcnt lgkmcnt(6)
	global_store_dwordx2 v1, v[9:10], s[2:3] offset:1024
	global_store_dwordx2 v1, v[11:12], s[2:3] offset:1536
	s_waitcnt lgkmcnt(5)
	global_store_dwordx2 v1, v[13:14], s[2:3] offset:2048
	;; [unrolled: 3-line block ×3, first 2 shown]
	global_store_dwordx2 v1, v[19:20], s[2:3] offset:3584
	v_add_co_u32_e32 v1, vcc, 0x1000, v33
	v_addc_co_u32_e32 v2, vcc, 0, v2, vcc
	s_or_b64 s[0:1], s[0:1], exec
	s_waitcnt lgkmcnt(3)
	global_store_dwordx2 v[1:2], v[21:22], off
	global_store_dwordx2 v[1:2], v[23:24], off offset:512
	s_waitcnt lgkmcnt(2)
	global_store_dwordx2 v[1:2], v[25:26], off offset:1024
	global_store_dwordx2 v[1:2], v[27:28], off offset:1536
	s_waitcnt lgkmcnt(1)
	global_store_dwordx2 v[1:2], v[29:30], off offset:2048
	global_store_dwordx2 v[1:2], v[31:32], off offset:2560
.LBB111_237:
	s_and_saveexec_b64 s[4:5], s[0:1]
	s_cbranch_execz .LBB111_239
; %bb.238:
	v_lshlrev_b32_e32 v0, 3, v0
	v_mov_b32_e32 v1, s3
	v_add_co_u32_e32 v0, vcc, s2, v0
	v_addc_co_u32_e32 v1, vcc, 0, v1, vcc
	v_add_co_u32_e32 v0, vcc, 0x1000, v0
	v_addc_co_u32_e32 v1, vcc, 0, v1, vcc
	s_waitcnt lgkmcnt(0)
	global_store_dwordx2 v[0:1], v[3:4], off offset:3072
	s_endpgm
.LBB111_239:
	s_endpgm
	.section	.rodata,"a",@progbits
	.p2align	6, 0x0
	.amdhsa_kernel _ZN7rocprim6detail25device_scan_by_key_kernelILNS0_25lookback_scan_determinismE0ELb1ENS0_26wrapped_scan_by_key_configINS_14default_configEimEEPiN6hipcub22TransformInputIteratorImNS7_6CastOpImEEPmlEESB_mNS7_8EqualityENS7_3SumENS0_19lookback_scan_stateINS_5tupleIJmbEEELb0ELb0EEEmEEvT2_T3_T4_T5_T6_T7_T8_mmmPKNSG_IJT9_bEEE
		.amdhsa_group_segment_fixed_size 7680
		.amdhsa_private_segment_fixed_size 0
		.amdhsa_kernarg_size 104
		.amdhsa_user_sgpr_count 6
		.amdhsa_user_sgpr_private_segment_buffer 1
		.amdhsa_user_sgpr_dispatch_ptr 0
		.amdhsa_user_sgpr_queue_ptr 0
		.amdhsa_user_sgpr_kernarg_segment_ptr 1
		.amdhsa_user_sgpr_dispatch_id 0
		.amdhsa_user_sgpr_flat_scratch_init 0
		.amdhsa_user_sgpr_private_segment_size 0
		.amdhsa_uses_dynamic_stack 0
		.amdhsa_system_sgpr_private_segment_wavefront_offset 0
		.amdhsa_system_sgpr_workgroup_id_x 1
		.amdhsa_system_sgpr_workgroup_id_y 0
		.amdhsa_system_sgpr_workgroup_id_z 0
		.amdhsa_system_sgpr_workgroup_info 0
		.amdhsa_system_vgpr_workitem_id 0
		.amdhsa_next_free_vgpr 104
		.amdhsa_next_free_sgpr 98
		.amdhsa_reserve_vcc 1
		.amdhsa_reserve_flat_scratch 0
		.amdhsa_float_round_mode_32 0
		.amdhsa_float_round_mode_16_64 0
		.amdhsa_float_denorm_mode_32 3
		.amdhsa_float_denorm_mode_16_64 3
		.amdhsa_dx10_clamp 1
		.amdhsa_ieee_mode 1
		.amdhsa_fp16_overflow 0
		.amdhsa_exception_fp_ieee_invalid_op 0
		.amdhsa_exception_fp_denorm_src 0
		.amdhsa_exception_fp_ieee_div_zero 0
		.amdhsa_exception_fp_ieee_overflow 0
		.amdhsa_exception_fp_ieee_underflow 0
		.amdhsa_exception_fp_ieee_inexact 0
		.amdhsa_exception_int_div_zero 0
	.end_amdhsa_kernel
	.section	.text._ZN7rocprim6detail25device_scan_by_key_kernelILNS0_25lookback_scan_determinismE0ELb1ENS0_26wrapped_scan_by_key_configINS_14default_configEimEEPiN6hipcub22TransformInputIteratorImNS7_6CastOpImEEPmlEESB_mNS7_8EqualityENS7_3SumENS0_19lookback_scan_stateINS_5tupleIJmbEEELb0ELb0EEEmEEvT2_T3_T4_T5_T6_T7_T8_mmmPKNSG_IJT9_bEEE,"axG",@progbits,_ZN7rocprim6detail25device_scan_by_key_kernelILNS0_25lookback_scan_determinismE0ELb1ENS0_26wrapped_scan_by_key_configINS_14default_configEimEEPiN6hipcub22TransformInputIteratorImNS7_6CastOpImEEPmlEESB_mNS7_8EqualityENS7_3SumENS0_19lookback_scan_stateINS_5tupleIJmbEEELb0ELb0EEEmEEvT2_T3_T4_T5_T6_T7_T8_mmmPKNSG_IJT9_bEEE,comdat
.Lfunc_end111:
	.size	_ZN7rocprim6detail25device_scan_by_key_kernelILNS0_25lookback_scan_determinismE0ELb1ENS0_26wrapped_scan_by_key_configINS_14default_configEimEEPiN6hipcub22TransformInputIteratorImNS7_6CastOpImEEPmlEESB_mNS7_8EqualityENS7_3SumENS0_19lookback_scan_stateINS_5tupleIJmbEEELb0ELb0EEEmEEvT2_T3_T4_T5_T6_T7_T8_mmmPKNSG_IJT9_bEEE, .Lfunc_end111-_ZN7rocprim6detail25device_scan_by_key_kernelILNS0_25lookback_scan_determinismE0ELb1ENS0_26wrapped_scan_by_key_configINS_14default_configEimEEPiN6hipcub22TransformInputIteratorImNS7_6CastOpImEEPmlEESB_mNS7_8EqualityENS7_3SumENS0_19lookback_scan_stateINS_5tupleIJmbEEELb0ELb0EEEmEEvT2_T3_T4_T5_T6_T7_T8_mmmPKNSG_IJT9_bEEE
                                        ; -- End function
	.set _ZN7rocprim6detail25device_scan_by_key_kernelILNS0_25lookback_scan_determinismE0ELb1ENS0_26wrapped_scan_by_key_configINS_14default_configEimEEPiN6hipcub22TransformInputIteratorImNS7_6CastOpImEEPmlEESB_mNS7_8EqualityENS7_3SumENS0_19lookback_scan_stateINS_5tupleIJmbEEELb0ELb0EEEmEEvT2_T3_T4_T5_T6_T7_T8_mmmPKNSG_IJT9_bEEE.num_vgpr, 104
	.set _ZN7rocprim6detail25device_scan_by_key_kernelILNS0_25lookback_scan_determinismE0ELb1ENS0_26wrapped_scan_by_key_configINS_14default_configEimEEPiN6hipcub22TransformInputIteratorImNS7_6CastOpImEEPmlEESB_mNS7_8EqualityENS7_3SumENS0_19lookback_scan_stateINS_5tupleIJmbEEELb0ELb0EEEmEEvT2_T3_T4_T5_T6_T7_T8_mmmPKNSG_IJT9_bEEE.num_agpr, 0
	.set _ZN7rocprim6detail25device_scan_by_key_kernelILNS0_25lookback_scan_determinismE0ELb1ENS0_26wrapped_scan_by_key_configINS_14default_configEimEEPiN6hipcub22TransformInputIteratorImNS7_6CastOpImEEPmlEESB_mNS7_8EqualityENS7_3SumENS0_19lookback_scan_stateINS_5tupleIJmbEEELb0ELb0EEEmEEvT2_T3_T4_T5_T6_T7_T8_mmmPKNSG_IJT9_bEEE.numbered_sgpr, 90
	.set _ZN7rocprim6detail25device_scan_by_key_kernelILNS0_25lookback_scan_determinismE0ELb1ENS0_26wrapped_scan_by_key_configINS_14default_configEimEEPiN6hipcub22TransformInputIteratorImNS7_6CastOpImEEPmlEESB_mNS7_8EqualityENS7_3SumENS0_19lookback_scan_stateINS_5tupleIJmbEEELb0ELb0EEEmEEvT2_T3_T4_T5_T6_T7_T8_mmmPKNSG_IJT9_bEEE.num_named_barrier, 0
	.set _ZN7rocprim6detail25device_scan_by_key_kernelILNS0_25lookback_scan_determinismE0ELb1ENS0_26wrapped_scan_by_key_configINS_14default_configEimEEPiN6hipcub22TransformInputIteratorImNS7_6CastOpImEEPmlEESB_mNS7_8EqualityENS7_3SumENS0_19lookback_scan_stateINS_5tupleIJmbEEELb0ELb0EEEmEEvT2_T3_T4_T5_T6_T7_T8_mmmPKNSG_IJT9_bEEE.private_seg_size, 0
	.set _ZN7rocprim6detail25device_scan_by_key_kernelILNS0_25lookback_scan_determinismE0ELb1ENS0_26wrapped_scan_by_key_configINS_14default_configEimEEPiN6hipcub22TransformInputIteratorImNS7_6CastOpImEEPmlEESB_mNS7_8EqualityENS7_3SumENS0_19lookback_scan_stateINS_5tupleIJmbEEELb0ELb0EEEmEEvT2_T3_T4_T5_T6_T7_T8_mmmPKNSG_IJT9_bEEE.uses_vcc, 1
	.set _ZN7rocprim6detail25device_scan_by_key_kernelILNS0_25lookback_scan_determinismE0ELb1ENS0_26wrapped_scan_by_key_configINS_14default_configEimEEPiN6hipcub22TransformInputIteratorImNS7_6CastOpImEEPmlEESB_mNS7_8EqualityENS7_3SumENS0_19lookback_scan_stateINS_5tupleIJmbEEELb0ELb0EEEmEEvT2_T3_T4_T5_T6_T7_T8_mmmPKNSG_IJT9_bEEE.uses_flat_scratch, 0
	.set _ZN7rocprim6detail25device_scan_by_key_kernelILNS0_25lookback_scan_determinismE0ELb1ENS0_26wrapped_scan_by_key_configINS_14default_configEimEEPiN6hipcub22TransformInputIteratorImNS7_6CastOpImEEPmlEESB_mNS7_8EqualityENS7_3SumENS0_19lookback_scan_stateINS_5tupleIJmbEEELb0ELb0EEEmEEvT2_T3_T4_T5_T6_T7_T8_mmmPKNSG_IJT9_bEEE.has_dyn_sized_stack, 0
	.set _ZN7rocprim6detail25device_scan_by_key_kernelILNS0_25lookback_scan_determinismE0ELb1ENS0_26wrapped_scan_by_key_configINS_14default_configEimEEPiN6hipcub22TransformInputIteratorImNS7_6CastOpImEEPmlEESB_mNS7_8EqualityENS7_3SumENS0_19lookback_scan_stateINS_5tupleIJmbEEELb0ELb0EEEmEEvT2_T3_T4_T5_T6_T7_T8_mmmPKNSG_IJT9_bEEE.has_recursion, 0
	.set _ZN7rocprim6detail25device_scan_by_key_kernelILNS0_25lookback_scan_determinismE0ELb1ENS0_26wrapped_scan_by_key_configINS_14default_configEimEEPiN6hipcub22TransformInputIteratorImNS7_6CastOpImEEPmlEESB_mNS7_8EqualityENS7_3SumENS0_19lookback_scan_stateINS_5tupleIJmbEEELb0ELb0EEEmEEvT2_T3_T4_T5_T6_T7_T8_mmmPKNSG_IJT9_bEEE.has_indirect_call, 0
	.section	.AMDGPU.csdata,"",@progbits
; Kernel info:
; codeLenInByte = 14932
; TotalNumSgprs: 94
; NumVgprs: 104
; ScratchSize: 0
; MemoryBound: 0
; FloatMode: 240
; IeeeMode: 1
; LDSByteSize: 7680 bytes/workgroup (compile time only)
; SGPRBlocks: 12
; VGPRBlocks: 25
; NumSGPRsForWavesPerEU: 102
; NumVGPRsForWavesPerEU: 104
; Occupancy: 2
; WaveLimiterHint : 1
; COMPUTE_PGM_RSRC2:SCRATCH_EN: 0
; COMPUTE_PGM_RSRC2:USER_SGPR: 6
; COMPUTE_PGM_RSRC2:TRAP_HANDLER: 0
; COMPUTE_PGM_RSRC2:TGID_X_EN: 1
; COMPUTE_PGM_RSRC2:TGID_Y_EN: 0
; COMPUTE_PGM_RSRC2:TGID_Z_EN: 0
; COMPUTE_PGM_RSRC2:TIDIG_COMP_CNT: 0
	.section	.text._ZN7rocprim6detail25device_scan_by_key_kernelILNS0_25lookback_scan_determinismE0ELb1ENS0_26wrapped_scan_by_key_configINS_14default_configEiyEEPiN6hipcub22TransformInputIteratorIyNS7_6CastOpIyEEPylEESB_yNS7_8EqualityENS7_3SumENS0_19lookback_scan_stateINS_5tupleIJybEEELb1ELb0EEEyEEvT2_T3_T4_T5_T6_T7_T8_mmmPKNSG_IJT9_bEEE,"axG",@progbits,_ZN7rocprim6detail25device_scan_by_key_kernelILNS0_25lookback_scan_determinismE0ELb1ENS0_26wrapped_scan_by_key_configINS_14default_configEiyEEPiN6hipcub22TransformInputIteratorIyNS7_6CastOpIyEEPylEESB_yNS7_8EqualityENS7_3SumENS0_19lookback_scan_stateINS_5tupleIJybEEELb1ELb0EEEyEEvT2_T3_T4_T5_T6_T7_T8_mmmPKNSG_IJT9_bEEE,comdat
	.protected	_ZN7rocprim6detail25device_scan_by_key_kernelILNS0_25lookback_scan_determinismE0ELb1ENS0_26wrapped_scan_by_key_configINS_14default_configEiyEEPiN6hipcub22TransformInputIteratorIyNS7_6CastOpIyEEPylEESB_yNS7_8EqualityENS7_3SumENS0_19lookback_scan_stateINS_5tupleIJybEEELb1ELb0EEEyEEvT2_T3_T4_T5_T6_T7_T8_mmmPKNSG_IJT9_bEEE ; -- Begin function _ZN7rocprim6detail25device_scan_by_key_kernelILNS0_25lookback_scan_determinismE0ELb1ENS0_26wrapped_scan_by_key_configINS_14default_configEiyEEPiN6hipcub22TransformInputIteratorIyNS7_6CastOpIyEEPylEESB_yNS7_8EqualityENS7_3SumENS0_19lookback_scan_stateINS_5tupleIJybEEELb1ELb0EEEyEEvT2_T3_T4_T5_T6_T7_T8_mmmPKNSG_IJT9_bEEE
	.globl	_ZN7rocprim6detail25device_scan_by_key_kernelILNS0_25lookback_scan_determinismE0ELb1ENS0_26wrapped_scan_by_key_configINS_14default_configEiyEEPiN6hipcub22TransformInputIteratorIyNS7_6CastOpIyEEPylEESB_yNS7_8EqualityENS7_3SumENS0_19lookback_scan_stateINS_5tupleIJybEEELb1ELb0EEEyEEvT2_T3_T4_T5_T6_T7_T8_mmmPKNSG_IJT9_bEEE
	.p2align	8
	.type	_ZN7rocprim6detail25device_scan_by_key_kernelILNS0_25lookback_scan_determinismE0ELb1ENS0_26wrapped_scan_by_key_configINS_14default_configEiyEEPiN6hipcub22TransformInputIteratorIyNS7_6CastOpIyEEPylEESB_yNS7_8EqualityENS7_3SumENS0_19lookback_scan_stateINS_5tupleIJybEEELb1ELb0EEEyEEvT2_T3_T4_T5_T6_T7_T8_mmmPKNSG_IJT9_bEEE,@function
_ZN7rocprim6detail25device_scan_by_key_kernelILNS0_25lookback_scan_determinismE0ELb1ENS0_26wrapped_scan_by_key_configINS_14default_configEiyEEPiN6hipcub22TransformInputIteratorIyNS7_6CastOpIyEEPylEESB_yNS7_8EqualityENS7_3SumENS0_19lookback_scan_stateINS_5tupleIJybEEELb1ELb0EEEyEEvT2_T3_T4_T5_T6_T7_T8_mmmPKNSG_IJT9_bEEE: ; @_ZN7rocprim6detail25device_scan_by_key_kernelILNS0_25lookback_scan_determinismE0ELb1ENS0_26wrapped_scan_by_key_configINS_14default_configEiyEEPiN6hipcub22TransformInputIteratorIyNS7_6CastOpIyEEPylEESB_yNS7_8EqualityENS7_3SumENS0_19lookback_scan_stateINS_5tupleIJybEEELb1ELb0EEEyEEvT2_T3_T4_T5_T6_T7_T8_mmmPKNSG_IJT9_bEEE
; %bb.0:
	s_endpgm
	.section	.rodata,"a",@progbits
	.p2align	6, 0x0
	.amdhsa_kernel _ZN7rocprim6detail25device_scan_by_key_kernelILNS0_25lookback_scan_determinismE0ELb1ENS0_26wrapped_scan_by_key_configINS_14default_configEiyEEPiN6hipcub22TransformInputIteratorIyNS7_6CastOpIyEEPylEESB_yNS7_8EqualityENS7_3SumENS0_19lookback_scan_stateINS_5tupleIJybEEELb1ELb0EEEyEEvT2_T3_T4_T5_T6_T7_T8_mmmPKNSG_IJT9_bEEE
		.amdhsa_group_segment_fixed_size 0
		.amdhsa_private_segment_fixed_size 0
		.amdhsa_kernarg_size 104
		.amdhsa_user_sgpr_count 6
		.amdhsa_user_sgpr_private_segment_buffer 1
		.amdhsa_user_sgpr_dispatch_ptr 0
		.amdhsa_user_sgpr_queue_ptr 0
		.amdhsa_user_sgpr_kernarg_segment_ptr 1
		.amdhsa_user_sgpr_dispatch_id 0
		.amdhsa_user_sgpr_flat_scratch_init 0
		.amdhsa_user_sgpr_private_segment_size 0
		.amdhsa_uses_dynamic_stack 0
		.amdhsa_system_sgpr_private_segment_wavefront_offset 0
		.amdhsa_system_sgpr_workgroup_id_x 1
		.amdhsa_system_sgpr_workgroup_id_y 0
		.amdhsa_system_sgpr_workgroup_id_z 0
		.amdhsa_system_sgpr_workgroup_info 0
		.amdhsa_system_vgpr_workitem_id 0
		.amdhsa_next_free_vgpr 1
		.amdhsa_next_free_sgpr 0
		.amdhsa_reserve_vcc 0
		.amdhsa_reserve_flat_scratch 0
		.amdhsa_float_round_mode_32 0
		.amdhsa_float_round_mode_16_64 0
		.amdhsa_float_denorm_mode_32 3
		.amdhsa_float_denorm_mode_16_64 3
		.amdhsa_dx10_clamp 1
		.amdhsa_ieee_mode 1
		.amdhsa_fp16_overflow 0
		.amdhsa_exception_fp_ieee_invalid_op 0
		.amdhsa_exception_fp_denorm_src 0
		.amdhsa_exception_fp_ieee_div_zero 0
		.amdhsa_exception_fp_ieee_overflow 0
		.amdhsa_exception_fp_ieee_underflow 0
		.amdhsa_exception_fp_ieee_inexact 0
		.amdhsa_exception_int_div_zero 0
	.end_amdhsa_kernel
	.section	.text._ZN7rocprim6detail25device_scan_by_key_kernelILNS0_25lookback_scan_determinismE0ELb1ENS0_26wrapped_scan_by_key_configINS_14default_configEiyEEPiN6hipcub22TransformInputIteratorIyNS7_6CastOpIyEEPylEESB_yNS7_8EqualityENS7_3SumENS0_19lookback_scan_stateINS_5tupleIJybEEELb1ELb0EEEyEEvT2_T3_T4_T5_T6_T7_T8_mmmPKNSG_IJT9_bEEE,"axG",@progbits,_ZN7rocprim6detail25device_scan_by_key_kernelILNS0_25lookback_scan_determinismE0ELb1ENS0_26wrapped_scan_by_key_configINS_14default_configEiyEEPiN6hipcub22TransformInputIteratorIyNS7_6CastOpIyEEPylEESB_yNS7_8EqualityENS7_3SumENS0_19lookback_scan_stateINS_5tupleIJybEEELb1ELb0EEEyEEvT2_T3_T4_T5_T6_T7_T8_mmmPKNSG_IJT9_bEEE,comdat
.Lfunc_end112:
	.size	_ZN7rocprim6detail25device_scan_by_key_kernelILNS0_25lookback_scan_determinismE0ELb1ENS0_26wrapped_scan_by_key_configINS_14default_configEiyEEPiN6hipcub22TransformInputIteratorIyNS7_6CastOpIyEEPylEESB_yNS7_8EqualityENS7_3SumENS0_19lookback_scan_stateINS_5tupleIJybEEELb1ELb0EEEyEEvT2_T3_T4_T5_T6_T7_T8_mmmPKNSG_IJT9_bEEE, .Lfunc_end112-_ZN7rocprim6detail25device_scan_by_key_kernelILNS0_25lookback_scan_determinismE0ELb1ENS0_26wrapped_scan_by_key_configINS_14default_configEiyEEPiN6hipcub22TransformInputIteratorIyNS7_6CastOpIyEEPylEESB_yNS7_8EqualityENS7_3SumENS0_19lookback_scan_stateINS_5tupleIJybEEELb1ELb0EEEyEEvT2_T3_T4_T5_T6_T7_T8_mmmPKNSG_IJT9_bEEE
                                        ; -- End function
	.set _ZN7rocprim6detail25device_scan_by_key_kernelILNS0_25lookback_scan_determinismE0ELb1ENS0_26wrapped_scan_by_key_configINS_14default_configEiyEEPiN6hipcub22TransformInputIteratorIyNS7_6CastOpIyEEPylEESB_yNS7_8EqualityENS7_3SumENS0_19lookback_scan_stateINS_5tupleIJybEEELb1ELb0EEEyEEvT2_T3_T4_T5_T6_T7_T8_mmmPKNSG_IJT9_bEEE.num_vgpr, 0
	.set _ZN7rocprim6detail25device_scan_by_key_kernelILNS0_25lookback_scan_determinismE0ELb1ENS0_26wrapped_scan_by_key_configINS_14default_configEiyEEPiN6hipcub22TransformInputIteratorIyNS7_6CastOpIyEEPylEESB_yNS7_8EqualityENS7_3SumENS0_19lookback_scan_stateINS_5tupleIJybEEELb1ELb0EEEyEEvT2_T3_T4_T5_T6_T7_T8_mmmPKNSG_IJT9_bEEE.num_agpr, 0
	.set _ZN7rocprim6detail25device_scan_by_key_kernelILNS0_25lookback_scan_determinismE0ELb1ENS0_26wrapped_scan_by_key_configINS_14default_configEiyEEPiN6hipcub22TransformInputIteratorIyNS7_6CastOpIyEEPylEESB_yNS7_8EqualityENS7_3SumENS0_19lookback_scan_stateINS_5tupleIJybEEELb1ELb0EEEyEEvT2_T3_T4_T5_T6_T7_T8_mmmPKNSG_IJT9_bEEE.numbered_sgpr, 0
	.set _ZN7rocprim6detail25device_scan_by_key_kernelILNS0_25lookback_scan_determinismE0ELb1ENS0_26wrapped_scan_by_key_configINS_14default_configEiyEEPiN6hipcub22TransformInputIteratorIyNS7_6CastOpIyEEPylEESB_yNS7_8EqualityENS7_3SumENS0_19lookback_scan_stateINS_5tupleIJybEEELb1ELb0EEEyEEvT2_T3_T4_T5_T6_T7_T8_mmmPKNSG_IJT9_bEEE.num_named_barrier, 0
	.set _ZN7rocprim6detail25device_scan_by_key_kernelILNS0_25lookback_scan_determinismE0ELb1ENS0_26wrapped_scan_by_key_configINS_14default_configEiyEEPiN6hipcub22TransformInputIteratorIyNS7_6CastOpIyEEPylEESB_yNS7_8EqualityENS7_3SumENS0_19lookback_scan_stateINS_5tupleIJybEEELb1ELb0EEEyEEvT2_T3_T4_T5_T6_T7_T8_mmmPKNSG_IJT9_bEEE.private_seg_size, 0
	.set _ZN7rocprim6detail25device_scan_by_key_kernelILNS0_25lookback_scan_determinismE0ELb1ENS0_26wrapped_scan_by_key_configINS_14default_configEiyEEPiN6hipcub22TransformInputIteratorIyNS7_6CastOpIyEEPylEESB_yNS7_8EqualityENS7_3SumENS0_19lookback_scan_stateINS_5tupleIJybEEELb1ELb0EEEyEEvT2_T3_T4_T5_T6_T7_T8_mmmPKNSG_IJT9_bEEE.uses_vcc, 0
	.set _ZN7rocprim6detail25device_scan_by_key_kernelILNS0_25lookback_scan_determinismE0ELb1ENS0_26wrapped_scan_by_key_configINS_14default_configEiyEEPiN6hipcub22TransformInputIteratorIyNS7_6CastOpIyEEPylEESB_yNS7_8EqualityENS7_3SumENS0_19lookback_scan_stateINS_5tupleIJybEEELb1ELb0EEEyEEvT2_T3_T4_T5_T6_T7_T8_mmmPKNSG_IJT9_bEEE.uses_flat_scratch, 0
	.set _ZN7rocprim6detail25device_scan_by_key_kernelILNS0_25lookback_scan_determinismE0ELb1ENS0_26wrapped_scan_by_key_configINS_14default_configEiyEEPiN6hipcub22TransformInputIteratorIyNS7_6CastOpIyEEPylEESB_yNS7_8EqualityENS7_3SumENS0_19lookback_scan_stateINS_5tupleIJybEEELb1ELb0EEEyEEvT2_T3_T4_T5_T6_T7_T8_mmmPKNSG_IJT9_bEEE.has_dyn_sized_stack, 0
	.set _ZN7rocprim6detail25device_scan_by_key_kernelILNS0_25lookback_scan_determinismE0ELb1ENS0_26wrapped_scan_by_key_configINS_14default_configEiyEEPiN6hipcub22TransformInputIteratorIyNS7_6CastOpIyEEPylEESB_yNS7_8EqualityENS7_3SumENS0_19lookback_scan_stateINS_5tupleIJybEEELb1ELb0EEEyEEvT2_T3_T4_T5_T6_T7_T8_mmmPKNSG_IJT9_bEEE.has_recursion, 0
	.set _ZN7rocprim6detail25device_scan_by_key_kernelILNS0_25lookback_scan_determinismE0ELb1ENS0_26wrapped_scan_by_key_configINS_14default_configEiyEEPiN6hipcub22TransformInputIteratorIyNS7_6CastOpIyEEPylEESB_yNS7_8EqualityENS7_3SumENS0_19lookback_scan_stateINS_5tupleIJybEEELb1ELb0EEEyEEvT2_T3_T4_T5_T6_T7_T8_mmmPKNSG_IJT9_bEEE.has_indirect_call, 0
	.section	.AMDGPU.csdata,"",@progbits
; Kernel info:
; codeLenInByte = 4
; TotalNumSgprs: 4
; NumVgprs: 0
; ScratchSize: 0
; MemoryBound: 0
; FloatMode: 240
; IeeeMode: 1
; LDSByteSize: 0 bytes/workgroup (compile time only)
; SGPRBlocks: 0
; VGPRBlocks: 0
; NumSGPRsForWavesPerEU: 4
; NumVGPRsForWavesPerEU: 1
; Occupancy: 10
; WaveLimiterHint : 0
; COMPUTE_PGM_RSRC2:SCRATCH_EN: 0
; COMPUTE_PGM_RSRC2:USER_SGPR: 6
; COMPUTE_PGM_RSRC2:TRAP_HANDLER: 0
; COMPUTE_PGM_RSRC2:TGID_X_EN: 1
; COMPUTE_PGM_RSRC2:TGID_Y_EN: 0
; COMPUTE_PGM_RSRC2:TGID_Z_EN: 0
; COMPUTE_PGM_RSRC2:TIDIG_COMP_CNT: 0
	.section	.text._ZN7rocprim6detail25device_scan_by_key_kernelILNS0_25lookback_scan_determinismE0ELb1ENS0_26wrapped_scan_by_key_configINS_14default_configEiyEEPiN6hipcub22TransformInputIteratorIyNS7_6CastOpIyEEPylEESB_yNS7_8EqualityENS7_3SumENS0_19lookback_scan_stateINS_5tupleIJybEEELb0ELb0EEEyEEvT2_T3_T4_T5_T6_T7_T8_mmmPKNSG_IJT9_bEEE,"axG",@progbits,_ZN7rocprim6detail25device_scan_by_key_kernelILNS0_25lookback_scan_determinismE0ELb1ENS0_26wrapped_scan_by_key_configINS_14default_configEiyEEPiN6hipcub22TransformInputIteratorIyNS7_6CastOpIyEEPylEESB_yNS7_8EqualityENS7_3SumENS0_19lookback_scan_stateINS_5tupleIJybEEELb0ELb0EEEyEEvT2_T3_T4_T5_T6_T7_T8_mmmPKNSG_IJT9_bEEE,comdat
	.protected	_ZN7rocprim6detail25device_scan_by_key_kernelILNS0_25lookback_scan_determinismE0ELb1ENS0_26wrapped_scan_by_key_configINS_14default_configEiyEEPiN6hipcub22TransformInputIteratorIyNS7_6CastOpIyEEPylEESB_yNS7_8EqualityENS7_3SumENS0_19lookback_scan_stateINS_5tupleIJybEEELb0ELb0EEEyEEvT2_T3_T4_T5_T6_T7_T8_mmmPKNSG_IJT9_bEEE ; -- Begin function _ZN7rocprim6detail25device_scan_by_key_kernelILNS0_25lookback_scan_determinismE0ELb1ENS0_26wrapped_scan_by_key_configINS_14default_configEiyEEPiN6hipcub22TransformInputIteratorIyNS7_6CastOpIyEEPylEESB_yNS7_8EqualityENS7_3SumENS0_19lookback_scan_stateINS_5tupleIJybEEELb0ELb0EEEyEEvT2_T3_T4_T5_T6_T7_T8_mmmPKNSG_IJT9_bEEE
	.globl	_ZN7rocprim6detail25device_scan_by_key_kernelILNS0_25lookback_scan_determinismE0ELb1ENS0_26wrapped_scan_by_key_configINS_14default_configEiyEEPiN6hipcub22TransformInputIteratorIyNS7_6CastOpIyEEPylEESB_yNS7_8EqualityENS7_3SumENS0_19lookback_scan_stateINS_5tupleIJybEEELb0ELb0EEEyEEvT2_T3_T4_T5_T6_T7_T8_mmmPKNSG_IJT9_bEEE
	.p2align	8
	.type	_ZN7rocprim6detail25device_scan_by_key_kernelILNS0_25lookback_scan_determinismE0ELb1ENS0_26wrapped_scan_by_key_configINS_14default_configEiyEEPiN6hipcub22TransformInputIteratorIyNS7_6CastOpIyEEPylEESB_yNS7_8EqualityENS7_3SumENS0_19lookback_scan_stateINS_5tupleIJybEEELb0ELb0EEEyEEvT2_T3_T4_T5_T6_T7_T8_mmmPKNSG_IJT9_bEEE,@function
_ZN7rocprim6detail25device_scan_by_key_kernelILNS0_25lookback_scan_determinismE0ELb1ENS0_26wrapped_scan_by_key_configINS_14default_configEiyEEPiN6hipcub22TransformInputIteratorIyNS7_6CastOpIyEEPylEESB_yNS7_8EqualityENS7_3SumENS0_19lookback_scan_stateINS_5tupleIJybEEELb0ELb0EEEyEEvT2_T3_T4_T5_T6_T7_T8_mmmPKNSG_IJT9_bEEE: ; @_ZN7rocprim6detail25device_scan_by_key_kernelILNS0_25lookback_scan_determinismE0ELb1ENS0_26wrapped_scan_by_key_configINS_14default_configEiyEEPiN6hipcub22TransformInputIteratorIyNS7_6CastOpIyEEPylEESB_yNS7_8EqualityENS7_3SumENS0_19lookback_scan_stateINS_5tupleIJybEEELb0ELb0EEEyEEvT2_T3_T4_T5_T6_T7_T8_mmmPKNSG_IJT9_bEEE
; %bb.0:
	s_load_dwordx4 s[0:3], s[4:5], 0x0
	s_load_dwordx4 s[44:47], s[4:5], 0x18
	s_load_dwordx8 s[36:43], s[4:5], 0x30
	s_load_dwordx2 s[50:51], s[4:5], 0x60
	s_load_dwordx4 s[8:11], s[4:5], 0x50
	s_mul_i32 s4, s6, 0x3c0
	s_mov_b32 s5, 0
	s_lshl_b64 s[12:13], s[4:5], 2
	s_waitcnt lgkmcnt(0)
	s_add_u32 s54, s0, s12
	s_addc_u32 s55, s1, s13
	s_lshl_b64 s[48:49], s[4:5], 3
	s_add_u32 s52, s2, s48
	s_addc_u32 s53, s3, s49
	s_add_u32 s0, s8, s6
	s_addc_u32 s1, s9, 0
	s_add_u32 s2, s10, -1
	s_addc_u32 s3, s11, -1
	v_mov_b32_e32 v1, s2
	v_mov_b32_e32 v2, s3
	v_cmp_ge_u64_e64 s[0:1], s[0:1], v[1:2]
	s_mov_b64 s[56:57], -1
	s_and_b64 vcc, exec, s[0:1]
	s_mul_i32 s33, s2, 0xfffffc40
	v_lshlrev_b32_e32 v78, 2, v0
	s_cbranch_vccz .LBB113_47
; %bb.1:
	s_load_dword s34, s[54:55], 0x0
	v_mov_b32_e32 v2, s55
	v_add_co_u32_e32 v1, vcc, s54, v78
	s_add_i32 s7, s33, s42
	v_addc_co_u32_e32 v2, vcc, 0, v2, vcc
	v_cmp_gt_u32_e32 vcc, s7, v0
	s_waitcnt lgkmcnt(0)
	v_mov_b32_e32 v3, s34
	s_and_saveexec_b64 s[2:3], vcc
	s_cbranch_execz .LBB113_3
; %bb.2:
	global_load_dword v3, v[1:2], off
.LBB113_3:
	s_or_b64 exec, exec, s[2:3]
	v_or_b32_e32 v4, 64, v0
	v_cmp_gt_u32_e64 s[2:3], s7, v4
	v_mov_b32_e32 v4, s34
	s_and_saveexec_b64 s[4:5], s[2:3]
	s_cbranch_execz .LBB113_5
; %bb.4:
	global_load_dword v4, v[1:2], off offset:256
.LBB113_5:
	s_or_b64 exec, exec, s[4:5]
	v_or_b32_e32 v5, 0x80, v0
	v_cmp_gt_u32_e64 s[30:31], s7, v5
	v_mov_b32_e32 v5, s34
	s_and_saveexec_b64 s[4:5], s[30:31]
	s_cbranch_execz .LBB113_7
; %bb.6:
	global_load_dword v5, v[1:2], off offset:512
.LBB113_7:
	;; [unrolled: 9-line block ×14, first 2 shown]
	s_or_b64 exec, exec, s[34:35]
	v_mad_u32_u24 v1, v0, 56, v78
	s_waitcnt vmcnt(0)
	ds_write2st64_b32 v78, v3, v4 offset1:1
	ds_write2st64_b32 v78, v5, v6 offset0:2 offset1:3
	ds_write2st64_b32 v78, v7, v8 offset0:4 offset1:5
	;; [unrolled: 1-line block ×6, first 2 shown]
	ds_write_b32 v78, v17 offset:3584
	s_waitcnt lgkmcnt(0)
	; wave barrier
	ds_read_b32 v102, v1
	ds_read2_b32 v[69:70], v1 offset0:1 offset1:2
	ds_read2_b32 v[67:68], v1 offset0:3 offset1:4
	;; [unrolled: 1-line block ×7, first 2 shown]
	s_load_dword s43, s[54:55], 0x0
	s_movk_i32 s34, 0xffc8
	v_mad_i32_i24 v33, v0, s34, v1
	v_cmp_ne_u32_e64 s[34:35], 63, v0
	s_waitcnt lgkmcnt(0)
	ds_write_b32 v33, v102 offset:4096
	v_mov_b32_e32 v97, s43
	s_waitcnt lgkmcnt(0)
	; wave barrier
	s_and_saveexec_b64 s[56:57], s[34:35]
; %bb.32:
	ds_read_b32 v97, v33 offset:4100
; %bb.33:
	s_or_b64 exec, exec, s[56:57]
	v_lshlrev_b32_e32 v1, 3, v0
	v_mov_b32_e32 v2, s53
	v_add_co_u32_e64 v3, s[34:35], s52, v1
	v_addc_co_u32_e64 v4, s[34:35], 0, v2, s[34:35]
	s_waitcnt lgkmcnt(0)
	; wave barrier
                                        ; implicit-def: $vgpr1_vgpr2
	s_and_saveexec_b64 s[34:35], vcc
	s_cbranch_execz .LBB113_48
; %bb.34:
	global_load_dwordx2 v[1:2], v[3:4], off
	s_or_b64 exec, exec, s[34:35]
                                        ; implicit-def: $vgpr5_vgpr6
	s_and_saveexec_b64 s[34:35], s[2:3]
	s_cbranch_execnz .LBB113_49
.LBB113_35:
	s_or_b64 exec, exec, s[34:35]
                                        ; implicit-def: $vgpr7_vgpr8
	s_and_saveexec_b64 s[2:3], s[30:31]
	s_cbranch_execz .LBB113_50
.LBB113_36:
	global_load_dwordx2 v[7:8], v[3:4], off offset:1024
	s_or_b64 exec, exec, s[2:3]
                                        ; implicit-def: $vgpr9_vgpr10
	s_and_saveexec_b64 s[2:3], s[8:9]
	s_cbranch_execnz .LBB113_51
.LBB113_37:
	s_or_b64 exec, exec, s[2:3]
                                        ; implicit-def: $vgpr11_vgpr12
	s_and_saveexec_b64 s[2:3], s[12:13]
	s_cbranch_execz .LBB113_52
.LBB113_38:
	global_load_dwordx2 v[11:12], v[3:4], off offset:2048
	s_or_b64 exec, exec, s[2:3]
                                        ; implicit-def: $vgpr13_vgpr14
	s_and_saveexec_b64 s[2:3], s[16:17]
	s_cbranch_execnz .LBB113_53
.LBB113_39:
	s_or_b64 exec, exec, s[2:3]
                                        ; implicit-def: $vgpr15_vgpr16
	s_and_saveexec_b64 s[2:3], s[20:21]
	s_cbranch_execz .LBB113_54
.LBB113_40:
	global_load_dwordx2 v[15:16], v[3:4], off offset:3072
	s_or_b64 exec, exec, s[2:3]
                                        ; implicit-def: $vgpr17_vgpr18
	s_and_saveexec_b64 s[2:3], s[24:25]
	s_cbranch_execnz .LBB113_55
.LBB113_41:
	s_or_b64 exec, exec, s[2:3]
                                        ; implicit-def: $vgpr19_vgpr20
	s_and_saveexec_b64 s[2:3], s[28:29]
	s_cbranch_execz .LBB113_56
.LBB113_42:
	v_add_co_u32_e32 v19, vcc, 0x1000, v3
	v_addc_co_u32_e32 v20, vcc, 0, v4, vcc
	global_load_dwordx2 v[19:20], v[19:20], off
	s_or_b64 exec, exec, s[2:3]
                                        ; implicit-def: $vgpr21_vgpr22
	s_and_saveexec_b64 s[2:3], s[26:27]
	s_cbranch_execnz .LBB113_57
.LBB113_43:
	s_or_b64 exec, exec, s[2:3]
                                        ; implicit-def: $vgpr23_vgpr24
	s_and_saveexec_b64 s[2:3], s[22:23]
	s_cbranch_execz .LBB113_58
.LBB113_44:
	v_add_co_u32_e32 v23, vcc, 0x1000, v3
	v_addc_co_u32_e32 v24, vcc, 0, v4, vcc
	global_load_dwordx2 v[23:24], v[23:24], off offset:1024
	s_or_b64 exec, exec, s[2:3]
                                        ; implicit-def: $vgpr25_vgpr26
	s_and_saveexec_b64 s[2:3], s[18:19]
	s_cbranch_execnz .LBB113_59
.LBB113_45:
	s_or_b64 exec, exec, s[2:3]
                                        ; implicit-def: $vgpr27_vgpr28
	s_and_saveexec_b64 s[2:3], s[14:15]
	s_cbranch_execz .LBB113_60
.LBB113_46:
	v_add_co_u32_e32 v27, vcc, 0x1000, v3
	v_addc_co_u32_e32 v28, vcc, 0, v4, vcc
	global_load_dwordx2 v[27:28], v[27:28], off offset:2048
	s_or_b64 exec, exec, s[2:3]
                                        ; implicit-def: $vgpr29_vgpr30
	s_and_saveexec_b64 s[2:3], s[10:11]
	s_cbranch_execz .LBB113_62
	s_branch .LBB113_61
.LBB113_47:
	s_mov_b64 s[2:3], 0
                                        ; implicit-def: $sgpr34_sgpr35
                                        ; implicit-def: $vgpr29_vgpr30
                                        ; implicit-def: $vgpr85
                                        ; implicit-def: $vgpr39_vgpr40
                                        ; implicit-def: $vgpr86
                                        ; implicit-def: $vgpr49_vgpr50
                                        ; implicit-def: $vgpr88
                                        ; implicit-def: $vgpr55_vgpr56
                                        ; implicit-def: $vgpr89
                                        ; implicit-def: $vgpr53_vgpr54
                                        ; implicit-def: $vgpr90
                                        ; implicit-def: $vgpr51_vgpr52
                                        ; implicit-def: $vgpr91
                                        ; implicit-def: $vgpr47_vgpr48
                                        ; implicit-def: $vgpr92
                                        ; implicit-def: $vgpr45_vgpr46
                                        ; implicit-def: $vgpr93
                                        ; implicit-def: $vgpr43_vgpr44
                                        ; implicit-def: $vgpr94
                                        ; implicit-def: $vgpr41_vgpr42
                                        ; implicit-def: $vgpr95
                                        ; implicit-def: $vgpr37_vgpr38
                                        ; implicit-def: $vgpr96
                                        ; implicit-def: $vgpr35_vgpr36
                                        ; implicit-def: $vgpr98
                                        ; implicit-def: $vgpr33_vgpr34
                                        ; implicit-def: $vgpr99
                                        ; implicit-def: $vgpr31_vgpr32
                                        ; implicit-def: $vgpr101
                                        ; implicit-def: $vgpr11_vgpr12
                                        ; implicit-def: $vgpr72
                                        ; implicit-def: $vgpr1_vgpr2
                                        ; implicit-def: $vgpr71
                                        ; implicit-def: $vgpr5_vgpr6
                                        ; implicit-def: $vgpr73
                                        ; implicit-def: $vgpr7_vgpr8
                                        ; implicit-def: $vgpr74
                                        ; implicit-def: $vgpr9_vgpr10
                                        ; implicit-def: $vgpr75
                                        ; implicit-def: $vgpr13_vgpr14
                                        ; implicit-def: $vgpr76
                                        ; implicit-def: $vgpr15_vgpr16
                                        ; implicit-def: $vgpr77
                                        ; implicit-def: $vgpr17_vgpr18
                                        ; implicit-def: $vgpr79
                                        ; implicit-def: $vgpr19_vgpr20
                                        ; implicit-def: $vgpr80
                                        ; implicit-def: $vgpr21_vgpr22
                                        ; implicit-def: $vgpr81
                                        ; implicit-def: $vgpr23_vgpr24
                                        ; implicit-def: $vgpr82
                                        ; implicit-def: $vgpr25_vgpr26
                                        ; implicit-def: $vgpr84
                                        ; implicit-def: $vgpr27_vgpr28
                                        ; implicit-def: $vgpr87
                                        ; implicit-def: $vgpr3_vgpr4
                                        ; implicit-def: $vgpr83
	s_and_b64 vcc, exec, s[56:57]
	s_cbranch_vccz .LBB113_100
	s_branch .LBB113_95
.LBB113_48:
	s_or_b64 exec, exec, s[34:35]
                                        ; implicit-def: $vgpr5_vgpr6
	s_and_saveexec_b64 s[34:35], s[2:3]
	s_cbranch_execz .LBB113_35
.LBB113_49:
	global_load_dwordx2 v[5:6], v[3:4], off offset:512
	s_or_b64 exec, exec, s[34:35]
                                        ; implicit-def: $vgpr7_vgpr8
	s_and_saveexec_b64 s[2:3], s[30:31]
	s_cbranch_execnz .LBB113_36
.LBB113_50:
	s_or_b64 exec, exec, s[2:3]
                                        ; implicit-def: $vgpr9_vgpr10
	s_and_saveexec_b64 s[2:3], s[8:9]
	s_cbranch_execz .LBB113_37
.LBB113_51:
	global_load_dwordx2 v[9:10], v[3:4], off offset:1536
	s_or_b64 exec, exec, s[2:3]
                                        ; implicit-def: $vgpr11_vgpr12
	s_and_saveexec_b64 s[2:3], s[12:13]
	s_cbranch_execnz .LBB113_38
.LBB113_52:
	s_or_b64 exec, exec, s[2:3]
                                        ; implicit-def: $vgpr13_vgpr14
	s_and_saveexec_b64 s[2:3], s[16:17]
	s_cbranch_execz .LBB113_39
.LBB113_53:
	global_load_dwordx2 v[13:14], v[3:4], off offset:2560
	s_or_b64 exec, exec, s[2:3]
                                        ; implicit-def: $vgpr15_vgpr16
	s_and_saveexec_b64 s[2:3], s[20:21]
	s_cbranch_execnz .LBB113_40
.LBB113_54:
	s_or_b64 exec, exec, s[2:3]
                                        ; implicit-def: $vgpr17_vgpr18
	s_and_saveexec_b64 s[2:3], s[24:25]
	s_cbranch_execz .LBB113_41
.LBB113_55:
	global_load_dwordx2 v[17:18], v[3:4], off offset:3584
	s_or_b64 exec, exec, s[2:3]
                                        ; implicit-def: $vgpr19_vgpr20
	s_and_saveexec_b64 s[2:3], s[28:29]
	s_cbranch_execnz .LBB113_42
.LBB113_56:
	s_or_b64 exec, exec, s[2:3]
                                        ; implicit-def: $vgpr21_vgpr22
	s_and_saveexec_b64 s[2:3], s[26:27]
	s_cbranch_execz .LBB113_43
.LBB113_57:
	v_add_co_u32_e32 v21, vcc, 0x1000, v3
	v_addc_co_u32_e32 v22, vcc, 0, v4, vcc
	global_load_dwordx2 v[21:22], v[21:22], off offset:512
	s_or_b64 exec, exec, s[2:3]
                                        ; implicit-def: $vgpr23_vgpr24
	s_and_saveexec_b64 s[2:3], s[22:23]
	s_cbranch_execnz .LBB113_44
.LBB113_58:
	s_or_b64 exec, exec, s[2:3]
                                        ; implicit-def: $vgpr25_vgpr26
	s_and_saveexec_b64 s[2:3], s[18:19]
	s_cbranch_execz .LBB113_45
.LBB113_59:
	v_add_co_u32_e32 v25, vcc, 0x1000, v3
	v_addc_co_u32_e32 v26, vcc, 0, v4, vcc
	global_load_dwordx2 v[25:26], v[25:26], off offset:1536
	s_or_b64 exec, exec, s[2:3]
                                        ; implicit-def: $vgpr27_vgpr28
	s_and_saveexec_b64 s[2:3], s[14:15]
	s_cbranch_execnz .LBB113_46
.LBB113_60:
	s_or_b64 exec, exec, s[2:3]
                                        ; implicit-def: $vgpr29_vgpr30
	s_and_saveexec_b64 s[2:3], s[10:11]
	s_cbranch_execz .LBB113_62
.LBB113_61:
	v_add_co_u32_e32 v29, vcc, 0x1000, v3
	v_addc_co_u32_e32 v30, vcc, 0, v4, vcc
	global_load_dwordx2 v[29:30], v[29:30], off offset:2560
.LBB113_62:
	s_or_b64 exec, exec, s[2:3]
	v_mul_u32_u24_e32 v100, 15, v0
                                        ; implicit-def: $vgpr31_vgpr32
	s_and_saveexec_b64 s[2:3], s[4:5]
	s_cbranch_execz .LBB113_64
; %bb.63:
	v_add_co_u32_e32 v3, vcc, 0x1000, v3
	v_addc_co_u32_e32 v4, vcc, 0, v4, vcc
	global_load_dwordx2 v[31:32], v[3:4], off offset:3072
.LBB113_64:
	s_or_b64 exec, exec, s[2:3]
	v_lshl_add_u32 v103, v0, 2, v33
	s_waitcnt vmcnt(0)
	ds_write2st64_b64 v103, v[1:2], v[5:6] offset1:1
	ds_write2st64_b64 v103, v[7:8], v[9:10] offset0:2 offset1:3
	ds_write2st64_b64 v103, v[11:12], v[13:14] offset0:4 offset1:5
	;; [unrolled: 1-line block ×6, first 2 shown]
	ds_write_b64 v103, v[31:32] offset:7168
	v_mov_b32_e32 v29, 0
	v_mov_b32_e32 v39, 0
	;; [unrolled: 1-line block ×28, first 2 shown]
	v_cmp_gt_u32_e32 vcc, s7, v100
	s_mov_b64 s[56:57], 0
	v_mov_b32_e32 v85, 0
	v_mov_b32_e32 v30, 0
	s_mov_b64 s[2:3], 0
	v_mov_b32_e32 v40, 0
	v_mov_b32_e32 v86, 0
	;; [unrolled: 1-line block ×54, first 2 shown]
	s_waitcnt lgkmcnt(0)
	; wave barrier
                                        ; implicit-def: $sgpr34_sgpr35
	s_and_saveexec_b64 s[58:59], vcc
	s_cbranch_execz .LBB113_94
; %bb.65:
	s_movk_i32 s2, 0x70
	v_mad_u32_u24 v1, v0, s2, v103
	ds_read_b64 v[1:2], v1
	v_mov_b32_e32 v4, s46
	v_cmp_ne_u32_e32 vcc, v102, v69
	v_mov_b32_e32 v3, s47
	v_mov_b32_e32 v39, 0
	s_waitcnt lgkmcnt(0)
	v_cndmask_b32_e32 v29, v1, v4, vcc
	v_add_u32_e32 v1, 1, v100
	v_cndmask_b32_e32 v30, v2, v3, vcc
	v_cmp_gt_u32_e64 s[2:3], s7, v1
	v_mov_b32_e32 v49, 0
	v_mov_b32_e32 v55, 0
	;; [unrolled: 1-line block ×26, first 2 shown]
	s_mov_b64 s[4:5], 0
	v_mov_b32_e32 v40, 0
	v_mov_b32_e32 v85, 0
	;; [unrolled: 1-line block ×53, first 2 shown]
                                        ; implicit-def: $sgpr34_sgpr35
	s_and_saveexec_b64 s[60:61], s[2:3]
	s_cbranch_execz .LBB113_93
; %bb.66:
	v_mul_u32_u24_e32 v1, 0x70, v0
	v_add_u32_e32 v83, v103, v1
	ds_read2_b64 v[1:4], v83 offset0:1 offset1:2
	v_mov_b32_e32 v6, s46
	v_cmp_ne_u32_e64 s[2:3], v69, v70
	v_mov_b32_e32 v5, s47
	v_mov_b32_e32 v39, 0
	s_waitcnt lgkmcnt(0)
	v_cndmask_b32_e64 v31, v1, v6, s[2:3]
	v_add_u32_e32 v1, 2, v100
	v_cndmask_b32_e64 v32, v2, v5, s[2:3]
	v_cmp_gt_u32_e64 s[4:5], s7, v1
	v_mov_b32_e32 v49, 0
	v_mov_b32_e32 v55, 0
	;; [unrolled: 1-line block ×24, first 2 shown]
	s_mov_b64 s[8:9], 0
	v_mov_b32_e32 v40, 0
	v_mov_b32_e32 v85, 0
	;; [unrolled: 1-line block ×49, first 2 shown]
                                        ; implicit-def: $sgpr34_sgpr35
	s_and_saveexec_b64 s[62:63], s[4:5]
	s_cbranch_execz .LBB113_92
; %bb.67:
	v_mov_b32_e32 v1, s47
	v_cmp_ne_u32_e64 s[4:5], v70, v67
	v_cndmask_b32_e64 v34, v4, v1, s[4:5]
	v_mov_b32_e32 v1, s46
	v_cndmask_b32_e64 v33, v3, v1, s[4:5]
	v_add_u32_e32 v1, 3, v100
	v_cmp_gt_u32_e64 s[8:9], s7, v1
	v_mov_b32_e32 v39, 0
	v_mov_b32_e32 v49, 0
	;; [unrolled: 1-line block ×23, first 2 shown]
	s_mov_b64 s[10:11], 0
	v_mov_b32_e32 v40, 0
	v_mov_b32_e32 v85, 0
	;; [unrolled: 1-line block ×45, first 2 shown]
                                        ; implicit-def: $sgpr34_sgpr35
	s_and_saveexec_b64 s[64:65], s[8:9]
	s_cbranch_execz .LBB113_91
; %bb.68:
	ds_read2_b64 v[1:4], v83 offset0:3 offset1:4
	v_mov_b32_e32 v6, s46
	v_cmp_ne_u32_e64 s[28:29], v67, v68
	v_mov_b32_e32 v5, s47
	v_mov_b32_e32 v39, 0
	s_waitcnt lgkmcnt(0)
	v_cndmask_b32_e64 v35, v1, v6, s[28:29]
	v_add_u32_e32 v1, 4, v100
	v_cndmask_b32_e64 v36, v2, v5, s[28:29]
	v_cmp_gt_u32_e64 s[8:9], s7, v1
	v_mov_b32_e32 v49, 0
	v_mov_b32_e32 v55, 0
	;; [unrolled: 1-line block ×61, first 2 shown]
                                        ; implicit-def: $sgpr34_sgpr35
	s_and_saveexec_b64 s[66:67], s[8:9]
	s_cbranch_execz .LBB113_90
; %bb.69:
	v_mov_b32_e32 v1, s47
	v_cmp_ne_u32_e64 s[8:9], v68, v65
	v_cndmask_b32_e64 v38, v4, v1, s[8:9]
	v_mov_b32_e32 v1, s46
	v_cndmask_b32_e64 v37, v3, v1, s[8:9]
	v_add_u32_e32 v1, 5, v100
	v_cmp_gt_u32_e64 s[10:11], s7, v1
	v_mov_b32_e32 v39, 0
	v_mov_b32_e32 v49, 0
	v_mov_b32_e32 v55, 0
	v_mov_b32_e32 v53, 0
	v_mov_b32_e32 v51, 0
	v_mov_b32_e32 v47, 0
	v_mov_b32_e32 v45, 0
	v_mov_b32_e32 v43, 0
	v_mov_b32_e32 v41, 0
	v_mov_b32_e32 v11, 0
	v_mov_b32_e32 v1, 0
	v_mov_b32_e32 v5, 0
	v_mov_b32_e32 v7, 0
	v_mov_b32_e32 v9, 0
	v_mov_b32_e32 v13, 0
	v_mov_b32_e32 v15, 0
	v_mov_b32_e32 v17, 0
	v_mov_b32_e32 v19, 0
	v_mov_b32_e32 v21, 0
	s_mov_b64 s[12:13], 0
	v_mov_b32_e32 v40, 0
	v_mov_b32_e32 v85, 0
	;; [unrolled: 1-line block ×37, first 2 shown]
                                        ; implicit-def: $sgpr34_sgpr35
	s_and_saveexec_b64 s[68:69], s[10:11]
	s_cbranch_execz .LBB113_89
; %bb.70:
	ds_read2_b64 v[1:4], v83 offset0:5 offset1:6
	v_mov_b32_e32 v6, s46
	v_cmp_ne_u32_e64 s[10:11], v65, v66
	v_mov_b32_e32 v5, s47
	v_mov_b32_e32 v39, 0
	s_waitcnt lgkmcnt(0)
	v_cndmask_b32_e64 v41, v1, v6, s[10:11]
	v_add_u32_e32 v1, 6, v100
	v_cndmask_b32_e64 v42, v2, v5, s[10:11]
	v_cmp_gt_u32_e64 s[12:13], s7, v1
	v_mov_b32_e32 v49, 0
	v_mov_b32_e32 v55, 0
	;; [unrolled: 1-line block ×16, first 2 shown]
	s_mov_b64 s[14:15], 0
	v_mov_b32_e32 v40, 0
	v_mov_b32_e32 v85, 0
	;; [unrolled: 1-line block ×33, first 2 shown]
                                        ; implicit-def: $sgpr34_sgpr35
	s_and_saveexec_b64 s[70:71], s[12:13]
	s_cbranch_execz .LBB113_88
; %bb.71:
	v_mov_b32_e32 v1, s47
	v_cmp_ne_u32_e64 s[12:13], v66, v63
	v_cndmask_b32_e64 v44, v4, v1, s[12:13]
	v_mov_b32_e32 v1, s46
	v_cndmask_b32_e64 v43, v3, v1, s[12:13]
	v_add_u32_e32 v1, 7, v100
	v_cmp_gt_u32_e64 s[14:15], s7, v1
	v_mov_b32_e32 v39, 0
	v_mov_b32_e32 v49, 0
	;; [unrolled: 1-line block ×15, first 2 shown]
	s_mov_b64 s[16:17], 0
	v_mov_b32_e32 v40, 0
	v_mov_b32_e32 v85, 0
	;; [unrolled: 1-line block ×29, first 2 shown]
                                        ; implicit-def: $sgpr34_sgpr35
	s_and_saveexec_b64 s[72:73], s[14:15]
	s_cbranch_execz .LBB113_87
; %bb.72:
	ds_read2_b64 v[1:4], v83 offset0:7 offset1:8
	v_mov_b32_e32 v6, s46
	v_cmp_ne_u32_e64 s[14:15], v63, v64
	v_mov_b32_e32 v5, s47
	v_mov_b32_e32 v39, 0
	s_waitcnt lgkmcnt(0)
	v_cndmask_b32_e64 v45, v1, v6, s[14:15]
	v_add_u32_e32 v1, 8, v100
	v_cndmask_b32_e64 v46, v2, v5, s[14:15]
	v_cmp_gt_u32_e64 s[16:17], s7, v1
	v_mov_b32_e32 v49, 0
	v_mov_b32_e32 v55, 0
	;; [unrolled: 1-line block ×12, first 2 shown]
	s_mov_b64 s[18:19], 0
	v_mov_b32_e32 v40, 0
	v_mov_b32_e32 v85, 0
	;; [unrolled: 1-line block ×25, first 2 shown]
                                        ; implicit-def: $sgpr34_sgpr35
	s_and_saveexec_b64 s[74:75], s[16:17]
	s_cbranch_execz .LBB113_86
; %bb.73:
	v_mov_b32_e32 v1, s47
	v_cmp_ne_u32_e64 s[16:17], v64, v61
	v_cndmask_b32_e64 v48, v4, v1, s[16:17]
	v_mov_b32_e32 v1, s46
	v_cndmask_b32_e64 v47, v3, v1, s[16:17]
	v_add_u32_e32 v1, 9, v100
	v_cmp_gt_u32_e64 s[18:19], s7, v1
	v_mov_b32_e32 v39, 0
	v_mov_b32_e32 v49, 0
	;; [unrolled: 1-line block ×11, first 2 shown]
	s_mov_b64 s[20:21], 0
	v_mov_b32_e32 v40, 0
	v_mov_b32_e32 v85, 0
	;; [unrolled: 1-line block ×21, first 2 shown]
                                        ; implicit-def: $sgpr34_sgpr35
	s_and_saveexec_b64 s[76:77], s[18:19]
	s_cbranch_execz .LBB113_85
; %bb.74:
	ds_read2_b64 v[1:4], v83 offset0:9 offset1:10
	v_mov_b32_e32 v6, s46
	v_cmp_ne_u32_e64 s[18:19], v61, v62
	v_mov_b32_e32 v5, s47
	v_mov_b32_e32 v39, 0
	s_waitcnt lgkmcnt(0)
	v_cndmask_b32_e64 v51, v1, v6, s[18:19]
	v_add_u32_e32 v1, 10, v100
	v_cndmask_b32_e64 v52, v2, v5, s[18:19]
	v_cmp_gt_u32_e64 s[20:21], s7, v1
	v_mov_b32_e32 v49, 0
	v_mov_b32_e32 v55, 0
	;; [unrolled: 1-line block ×8, first 2 shown]
	s_mov_b64 s[22:23], 0
	v_mov_b32_e32 v40, 0
	v_mov_b32_e32 v85, 0
	;; [unrolled: 1-line block ×17, first 2 shown]
                                        ; implicit-def: $sgpr34_sgpr35
	s_and_saveexec_b64 s[78:79], s[20:21]
	s_cbranch_execz .LBB113_84
; %bb.75:
	v_mov_b32_e32 v1, s47
	v_cmp_ne_u32_e64 s[20:21], v62, v59
	v_cndmask_b32_e64 v54, v4, v1, s[20:21]
	v_mov_b32_e32 v1, s46
	v_cndmask_b32_e64 v53, v3, v1, s[20:21]
	v_add_u32_e32 v1, 11, v100
	v_cmp_gt_u32_e64 s[22:23], s7, v1
	v_mov_b32_e32 v39, 0
	v_mov_b32_e32 v49, 0
	;; [unrolled: 1-line block ×7, first 2 shown]
	s_mov_b64 s[24:25], 0
	v_mov_b32_e32 v40, 0
	v_mov_b32_e32 v85, 0
	;; [unrolled: 1-line block ×13, first 2 shown]
                                        ; implicit-def: $sgpr34_sgpr35
	s_and_saveexec_b64 s[80:81], s[22:23]
	s_cbranch_execz .LBB113_83
; %bb.76:
	ds_read2_b64 v[1:4], v83 offset0:11 offset1:12
	v_mov_b32_e32 v5, s47
	v_mov_b32_e32 v6, s46
	v_cmp_ne_u32_e64 s[22:23], v59, v60
	v_mov_b32_e32 v39, 0
	s_waitcnt lgkmcnt(0)
	v_cndmask_b32_e64 v56, v2, v5, s[22:23]
	v_cndmask_b32_e64 v55, v1, v6, s[22:23]
	v_add_u32_e32 v1, 12, v100
	v_mov_b32_e32 v49, 0
	v_mov_b32_e32 v11, 0
	;; [unrolled: 1-line block ×3, first 2 shown]
	v_cmp_gt_u32_e64 s[24:25], s7, v1
	s_mov_b64 s[26:27], 0
	v_mov_b32_e32 v40, 0
	v_mov_b32_e32 v85, 0
	;; [unrolled: 1-line block ×7, first 2 shown]
                                        ; implicit-def: $sgpr34_sgpr35
	s_and_saveexec_b64 s[82:83], s[24:25]
	s_cbranch_execz .LBB113_82
; %bb.77:
	v_mov_b32_e32 v1, s47
	v_cmp_ne_u32_e64 s[24:25], v60, v57
	v_cndmask_b32_e64 v50, v4, v1, s[24:25]
	v_mov_b32_e32 v1, s46
	v_cndmask_b32_e64 v49, v3, v1, s[24:25]
	v_add_u32_e32 v1, 13, v100
	v_mov_b32_e32 v39, 0
	v_mov_b32_e32 v11, 0
	v_cmp_gt_u32_e64 s[26:27], s7, v1
	s_mov_b64 s[30:31], 0
	v_mov_b32_e32 v40, 0
	v_mov_b32_e32 v12, 0
	v_mov_b32_e32 v85, 0
                                        ; implicit-def: $sgpr34_sgpr35
	s_and_saveexec_b64 s[84:85], s[26:27]
	s_cbranch_execz .LBB113_81
; %bb.78:
	ds_read2_b64 v[1:4], v83 offset0:13 offset1:14
	v_mov_b32_e32 v6, s46
	v_cmp_ne_u32_e64 s[26:27], v57, v58
	v_mov_b32_e32 v5, s47
	v_mov_b32_e32 v11, 0
	s_waitcnt lgkmcnt(0)
	v_cndmask_b32_e64 v39, v1, v6, s[26:27]
	v_add_u32_e32 v1, 14, v100
	v_cndmask_b32_e64 v40, v2, v5, s[26:27]
	v_cmp_gt_u32_e64 s[30:31], s7, v1
	v_mov_b32_e32 v12, 0
	s_mov_b64 s[86:87], 0
                                        ; implicit-def: $sgpr34_sgpr35
	s_and_saveexec_b64 s[88:89], s[30:31]
	s_xor_b64 s[30:31], exec, s[88:89]
; %bb.79:
	v_mov_b32_e32 v1, s47
	v_cmp_ne_u32_e64 s[34:35], v58, v97
	v_cndmask_b32_e64 v12, v4, v1, s[34:35]
	v_mov_b32_e32 v1, s46
	s_mov_b64 s[86:87], exec
	v_cndmask_b32_e64 v11, v3, v1, s[34:35]
; %bb.80:
	s_or_b64 exec, exec, s[30:31]
	v_cndmask_b32_e64 v85, 0, 1, s[26:27]
	s_and_b64 s[30:31], s[86:87], exec
.LBB113_81:
	s_or_b64 exec, exec, s[84:85]
	v_cndmask_b32_e64 v86, 0, 1, s[24:25]
	v_mov_b32_e32 v5, v49
	s_and_b64 s[26:27], s[30:31], exec
	v_mov_b32_e32 v71, v86
	v_mov_b32_e32 v6, v50
.LBB113_82:
	s_or_b64 exec, exec, s[82:83]
	v_cndmask_b32_e64 v88, 0, 1, s[22:23]
	v_mov_b32_e32 v1, v39
	v_mov_b32_e32 v7, v55
	s_and_b64 s[24:25], s[26:27], exec
	v_mov_b32_e32 v72, v85
	v_mov_b32_e32 v2, v40
	;; [unrolled: 1-line block ×4, first 2 shown]
.LBB113_83:
	s_or_b64 exec, exec, s[80:81]
	v_cndmask_b32_e64 v89, 0, 1, s[20:21]
	v_mov_b32_e32 v9, v53
	s_and_b64 s[22:23], s[24:25], exec
	v_mov_b32_e32 v74, v89
	v_mov_b32_e32 v10, v54
.LBB113_84:
	s_or_b64 exec, exec, s[78:79]
	v_cndmask_b32_e64 v90, 0, 1, s[18:19]
	v_mov_b32_e32 v13, v51
	s_and_b64 s[20:21], s[22:23], exec
	v_mov_b32_e32 v75, v90
	v_mov_b32_e32 v14, v52
.LBB113_85:
	s_or_b64 exec, exec, s[76:77]
	v_cndmask_b32_e64 v91, 0, 1, s[16:17]
	v_mov_b32_e32 v15, v47
	s_and_b64 s[18:19], s[20:21], exec
	v_mov_b32_e32 v76, v91
	v_mov_b32_e32 v16, v48
.LBB113_86:
	s_or_b64 exec, exec, s[74:75]
	v_cndmask_b32_e64 v92, 0, 1, s[14:15]
	v_mov_b32_e32 v17, v45
	s_and_b64 s[16:17], s[18:19], exec
	v_mov_b32_e32 v77, v92
	v_mov_b32_e32 v18, v46
.LBB113_87:
	s_or_b64 exec, exec, s[72:73]
	v_cndmask_b32_e64 v93, 0, 1, s[12:13]
	v_mov_b32_e32 v19, v43
	s_and_b64 s[14:15], s[16:17], exec
	v_mov_b32_e32 v79, v93
	v_mov_b32_e32 v20, v44
.LBB113_88:
	s_or_b64 exec, exec, s[70:71]
	v_cndmask_b32_e64 v94, 0, 1, s[10:11]
	v_mov_b32_e32 v21, v41
	s_and_b64 s[12:13], s[14:15], exec
	v_mov_b32_e32 v80, v94
	v_mov_b32_e32 v22, v42
.LBB113_89:
	s_or_b64 exec, exec, s[68:69]
	v_cndmask_b32_e64 v95, 0, 1, s[8:9]
	v_mov_b32_e32 v23, v37
	s_and_b64 s[10:11], s[12:13], exec
	v_mov_b32_e32 v81, v95
	v_mov_b32_e32 v24, v38
.LBB113_90:
	s_or_b64 exec, exec, s[66:67]
	v_cndmask_b32_e64 v96, 0, 1, s[28:29]
	v_mov_b32_e32 v25, v35
	s_and_b64 s[10:11], s[10:11], exec
	v_mov_b32_e32 v82, v96
	v_mov_b32_e32 v26, v36
.LBB113_91:
	s_or_b64 exec, exec, s[64:65]
	v_cndmask_b32_e64 v98, 0, 1, s[4:5]
	v_mov_b32_e32 v27, v33
	s_and_b64 s[8:9], s[10:11], exec
	v_mov_b32_e32 v84, v98
	v_mov_b32_e32 v28, v34
.LBB113_92:
	s_or_b64 exec, exec, s[62:63]
	v_cndmask_b32_e64 v99, 0, 1, s[2:3]
	v_mov_b32_e32 v3, v31
	s_and_b64 s[4:5], s[8:9], exec
	v_mov_b32_e32 v87, v99
	v_mov_b32_e32 v4, v32
.LBB113_93:
	s_or_b64 exec, exec, s[60:61]
	v_cndmask_b32_e64 v101, 0, 1, vcc
	s_and_b64 s[2:3], s[4:5], exec
	v_mov_b32_e32 v83, v101
.LBB113_94:
	s_or_b64 exec, exec, s[58:59]
	s_and_b64 vcc, exec, s[56:57]
	s_cbranch_vccz .LBB113_100
.LBB113_95:
	global_load_dword v2, v78, s[54:55]
	global_load_dword v3, v78, s[54:55] offset:256
	global_load_dword v4, v78, s[54:55] offset:512
	;; [unrolled: 1-line block ×14, first 2 shown]
	v_mad_u32_u24 v17, v0, 56, v78
	s_movk_i32 s2, 0xffc8
	v_mad_i32_i24 v1, v0, s2, v17
	v_cmp_ne_u32_e32 vcc, 63, v0
	s_waitcnt vmcnt(13)
	ds_write2st64_b32 v78, v2, v3 offset1:1
	s_waitcnt vmcnt(11)
	ds_write2st64_b32 v78, v4, v5 offset0:2 offset1:3
	s_waitcnt vmcnt(9)
	ds_write2st64_b32 v78, v6, v7 offset0:4 offset1:5
	;; [unrolled: 2-line block ×6, first 2 shown]
	s_waitcnt vmcnt(0)
	ds_write_b32 v78, v16 offset:3584
	s_waitcnt lgkmcnt(0)
	; wave barrier
	ds_read_b32 v29, v17
	ds_read2_b32 v[41:42], v17 offset0:1 offset1:2
	ds_read2_b32 v[39:40], v17 offset0:3 offset1:4
	ds_read2_b32 v[37:38], v17 offset0:5 offset1:6
	s_load_dword s2, s[54:55], 0xf00
	ds_read2_b32 v[35:36], v17 offset0:7 offset1:8
	ds_read2_b32 v[33:34], v17 offset0:9 offset1:10
	;; [unrolled: 1-line block ×4, first 2 shown]
	s_waitcnt lgkmcnt(0)
	ds_write_b32 v1, v29 offset:4096
	s_waitcnt lgkmcnt(0)
	; wave barrier
	v_mov_b32_e32 v58, s2
	s_and_saveexec_b64 s[2:3], vcc
; %bb.96:
	ds_read_b32 v58, v1 offset:4100
; %bb.97:
	s_or_b64 exec, exec, s[2:3]
	v_lshlrev_b32_e32 v18, 3, v0
	v_mov_b32_e32 v2, s53
	v_add_co_u32_e32 v19, vcc, s52, v18
	v_addc_co_u32_e32 v20, vcc, 0, v2, vcc
	s_movk_i32 s2, 0x1000
	s_waitcnt lgkmcnt(0)
	; wave barrier
	global_load_dwordx2 v[2:3], v18, s[52:53]
	global_load_dwordx2 v[4:5], v18, s[52:53] offset:512
	global_load_dwordx2 v[6:7], v18, s[52:53] offset:1024
	;; [unrolled: 1-line block ×7, first 2 shown]
	v_add_co_u32_e32 v18, vcc, s2, v19
	v_addc_co_u32_e32 v19, vcc, 0, v20, vcc
	global_load_dwordx2 v[20:21], v[18:19], off
	global_load_dwordx2 v[22:23], v[18:19], off offset:512
	global_load_dwordx2 v[24:25], v[18:19], off offset:1024
	;; [unrolled: 1-line block ×6, first 2 shown]
	v_lshl_add_u32 v43, v0, 2, v1
	s_movk_i32 s2, 0x70
	v_mad_u32_u24 v1, v0, s2, v43
	v_cmp_ne_u32_e32 vcc, v29, v41
	v_cmp_eq_u32_e64 s[2:3], v29, v41
	v_mov_b32_e32 v29, s46
	v_mov_b32_e32 v30, s47
	s_waitcnt vmcnt(13)
	ds_write2st64_b64 v43, v[2:3], v[4:5] offset1:1
	s_waitcnt vmcnt(11)
	ds_write2st64_b64 v43, v[6:7], v[8:9] offset0:2 offset1:3
	s_waitcnt vmcnt(9)
	ds_write2st64_b64 v43, v[10:11], v[12:13] offset0:4 offset1:5
	;; [unrolled: 2-line block ×6, first 2 shown]
	s_waitcnt vmcnt(0)
	ds_write_b64 v43, v[48:49] offset:7168
	s_waitcnt lgkmcnt(0)
	; wave barrier
	ds_read2_b64 v[25:28], v1 offset0:1 offset1:2
	ds_read2_b64 v[21:24], v1 offset0:3 offset1:4
	;; [unrolled: 1-line block ×7, first 2 shown]
	s_and_saveexec_b64 s[4:5], s[2:3]
; %bb.98:
	v_mul_u32_u24_e32 v29, 0x70, v0
	v_add_u32_e32 v29, v43, v29
	ds_read_b64 v[29:30], v29
; %bb.99:
	s_or_b64 exec, exec, s[4:5]
	v_cndmask_b32_e64 v101, 0, 1, vcc
	v_cmp_ne_u32_e32 vcc, v41, v42
	v_mov_b32_e32 v59, s47
	v_cmp_ne_u32_e64 s[2:3], v42, v39
	v_cmp_ne_u32_e64 s[4:5], v39, v40
	;; [unrolled: 1-line block ×12, first 2 shown]
	s_waitcnt lgkmcnt(6)
	v_cndmask_b32_e32 v32, v26, v59, vcc
	v_mov_b32_e32 v26, s46
	v_cndmask_b32_e32 v31, v25, v26, vcc
	v_cndmask_b32_e64 v33, v27, v26, s[2:3]
	s_waitcnt lgkmcnt(5)
	v_cndmask_b32_e64 v35, v21, v26, s[4:5]
	v_cndmask_b32_e64 v37, v23, v26, s[8:9]
	s_waitcnt lgkmcnt(4)
	v_cndmask_b32_e64 v41, v17, v26, s[10:11]
	v_cndmask_b32_e64 v43, v19, v26, s[12:13]
	s_waitcnt lgkmcnt(3)
	v_cndmask_b32_e64 v45, v13, v26, s[14:15]
	v_cndmask_b32_e64 v47, v15, v26, s[16:17]
	s_waitcnt lgkmcnt(2)
	v_cndmask_b32_e64 v51, v9, v26, s[18:19]
	v_cndmask_b32_e64 v53, v11, v26, s[20:21]
	s_waitcnt lgkmcnt(1)
	v_cndmask_b32_e64 v55, v5, v26, s[22:23]
	v_cndmask_b32_e64 v49, v7, v26, s[24:25]
	s_waitcnt lgkmcnt(0)
	v_cndmask_b32_e64 v39, v1, v26, s[26:27]
	v_cmp_ne_u32_e64 s[34:35], v57, v58
	v_cndmask_b32_e64 v99, 0, 1, vcc
	v_cndmask_b32_e64 v98, 0, 1, s[2:3]
	v_cndmask_b32_e64 v96, 0, 1, s[4:5]
	v_cndmask_b32_e64 v95, 0, 1, s[8:9]
	v_cndmask_b32_e64 v94, 0, 1, s[10:11]
	v_cndmask_b32_e64 v93, 0, 1, s[12:13]
	v_cndmask_b32_e64 v92, 0, 1, s[14:15]
	v_cndmask_b32_e64 v91, 0, 1, s[16:17]
	v_cndmask_b32_e64 v90, 0, 1, s[18:19]
	v_cndmask_b32_e64 v89, 0, 1, s[20:21]
	v_cndmask_b32_e64 v88, 0, 1, s[22:23]
	v_cndmask_b32_e64 v86, 0, 1, s[24:25]
	v_cndmask_b32_e64 v85, 0, 1, s[26:27]
	v_cndmask_b32_e64 v34, v28, v59, s[2:3]
	v_cndmask_b32_e64 v36, v22, v59, s[4:5]
	v_cndmask_b32_e64 v38, v24, v59, s[8:9]
	v_cndmask_b32_e64 v42, v18, v59, s[10:11]
	v_cndmask_b32_e64 v44, v20, v59, s[12:13]
	v_cndmask_b32_e64 v46, v14, v59, s[14:15]
	v_cndmask_b32_e64 v48, v16, v59, s[16:17]
	v_cndmask_b32_e64 v52, v10, v59, s[18:19]
	v_cndmask_b32_e64 v54, v12, v59, s[20:21]
	v_cndmask_b32_e64 v56, v6, v59, s[22:23]
	v_cndmask_b32_e64 v50, v8, v59, s[24:25]
	v_cndmask_b32_e64 v40, v2, v59, s[26:27]
	v_cndmask_b32_e64 v12, v4, v59, s[34:35]
	v_cndmask_b32_e64 v11, v3, v26, s[34:35]
	v_mov_b32_e32 v1, v39
	v_mov_b32_e32 v5, v49
	v_mov_b32_e32 v7, v55
	v_mov_b32_e32 v9, v53
	v_mov_b32_e32 v13, v51
	v_mov_b32_e32 v15, v47
	v_mov_b32_e32 v17, v45
	v_mov_b32_e32 v19, v43
	v_mov_b32_e32 v21, v41
	v_mov_b32_e32 v23, v37
	v_mov_b32_e32 v25, v35
	v_mov_b32_e32 v27, v33
	v_mov_b32_e32 v3, v31
	s_mov_b64 s[2:3], -1
	v_mov_b32_e32 v72, v85
	v_mov_b32_e32 v2, v40
	;; [unrolled: 1-line block ×27, first 2 shown]
.LBB113_100:
	v_mov_b32_e32 v63, 0
	s_and_saveexec_b64 s[4:5], s[2:3]
	s_cbranch_execz .LBB113_102
; %bb.101:
	v_mov_b32_e32 v3, v31
	v_mov_b32_e32 v27, v33
	;; [unrolled: 1-line block ×13, first 2 shown]
	v_cndmask_b32_e64 v63, 0, 1, s[34:35]
	v_mov_b32_e32 v83, v101
	v_mov_b32_e32 v4, v32
	;; [unrolled: 1-line block ×27, first 2 shown]
.LBB113_102:
	s_or_b64 exec, exec, s[4:5]
	v_and_b32_e32 v88, 1, v83
	v_and_b32_e32 v85, 1, v82
	;; [unrolled: 1-line block ×5, first 2 shown]
	s_cmp_lg_u32 s6, 0
	v_or_b32_e32 v86, v84, v87
	v_or_b32_e32 v78, v80, v81
	;; [unrolled: 1-line block ×4, first 2 shown]
	v_cmp_eq_u32_e32 vcc, 1, v88
	v_cmp_eq_u32_e64 s[8:9], 1, v85
	v_cmp_eq_u32_e64 s[4:5], 1, v70
	;; [unrolled: 1-line block ×4, first 2 shown]
	v_cmp_eq_u16_e64 s[28:29], 0, v63
	v_or_b32_e32 v65, v63, v72
	v_mbcnt_lo_u32_b32 v64, -1, 0
	; wave barrier
	s_cbranch_scc0 .LBB113_156
; %bb.103:
	v_mov_b32_e32 v33, 0
	v_cmp_eq_u16_sdwa s[26:27], v87, v33 src0_sel:BYTE_0 src1_sel:DWORD
	v_cndmask_b32_e64 v32, 0, v29, s[26:27]
	v_cndmask_b32_e64 v31, 0, v30, s[26:27]
	v_add_co_u32_e64 v32, s[10:11], v32, v3
	v_cmp_eq_u16_sdwa s[20:21], v84, v33 src0_sel:BYTE_0 src1_sel:DWORD
	v_addc_co_u32_e64 v31, s[10:11], v31, v4, s[10:11]
	v_cndmask_b32_e64 v32, 0, v32, s[20:21]
	v_cndmask_b32_e64 v31, 0, v31, s[20:21]
	v_add_co_u32_e64 v32, s[10:11], v32, v27
	v_cmp_eq_u16_sdwa s[22:23], v82, v33 src0_sel:BYTE_0 src1_sel:DWORD
	v_addc_co_u32_e64 v31, s[10:11], v31, v28, s[10:11]
	v_cndmask_b32_e64 v32, 0, v32, s[22:23]
	v_cndmask_b32_e64 v31, 0, v31, s[22:23]
	v_add_co_u32_e64 v32, s[10:11], v32, v25
	v_cmp_eq_u16_sdwa s[24:25], v81, v33 src0_sel:BYTE_0 src1_sel:DWORD
	v_cmp_ne_u16_sdwa s[12:13], v86, v33 src0_sel:BYTE_0 src1_sel:DWORD
	v_addc_co_u32_e64 v31, s[10:11], v31, v26, s[10:11]
	v_cndmask_b32_e64 v32, 0, v32, s[24:25]
	s_or_b64 s[52:53], s[12:13], s[8:9]
	v_cndmask_b32_e64 v31, 0, v31, s[24:25]
	v_add_co_u32_e64 v32, s[8:9], v32, v23
	v_cmp_eq_u16_sdwa s[14:15], v80, v33 src0_sel:BYTE_0 src1_sel:DWORD
	v_addc_co_u32_e64 v31, s[8:9], v31, v24, s[8:9]
	v_cndmask_b32_e64 v32, 0, v32, s[14:15]
	v_cndmask_b32_e64 v31, 0, v31, s[14:15]
	v_add_co_u32_e64 v32, s[8:9], v32, v21
	v_cmp_eq_u16_sdwa s[16:17], v79, v33 src0_sel:BYTE_0 src1_sel:DWORD
	v_addc_co_u32_e64 v31, s[8:9], v31, v22, s[8:9]
	v_cndmask_b32_e64 v32, 0, v32, s[16:17]
	v_cndmask_b32_e64 v31, 0, v31, s[16:17]
	v_add_co_u32_e64 v32, s[8:9], v32, v19
	v_cmp_eq_u16_sdwa s[18:19], v77, v33 src0_sel:BYTE_0 src1_sel:DWORD
	v_cmp_ne_u16_sdwa s[10:11], v78, v33 src0_sel:BYTE_0 src1_sel:DWORD
	v_addc_co_u32_e64 v31, s[8:9], v31, v20, s[8:9]
	v_cndmask_b32_e64 v32, 0, v32, s[18:19]
	s_or_b64 s[54:55], s[10:11], s[4:5]
	v_cndmask_b32_e64 v31, 0, v31, s[18:19]
	v_add_co_u32_e64 v32, s[4:5], v32, v17
	v_cmp_eq_u16_sdwa s[8:9], v76, v33 src0_sel:BYTE_0 src1_sel:DWORD
	v_addc_co_u32_e64 v31, s[4:5], v31, v18, s[4:5]
	v_cndmask_b32_e64 v32, 0, v32, s[8:9]
	v_cndmask_b32_e64 v31, 0, v31, s[8:9]
	v_add_co_u32_e64 v32, s[4:5], v32, v15
	v_cmp_eq_u16_sdwa s[10:11], v75, v33 src0_sel:BYTE_0 src1_sel:DWORD
	v_addc_co_u32_e64 v31, s[4:5], v31, v16, s[4:5]
	v_cmp_ne_u16_sdwa s[12:13], v69, v33 src0_sel:BYTE_0 src1_sel:DWORD
	v_cndmask_b32_e64 v32, 0, v32, s[10:11]
	v_cndmask_b32_e64 v31, 0, v31, s[10:11]
	v_add_co_u32_e64 v32, s[4:5], v32, v13
	s_or_b64 s[56:57], s[12:13], s[2:3]
	v_cmp_eq_u16_sdwa s[12:13], v74, v33 src0_sel:BYTE_0 src1_sel:DWORD
	v_addc_co_u32_e64 v31, s[4:5], v31, v14, s[4:5]
	v_cndmask_b32_e64 v32, 0, v32, s[12:13]
	v_cndmask_b32_e64 v31, 0, v31, s[12:13]
	v_add_co_u32_e64 v32, s[2:3], v32, v9
	v_addc_co_u32_e64 v31, s[2:3], v31, v10, s[2:3]
	v_cmp_eq_u16_sdwa s[2:3], v73, v33 src0_sel:BYTE_0 src1_sel:DWORD
	v_cndmask_b32_e64 v32, 0, v32, s[2:3]
	v_cndmask_b32_e64 v31, 0, v31, s[2:3]
	v_add_co_u32_e64 v32, s[4:5], v32, v7
	v_addc_co_u32_e64 v31, s[4:5], v31, v8, s[4:5]
	v_cmp_eq_u16_sdwa s[4:5], v71, v33 src0_sel:BYTE_0 src1_sel:DWORD
	v_cmp_ne_u16_sdwa s[58:59], v67, v33 src0_sel:BYTE_0 src1_sel:DWORD
	v_cndmask_b32_e64 v32, 0, v32, s[4:5]
	v_cndmask_b32_e64 v31, 0, v31, s[4:5]
	v_add_co_u32_e64 v32, s[34:35], v32, v5
	s_or_b64 s[58:59], s[58:59], s[30:31]
	v_cmp_eq_u16_sdwa s[30:31], v72, v33 src0_sel:BYTE_0 src1_sel:DWORD
	v_addc_co_u32_e64 v31, s[34:35], v31, v6, s[34:35]
	v_cndmask_b32_e64 v32, 0, v32, s[30:31]
	v_cndmask_b32_e64 v31, 0, v31, s[30:31]
	v_add_co_u32_e64 v32, s[34:35], v32, v1
	v_addc_co_u32_e64 v31, s[34:35], v31, v2, s[34:35]
	v_cndmask_b32_e64 v34, 0, v31, s[28:29]
	v_cndmask_b32_e64 v31, 0, v32, s[28:29]
	v_add_co_u32_e64 v31, s[28:29], v31, v11
	v_addc_co_u32_e64 v32, s[28:29], v34, v12, s[28:29]
	v_cmp_ne_u16_sdwa s[28:29], v65, v33 src0_sel:BYTE_0 src1_sel:DWORD
	s_or_b64 s[28:29], s[28:29], s[58:59]
	s_or_b64 s[28:29], s[28:29], s[56:57]
	;; [unrolled: 1-line block ×4, first 2 shown]
	s_or_b64 s[34:35], s[28:29], vcc
	v_mbcnt_hi_u32_b32 v38, -1, v64
	v_and_b32_e32 v35, 15, v38
	v_cndmask_b32_e64 v34, 0, 1, s[34:35]
	v_cndmask_b32_e64 v33, 0, 1, s[34:35]
	v_mov_b32_dpp v36, v31 row_shr:1 row_mask:0xf bank_mask:0xf
	v_mov_b32_dpp v37, v32 row_shr:1 row_mask:0xf bank_mask:0xf
	;; [unrolled: 1-line block ×3, first 2 shown]
	v_cmp_ne_u32_e32 vcc, 0, v35
	s_and_saveexec_b64 s[28:29], vcc
; %bb.104:
	v_and_b32_e32 v34, 1, v39
	v_cndmask_b32_e64 v36, v36, 0, s[34:35]
	v_or_b32_e32 v33, v34, v33
	v_cndmask_b32_e64 v34, v37, 0, s[34:35]
	v_add_co_u32_e32 v31, vcc, v36, v31
	v_addc_co_u32_e32 v32, vcc, v34, v32, vcc
	v_and_b32_e32 v34, 0xffff, v33
; %bb.105:
	s_or_b64 exec, exec, s[28:29]
	v_mov_b32_dpp v36, v31 row_shr:2 row_mask:0xf bank_mask:0xf
	v_mov_b32_dpp v37, v32 row_shr:2 row_mask:0xf bank_mask:0xf
	v_mov_b32_dpp v39, v34 row_shr:2 row_mask:0xf bank_mask:0xf
	v_cmp_lt_u32_e32 vcc, 1, v35
	s_and_saveexec_b64 s[34:35], vcc
	s_cbranch_execz .LBB113_107
; %bb.106:
	v_and_b32_e32 v34, 1, v33
	v_cmp_eq_u32_e32 vcc, 1, v34
	v_and_b32_e32 v34, 1, v39
	v_cmp_eq_u32_e64 s[28:29], 1, v34
	s_or_b64 s[28:29], vcc, s[28:29]
	v_cmp_eq_u16_e32 vcc, 0, v33
	v_cndmask_b32_e32 v34, 0, v36, vcc
	v_cndmask_b32_e64 v39, 0, 1, s[28:29]
	v_cndmask_b32_e32 v33, 0, v37, vcc
	v_add_co_u32_e32 v31, vcc, v34, v31
	v_addc_co_u32_e32 v32, vcc, v33, v32, vcc
	v_cndmask_b32_e64 v34, 0, 1, s[28:29]
	v_mov_b32_e32 v33, v39
.LBB113_107:
	s_or_b64 exec, exec, s[34:35]
	v_mov_b32_dpp v36, v31 row_shr:4 row_mask:0xf bank_mask:0xf
	v_mov_b32_dpp v37, v32 row_shr:4 row_mask:0xf bank_mask:0xf
	v_mov_b32_dpp v39, v34 row_shr:4 row_mask:0xf bank_mask:0xf
	v_cmp_lt_u32_e32 vcc, 3, v35
	s_and_saveexec_b64 s[34:35], vcc
	s_cbranch_execz .LBB113_109
; %bb.108:
	v_and_b32_e32 v34, 1, v33
	v_cmp_eq_u32_e32 vcc, 1, v34
	v_and_b32_e32 v34, 1, v39
	v_cmp_eq_u32_e64 s[28:29], 1, v34
	s_or_b64 s[28:29], vcc, s[28:29]
	v_cmp_eq_u16_e32 vcc, 0, v33
	v_cndmask_b32_e32 v34, 0, v36, vcc
	v_cndmask_b32_e64 v39, 0, 1, s[28:29]
	v_cndmask_b32_e32 v33, 0, v37, vcc
	v_add_co_u32_e32 v31, vcc, v34, v31
	v_addc_co_u32_e32 v32, vcc, v33, v32, vcc
	v_cndmask_b32_e64 v34, 0, 1, s[28:29]
	v_mov_b32_e32 v33, v39
.LBB113_109:
	;; [unrolled: 22-line block ×3, first 2 shown]
	s_or_b64 exec, exec, s[34:35]
	v_and_b32_e32 v39, 16, v38
	v_mov_b32_dpp v35, v31 row_bcast:15 row_mask:0xf bank_mask:0xf
	v_mov_b32_dpp v36, v32 row_bcast:15 row_mask:0xf bank_mask:0xf
	;; [unrolled: 1-line block ×3, first 2 shown]
	v_cmp_ne_u32_e32 vcc, 0, v39
	s_and_saveexec_b64 s[34:35], vcc
	s_cbranch_execz .LBB113_113
; %bb.112:
	v_and_b32_e32 v34, 1, v33
	v_cmp_eq_u32_e32 vcc, 1, v34
	v_and_b32_e32 v34, 1, v37
	v_cmp_eq_u32_e64 s[28:29], 1, v34
	s_or_b64 s[28:29], vcc, s[28:29]
	v_cmp_eq_u16_e32 vcc, 0, v33
	v_cndmask_b32_e32 v34, 0, v35, vcc
	v_cndmask_b32_e64 v37, 0, 1, s[28:29]
	v_cndmask_b32_e32 v33, 0, v36, vcc
	v_add_co_u32_e32 v31, vcc, v34, v31
	v_addc_co_u32_e32 v32, vcc, v33, v32, vcc
	v_cndmask_b32_e64 v34, 0, 1, s[28:29]
	v_mov_b32_e32 v33, v37
.LBB113_113:
	s_or_b64 exec, exec, s[34:35]
	v_mov_b32_dpp v35, v31 row_bcast:31 row_mask:0xf bank_mask:0xf
	v_mov_b32_dpp v36, v32 row_bcast:31 row_mask:0xf bank_mask:0xf
	;; [unrolled: 1-line block ×3, first 2 shown]
	v_cmp_lt_u32_e32 vcc, 31, v38
	s_and_saveexec_b64 s[34:35], vcc
	s_cbranch_execz .LBB113_115
; %bb.114:
	v_and_b32_e32 v37, 1, v33
	v_and_b32_e32 v34, 1, v34
	v_cmp_eq_u32_e32 vcc, 1, v37
	v_cmp_eq_u32_e64 s[28:29], 1, v34
	s_or_b64 s[28:29], vcc, s[28:29]
	v_cmp_eq_u16_e32 vcc, 0, v33
	v_cndmask_b32_e32 v35, 0, v35, vcc
	v_cndmask_b32_e64 v34, 0, 1, s[28:29]
	v_cndmask_b32_e32 v33, 0, v36, vcc
	v_add_co_u32_e32 v31, vcc, v35, v31
	v_addc_co_u32_e32 v32, vcc, v33, v32, vcc
	v_mov_b32_e32 v33, v34
.LBB113_115:
	s_or_b64 exec, exec, s[34:35]
	v_cmp_eq_u32_e32 vcc, 63, v0
	s_and_saveexec_b64 s[28:29], vcc
	s_cbranch_execz .LBB113_117
; %bb.116:
	v_mov_b32_e32 v34, 0
	ds_write_b64 v34, v[31:32]
	ds_write_b8 v34, v33 offset:8
.LBB113_117:
	s_or_b64 exec, exec, s[28:29]
	v_add_u32_e32 v34, -1, v38
	v_and_b32_e32 v35, 64, v38
	v_cmp_lt_i32_e32 vcc, v34, v35
	v_cndmask_b32_e32 v34, v34, v38, vcc
	v_lshlrev_b32_e32 v34, 2, v34
	ds_bpermute_b32 v41, v34, v31
	v_and_b32_e32 v31, 0xffff, v33
	ds_bpermute_b32 v42, v34, v32
	ds_bpermute_b32 v43, v34, v31
	v_cmp_gt_u32_e32 vcc, 64, v0
	s_waitcnt lgkmcnt(0)
	; wave barrier
	s_and_saveexec_b64 s[52:53], vcc
	s_cbranch_execz .LBB113_161
; %bb.118:
	v_mov_b32_e32 v35, 0
	ds_read_b64 v[31:32], v35
	ds_read_u8 v44, v35 offset:8
	s_mov_b32 s55, 0
	v_cmp_eq_u32_e64 s[28:29], 0, v38
	s_and_saveexec_b64 s[34:35], s[28:29]
	s_cbranch_execz .LBB113_120
; %bb.119:
	s_add_i32 s54, s6, 64
	s_lshl_b64 s[56:57], s[54:55], 4
	s_add_u32 s56, s36, s56
	s_addc_u32 s57, s37, s57
	v_mov_b32_e32 v33, 1
	v_mov_b32_e32 v34, s54
	s_waitcnt lgkmcnt(1)
	global_store_dwordx2 v35, v[31:32], s[56:57]
	s_waitcnt lgkmcnt(0)
	global_store_byte v35, v44, s[56:57] offset:8
	s_waitcnt vmcnt(0)
	buffer_wbinvl1_vol
	global_store_byte v34, v33, s[40:41]
.LBB113_120:
	s_or_b64 exec, exec, s[34:35]
	v_xad_u32 v33, v38, -1, s6
	v_add_u32_e32 v34, 64, v33
	global_load_ubyte v45, v34, s[40:41] glc
	s_waitcnt vmcnt(0)
	v_cmp_eq_u16_e32 vcc, 0, v45
	s_and_saveexec_b64 s[34:35], vcc
	s_cbranch_execz .LBB113_124
; %bb.121:
	v_mov_b32_e32 v37, s41
	v_add_co_u32_e32 v36, vcc, s40, v34
	v_addc_co_u32_e32 v37, vcc, 0, v37, vcc
	s_mov_b64 s[54:55], 0
.LBB113_122:                            ; =>This Inner Loop Header: Depth=1
	global_load_ubyte v45, v[36:37], off glc
	s_waitcnt vmcnt(0)
	v_cmp_ne_u16_e32 vcc, 0, v45
	s_or_b64 s[54:55], vcc, s[54:55]
	s_andn2_b64 exec, exec, s[54:55]
	s_cbranch_execnz .LBB113_122
; %bb.123:
	s_or_b64 exec, exec, s[54:55]
.LBB113_124:
	s_or_b64 exec, exec, s[34:35]
	v_mov_b32_e32 v36, s39
	v_mov_b32_e32 v37, s37
	v_cmp_eq_u16_e32 vcc, 1, v45
	v_cndmask_b32_e32 v36, v36, v37, vcc
	v_mov_b32_e32 v37, s38
	v_mov_b32_e32 v39, s36
	v_lshlrev_b64 v[34:35], 4, v[34:35]
	v_cndmask_b32_e32 v37, v37, v39, vcc
	v_add_co_u32_e32 v34, vcc, v37, v34
	v_addc_co_u32_e32 v35, vcc, v36, v35, vcc
	s_waitcnt lgkmcnt(0)
	buffer_wbinvl1_vol
	global_load_dwordx2 v[39:40], v[34:35], off
	global_load_ubyte v60, v[34:35], off offset:8
	v_and_b32_e32 v37, 63, v38
	v_lshlrev_b64 v[35:36], v38, -1
	v_cmp_ne_u32_e64 s[34:35], 63, v37
	v_cmp_eq_u16_e32 vcc, 2, v45
	v_addc_co_u32_e64 v34, s[34:35], 0, v38, s[34:35]
	v_and_b32_e32 v47, vcc_hi, v36
	v_lshlrev_b32_e32 v46, 2, v34
	v_or_b32_e32 v34, 0x80000000, v47
	v_and_b32_e32 v51, vcc_lo, v35
	v_ffbl_b32_e32 v34, v34
	v_add_u32_e32 v34, 32, v34
	v_ffbl_b32_e32 v47, v51
	v_min_u32_e32 v34, v47, v34
	v_add_u32_e32 v47, 1, v38
	v_cmp_le_u32_e32 vcc, v47, v34
	s_waitcnt vmcnt(1)
	ds_bpermute_b32 v49, v46, v39
	s_waitcnt vmcnt(0)
	v_and_b32_e32 v56, 1, v60
	ds_bpermute_b32 v50, v46, v40
	ds_bpermute_b32 v48, v46, v56
	s_and_saveexec_b64 s[34:35], vcc
	s_cbranch_execz .LBB113_126
; %bb.125:
	v_mov_b32_e32 v51, 0
	v_cmp_eq_u16_sdwa vcc, v60, v51 src0_sel:BYTE_0 src1_sel:DWORD
	s_waitcnt lgkmcnt(2)
	v_cndmask_b32_e32 v49, 0, v49, vcc
	s_waitcnt lgkmcnt(0)
	v_and_b32_e32 v48, 1, v48
	v_cndmask_b32_e32 v50, 0, v50, vcc
	v_add_co_u32_e32 v39, vcc, v49, v39
	v_or_b32_e32 v60, v48, v60
	v_addc_co_u32_e32 v40, vcc, v50, v40, vcc
	v_and_b32_e32 v56, 0xff, v60
.LBB113_126:
	s_or_b64 exec, exec, s[34:35]
	v_cmp_gt_u32_e32 vcc, 62, v37
	s_waitcnt lgkmcnt(0)
	v_cndmask_b32_e64 v48, 0, 2, vcc
	v_add_lshl_u32 v48, v48, v38, 2
	ds_bpermute_b32 v51, v48, v39
	ds_bpermute_b32 v52, v48, v40
	ds_bpermute_b32 v50, v48, v56
	v_add_u32_e32 v49, 2, v38
	v_cmp_le_u32_e32 vcc, v49, v34
	s_and_saveexec_b64 s[54:55], vcc
	s_cbranch_execz .LBB113_128
; %bb.127:
	v_mov_b32_e32 v53, 0
	v_cmp_eq_u16_sdwa vcc, v60, v53 src0_sel:BYTE_0 src1_sel:DWORD
	s_waitcnt lgkmcnt(2)
	v_cndmask_b32_e32 v51, 0, v51, vcc
	s_waitcnt lgkmcnt(1)
	v_cndmask_b32_e32 v52, 0, v52, vcc
	v_add_co_u32_e32 v39, vcc, v51, v39
	v_addc_co_u32_e32 v40, vcc, v52, v40, vcc
	v_and_b32_e32 v51, 1, v60
	s_waitcnt lgkmcnt(0)
	v_and_b32_e32 v50, 1, v50
	v_cmp_eq_u32_e32 vcc, 1, v51
	v_cmp_eq_u32_e64 s[34:35], 1, v50
	s_or_b64 s[34:35], vcc, s[34:35]
	v_cndmask_b32_e64 v60, 0, 1, s[34:35]
	v_cndmask_b32_e64 v56, 0, 1, s[34:35]
.LBB113_128:
	s_or_b64 exec, exec, s[54:55]
	v_cmp_gt_u32_e32 vcc, 60, v37
	s_waitcnt lgkmcnt(0)
	v_cndmask_b32_e64 v50, 0, 4, vcc
	v_add_lshl_u32 v50, v50, v38, 2
	ds_bpermute_b32 v53, v50, v39
	ds_bpermute_b32 v54, v50, v40
	ds_bpermute_b32 v52, v50, v56
	v_add_u32_e32 v51, 4, v38
	v_cmp_le_u32_e32 vcc, v51, v34
	s_and_saveexec_b64 s[54:55], vcc
	s_cbranch_execz .LBB113_130
; %bb.129:
	v_mov_b32_e32 v55, 0
	v_cmp_eq_u16_sdwa vcc, v60, v55 src0_sel:BYTE_0 src1_sel:DWORD
	s_waitcnt lgkmcnt(2)
	v_cndmask_b32_e32 v53, 0, v53, vcc
	s_waitcnt lgkmcnt(1)
	v_cndmask_b32_e32 v54, 0, v54, vcc
	v_add_co_u32_e32 v39, vcc, v53, v39
	v_addc_co_u32_e32 v40, vcc, v54, v40, vcc
	v_and_b32_e32 v53, 1, v60
	s_waitcnt lgkmcnt(0)
	v_and_b32_e32 v52, 1, v52
	v_cmp_eq_u32_e32 vcc, 1, v53
	v_cmp_eq_u32_e64 s[34:35], 1, v52
	s_or_b64 s[34:35], vcc, s[34:35]
	v_cndmask_b32_e64 v60, 0, 1, s[34:35]
	v_cndmask_b32_e64 v56, 0, 1, s[34:35]
.LBB113_130:
	;; [unrolled: 30-line block ×3, first 2 shown]
	s_or_b64 exec, exec, s[54:55]
	v_cmp_gt_u32_e32 vcc, 48, v37
	v_cndmask_b32_e64 v37, 0, 16, vcc
	s_waitcnt lgkmcnt(0)
	v_add_lshl_u32 v54, v37, v38, 2
	ds_bpermute_b32 v57, v54, v39
	ds_bpermute_b32 v58, v54, v40
	ds_bpermute_b32 v37, v54, v56
	v_add_u32_e32 v55, 16, v38
	v_cmp_le_u32_e32 vcc, v55, v34
	s_and_saveexec_b64 s[54:55], vcc
	s_cbranch_execz .LBB113_134
; %bb.133:
	v_mov_b32_e32 v56, 0
	v_cmp_eq_u16_sdwa vcc, v60, v56 src0_sel:BYTE_0 src1_sel:DWORD
	s_waitcnt lgkmcnt(2)
	v_cndmask_b32_e32 v57, 0, v57, vcc
	s_waitcnt lgkmcnt(1)
	v_cndmask_b32_e32 v56, 0, v58, vcc
	v_add_co_u32_e32 v39, vcc, v57, v39
	v_addc_co_u32_e32 v40, vcc, v56, v40, vcc
	v_and_b32_e32 v56, 1, v60
	s_waitcnt lgkmcnt(0)
	v_and_b32_e32 v37, 1, v37
	v_cmp_eq_u32_e32 vcc, 1, v56
	v_cmp_eq_u32_e64 s[34:35], 1, v37
	s_or_b64 s[34:35], vcc, s[34:35]
	v_cndmask_b32_e64 v60, 0, 1, s[34:35]
	v_cndmask_b32_e64 v56, 0, 1, s[34:35]
.LBB113_134:
	s_or_b64 exec, exec, s[54:55]
	s_waitcnt lgkmcnt(0)
	v_mov_b32_e32 v37, 0x80
	v_lshl_or_b32 v57, v38, 2, v37
	ds_bpermute_b32 v59, v57, v39
	ds_bpermute_b32 v61, v57, v40
	;; [unrolled: 1-line block ×3, first 2 shown]
	v_add_u32_e32 v58, 32, v38
	v_cmp_le_u32_e32 vcc, v58, v34
	s_and_saveexec_b64 s[54:55], vcc
	s_cbranch_execz .LBB113_136
; %bb.135:
	v_mov_b32_e32 v34, 0
	v_cmp_eq_u16_sdwa vcc, v60, v34 src0_sel:BYTE_0 src1_sel:DWORD
	s_waitcnt lgkmcnt(2)
	v_cndmask_b32_e32 v38, 0, v59, vcc
	s_waitcnt lgkmcnt(1)
	v_cndmask_b32_e32 v34, 0, v61, vcc
	v_add_co_u32_e32 v39, vcc, v38, v39
	v_addc_co_u32_e32 v40, vcc, v34, v40, vcc
	v_and_b32_e32 v34, 1, v60
	v_cmp_eq_u32_e32 vcc, 1, v34
	s_waitcnt lgkmcnt(0)
	v_and_b32_e32 v34, 1, v37
	v_cmp_eq_u32_e64 s[34:35], 1, v34
	s_or_b64 s[34:35], vcc, s[34:35]
	v_cndmask_b32_e64 v60, 0, 1, s[34:35]
.LBB113_136:
	s_or_b64 exec, exec, s[54:55]
	v_mov_b32_e32 v34, 0
	s_waitcnt lgkmcnt(2)
	v_mov_b32_e32 v59, 2
	s_branch .LBB113_139
.LBB113_137:                            ;   in Loop: Header=BB113_139 Depth=1
	s_or_b64 exec, exec, s[56:57]
	v_cmp_eq_u16_sdwa vcc, v56, v34 src0_sel:BYTE_0 src1_sel:DWORD
	v_cndmask_b32_e32 v39, 0, v39, vcc
	v_cndmask_b32_e32 v40, 0, v40, vcc
	v_add_co_u32_e32 v39, vcc, v39, v37
	v_addc_co_u32_e32 v40, vcc, v40, v38, vcc
	v_and_b32_e32 v60, 1, v56
	v_cmp_eq_u32_e32 vcc, 1, v60
	s_or_b64 s[34:35], vcc, s[54:55]
	v_subrev_u32_e32 v33, 64, v33
	v_cndmask_b32_e64 v60, 0, 1, s[34:35]
	s_mov_b64 s[34:35], 0
.LBB113_138:                            ;   in Loop: Header=BB113_139 Depth=1
	s_and_b64 vcc, exec, s[34:35]
	s_cbranch_vccnz .LBB113_157
.LBB113_139:                            ; =>This Loop Header: Depth=1
                                        ;     Child Loop BB113_142 Depth 2
	s_waitcnt lgkmcnt(0)
	v_mov_b32_e32 v37, v39
	v_cmp_ne_u16_sdwa s[34:35], v45, v59 src0_sel:BYTE_0 src1_sel:DWORD
	v_mov_b32_e32 v56, v60
	v_mov_b32_e32 v38, v40
	s_cmp_lg_u64 s[34:35], exec
	s_mov_b64 s[34:35], -1
                                        ; implicit-def: $vgpr60
                                        ; implicit-def: $vgpr39_vgpr40
                                        ; implicit-def: $vgpr45
	s_cbranch_scc1 .LBB113_138
; %bb.140:                              ;   in Loop: Header=BB113_139 Depth=1
	global_load_ubyte v45, v33, s[40:41] glc
	s_waitcnt vmcnt(0)
	v_cmp_eq_u16_e32 vcc, 0, v45
	s_and_saveexec_b64 s[34:35], vcc
	s_cbranch_execz .LBB113_144
; %bb.141:                              ;   in Loop: Header=BB113_139 Depth=1
	v_mov_b32_e32 v40, s41
	v_add_co_u32_e32 v39, vcc, s40, v33
	v_addc_co_u32_e32 v40, vcc, 0, v40, vcc
	s_mov_b64 s[54:55], 0
.LBB113_142:                            ;   Parent Loop BB113_139 Depth=1
                                        ; =>  This Inner Loop Header: Depth=2
	global_load_ubyte v45, v[39:40], off glc
	s_waitcnt vmcnt(0)
	v_cmp_ne_u16_e32 vcc, 0, v45
	s_or_b64 s[54:55], vcc, s[54:55]
	s_andn2_b64 exec, exec, s[54:55]
	s_cbranch_execnz .LBB113_142
; %bb.143:                              ;   in Loop: Header=BB113_139 Depth=1
	s_or_b64 exec, exec, s[54:55]
.LBB113_144:                            ;   in Loop: Header=BB113_139 Depth=1
	s_or_b64 exec, exec, s[34:35]
	v_mov_b32_e32 v39, s39
	v_mov_b32_e32 v40, s37
	v_cmp_eq_u16_e32 vcc, 1, v45
	v_cndmask_b32_e32 v61, v39, v40, vcc
	v_mov_b32_e32 v39, s38
	v_mov_b32_e32 v40, s36
	v_cndmask_b32_e32 v60, v39, v40, vcc
	v_lshlrev_b64 v[39:40], 4, v[33:34]
	buffer_wbinvl1_vol
	v_add_co_u32_e32 v60, vcc, v60, v39
	v_addc_co_u32_e32 v61, vcc, v61, v40, vcc
	global_load_dwordx2 v[39:40], v[60:61], off
	s_nop 0
	global_load_ubyte v60, v[60:61], off offset:8
	v_cmp_eq_u16_e32 vcc, 2, v45
	v_and_b32_e32 v61, vcc_hi, v36
	v_or_b32_e32 v61, 0x80000000, v61
	v_and_b32_e32 v92, vcc_lo, v35
	v_ffbl_b32_e32 v61, v61
	v_add_u32_e32 v61, 32, v61
	v_ffbl_b32_e32 v92, v92
	v_min_u32_e32 v61, v92, v61
	v_cmp_le_u32_e32 vcc, v47, v61
	s_waitcnt vmcnt(1)
	ds_bpermute_b32 v90, v46, v39
	s_waitcnt vmcnt(0)
	v_and_b32_e32 v62, 1, v60
	ds_bpermute_b32 v91, v46, v40
	ds_bpermute_b32 v89, v46, v62
	v_cmp_eq_u32_e64 s[54:55], 1, v62
	s_and_saveexec_b64 s[34:35], vcc
	s_cbranch_execz .LBB113_146
; %bb.145:                              ;   in Loop: Header=BB113_139 Depth=1
	v_cmp_eq_u16_sdwa vcc, v60, v34 src0_sel:BYTE_0 src1_sel:DWORD
	s_waitcnt lgkmcnt(2)
	v_cndmask_b32_e32 v90, 0, v90, vcc
	s_waitcnt lgkmcnt(1)
	v_cndmask_b32_e32 v62, 0, v91, vcc
	v_add_co_u32_e32 v39, vcc, v90, v39
	v_addc_co_u32_e32 v40, vcc, v62, v40, vcc
	s_waitcnt lgkmcnt(0)
	v_and_b32_e32 v62, 1, v89
	v_or_b32_e32 v60, v62, v60
	v_and_b32_e32 v89, 1, v60
	v_cmp_eq_u32_e32 vcc, 1, v89
	s_andn2_b64 s[54:55], s[54:55], exec
	s_and_b64 s[56:57], vcc, exec
	v_and_b32_e32 v62, 0xff, v60
	s_or_b64 s[54:55], s[54:55], s[56:57]
.LBB113_146:                            ;   in Loop: Header=BB113_139 Depth=1
	s_or_b64 exec, exec, s[34:35]
	s_waitcnt lgkmcnt(2)
	ds_bpermute_b32 v90, v48, v39
	s_waitcnt lgkmcnt(2)
	ds_bpermute_b32 v91, v48, v40
	s_waitcnt lgkmcnt(2)
	ds_bpermute_b32 v89, v48, v62
	v_cmp_le_u32_e32 vcc, v49, v61
	s_and_saveexec_b64 s[56:57], vcc
	s_cbranch_execz .LBB113_148
; %bb.147:                              ;   in Loop: Header=BB113_139 Depth=1
	v_cmp_eq_u16_sdwa vcc, v60, v34 src0_sel:BYTE_0 src1_sel:DWORD
	s_waitcnt lgkmcnt(2)
	v_cndmask_b32_e32 v90, 0, v90, vcc
	s_waitcnt lgkmcnt(1)
	v_cndmask_b32_e32 v62, 0, v91, vcc
	v_add_co_u32_e32 v39, vcc, v90, v39
	v_addc_co_u32_e32 v40, vcc, v62, v40, vcc
	v_and_b32_e32 v60, 1, v60
	v_cmp_eq_u32_e32 vcc, 1, v60
	s_waitcnt lgkmcnt(0)
	v_and_b32_e32 v60, 1, v89
	v_cmp_eq_u32_e64 s[34:35], 1, v60
	s_or_b64 s[34:35], vcc, s[34:35]
	v_cndmask_b32_e64 v60, 0, 1, s[34:35]
	v_cndmask_b32_e64 v62, 0, 1, s[34:35]
	s_andn2_b64 s[54:55], s[54:55], exec
	s_and_b64 s[34:35], s[34:35], exec
	s_or_b64 s[54:55], s[54:55], s[34:35]
.LBB113_148:                            ;   in Loop: Header=BB113_139 Depth=1
	s_or_b64 exec, exec, s[56:57]
	s_waitcnt lgkmcnt(2)
	ds_bpermute_b32 v90, v50, v39
	s_waitcnt lgkmcnt(2)
	ds_bpermute_b32 v91, v50, v40
	s_waitcnt lgkmcnt(2)
	ds_bpermute_b32 v89, v50, v62
	v_cmp_le_u32_e32 vcc, v51, v61
	s_and_saveexec_b64 s[56:57], vcc
	s_cbranch_execz .LBB113_150
; %bb.149:                              ;   in Loop: Header=BB113_139 Depth=1
	v_cmp_eq_u16_sdwa vcc, v60, v34 src0_sel:BYTE_0 src1_sel:DWORD
	s_waitcnt lgkmcnt(2)
	v_cndmask_b32_e32 v90, 0, v90, vcc
	s_waitcnt lgkmcnt(1)
	v_cndmask_b32_e32 v62, 0, v91, vcc
	v_add_co_u32_e32 v39, vcc, v90, v39
	v_addc_co_u32_e32 v40, vcc, v62, v40, vcc
	v_and_b32_e32 v60, 1, v60
	v_cmp_eq_u32_e32 vcc, 1, v60
	s_waitcnt lgkmcnt(0)
	v_and_b32_e32 v60, 1, v89
	v_cmp_eq_u32_e64 s[34:35], 1, v60
	s_or_b64 s[34:35], vcc, s[34:35]
	v_cndmask_b32_e64 v60, 0, 1, s[34:35]
	v_cndmask_b32_e64 v62, 0, 1, s[34:35]
	s_andn2_b64 s[54:55], s[54:55], exec
	s_and_b64 s[34:35], s[34:35], exec
	s_or_b64 s[54:55], s[54:55], s[34:35]
.LBB113_150:                            ;   in Loop: Header=BB113_139 Depth=1
	;; [unrolled: 30-line block ×4, first 2 shown]
	s_or_b64 exec, exec, s[56:57]
	s_waitcnt lgkmcnt(0)
	ds_bpermute_b32 v89, v57, v39
	ds_bpermute_b32 v90, v57, v40
	;; [unrolled: 1-line block ×3, first 2 shown]
	v_cmp_le_u32_e32 vcc, v58, v61
	s_and_saveexec_b64 s[56:57], vcc
	s_cbranch_execz .LBB113_137
; %bb.155:                              ;   in Loop: Header=BB113_139 Depth=1
	v_cmp_eq_u16_sdwa vcc, v60, v34 src0_sel:BYTE_0 src1_sel:DWORD
	s_waitcnt lgkmcnt(2)
	v_cndmask_b32_e32 v89, 0, v89, vcc
	s_waitcnt lgkmcnt(1)
	v_cndmask_b32_e32 v61, 0, v90, vcc
	v_add_co_u32_e32 v39, vcc, v89, v39
	v_addc_co_u32_e32 v40, vcc, v61, v40, vcc
	v_and_b32_e32 v60, 1, v60
	v_cmp_eq_u32_e32 vcc, 1, v60
	s_waitcnt lgkmcnt(0)
	v_and_b32_e32 v60, 1, v62
	v_cmp_eq_u32_e64 s[34:35], 1, v60
	s_or_b64 s[34:35], vcc, s[34:35]
	s_andn2_b64 s[54:55], s[54:55], exec
	s_and_b64 s[34:35], s[34:35], exec
	s_or_b64 s[54:55], s[54:55], s[34:35]
	s_branch .LBB113_137
.LBB113_156:
                                        ; implicit-def: $vgpr31_vgpr32
                                        ; implicit-def: $vgpr61_vgpr62
                                        ; implicit-def: $vgpr57_vgpr58
                                        ; implicit-def: $vgpr53_vgpr54
                                        ; implicit-def: $vgpr49_vgpr50
                                        ; implicit-def: $vgpr45_vgpr46
                                        ; implicit-def: $vgpr41_vgpr42
                                        ; implicit-def: $vgpr37_vgpr38
                                        ; implicit-def: $vgpr55_vgpr56
                                        ; implicit-def: $vgpr51_vgpr52
                                        ; implicit-def: $vgpr47_vgpr48
                                        ; implicit-def: $vgpr43_vgpr44
                                        ; implicit-def: $vgpr39_vgpr40
                                        ; implicit-def: $vgpr35_vgpr36
                                        ; implicit-def: $vgpr33_vgpr34
	s_cbranch_execnz .LBB113_162
	s_branch .LBB113_181
.LBB113_157:
	s_and_saveexec_b64 s[34:35], s[28:29]
	s_cbranch_execz .LBB113_159
; %bb.158:
	v_mov_b32_e32 v33, 0
	s_mov_b32 s7, 0
	v_cmp_eq_u32_sdwa vcc, v44, v33 src0_sel:BYTE_0 src1_sel:DWORD
	s_add_i32 s6, s6, 64
	v_cndmask_b32_e32 v35, 0, v37, vcc
	s_lshl_b64 s[28:29], s[6:7], 4
	v_cndmask_b32_e32 v34, 0, v38, vcc
	v_add_co_u32_e32 v31, vcc, v35, v31
	s_add_u32 s28, s38, s28
	v_addc_co_u32_e32 v32, vcc, v34, v32, vcc
	v_or_b32_e32 v34, v44, v56
	s_addc_u32 s29, s39, s29
	v_and_b32_e32 v34, 1, v34
	global_store_dwordx2 v33, v[31:32], s[28:29]
	global_store_byte v33, v34, s[28:29] offset:8
	v_mov_b32_e32 v31, 2
	v_mov_b32_e32 v32, s6
	s_waitcnt vmcnt(0) lgkmcnt(0)
	buffer_wbinvl1_vol
	global_store_byte v32, v31, s[40:41]
.LBB113_159:
	s_or_b64 exec, exec, s[34:35]
	v_cmp_eq_u32_e32 vcc, 0, v0
	s_and_b64 exec, exec, vcc
	s_cbranch_execz .LBB113_161
; %bb.160:
	v_mov_b32_e32 v31, 0
	ds_write_b64 v31, v[37:38]
	ds_write_b8 v31, v56 offset:8
.LBB113_161:
	s_or_b64 exec, exec, s[52:53]
	v_mov_b32_e32 v33, 0
	s_waitcnt lgkmcnt(0)
	; wave barrier
	ds_read_b64 v[31:32], v33
	v_cmp_eq_u32_sdwa vcc, v43, v33 src0_sel:BYTE_0 src1_sel:DWORD
	s_waitcnt lgkmcnt(0)
	v_cndmask_b32_e32 v35, 0, v31, vcc
	v_cndmask_b32_e32 v34, 0, v32, vcc
	v_add_co_u32_e32 v35, vcc, v41, v35
	v_addc_co_u32_e32 v34, vcc, v42, v34, vcc
	v_cmp_eq_u32_e32 vcc, 0, v0
	v_cndmask_b32_e32 v32, v34, v32, vcc
	v_cndmask_b32_e32 v31, v35, v31, vcc
	v_cmp_eq_u16_sdwa vcc, v83, v33 src0_sel:BYTE_0 src1_sel:DWORD
	v_cndmask_b32_e32 v33, 0, v31, vcc
	v_cndmask_b32_e32 v34, 0, v32, vcc
	v_add_co_u32_e32 v33, vcc, v33, v29
	v_addc_co_u32_e32 v34, vcc, v34, v30, vcc
	v_cndmask_b32_e64 v35, 0, v33, s[26:27]
	v_cndmask_b32_e64 v36, 0, v34, s[26:27]
	v_add_co_u32_e32 v35, vcc, v35, v3
	v_addc_co_u32_e32 v36, vcc, v36, v4, vcc
	v_cndmask_b32_e64 v37, 0, v35, s[20:21]
	v_cndmask_b32_e64 v38, 0, v36, s[20:21]
	;; [unrolled: 4-line block ×13, first 2 shown]
	s_branch .LBB113_181
.LBB113_162:
	v_mov_b32_e32 v60, s47
	s_cmp_eq_u64 s[50:51], 0
	v_mov_b32_e32 v59, s46
	s_cbranch_scc1 .LBB113_164
; %bb.163:
	v_mov_b32_e32 v31, 0
	global_load_dwordx2 v[59:60], v31, s[50:51]
.LBB113_164:
	v_mov_b32_e32 v31, 0
	v_cmp_eq_u16_sdwa s[16:17], v87, v31 src0_sel:BYTE_0 src1_sel:DWORD
	v_cndmask_b32_e64 v33, 0, v29, s[16:17]
	v_cndmask_b32_e64 v32, 0, v30, s[16:17]
	v_add_co_u32_e32 v33, vcc, v33, v3
	v_addc_co_u32_e32 v32, vcc, v32, v4, vcc
	v_cmp_eq_u16_sdwa vcc, v84, v31 src0_sel:BYTE_0 src1_sel:DWORD
	v_cndmask_b32_e32 v33, 0, v33, vcc
	v_cndmask_b32_e32 v32, 0, v32, vcc
	v_add_co_u32_e64 v33, s[2:3], v33, v27
	v_addc_co_u32_e64 v32, s[2:3], v32, v28, s[2:3]
	v_cmp_eq_u16_sdwa s[2:3], v82, v31 src0_sel:BYTE_0 src1_sel:DWORD
	v_cndmask_b32_e64 v33, 0, v33, s[2:3]
	v_cndmask_b32_e64 v32, 0, v32, s[2:3]
	v_add_co_u32_e64 v33, s[4:5], v33, v25
	v_addc_co_u32_e64 v32, s[4:5], v32, v26, s[4:5]
	v_cmp_eq_u16_sdwa s[18:19], v81, v31 src0_sel:BYTE_0 src1_sel:DWORD
	v_cmp_ne_u16_sdwa s[6:7], v86, v31 src0_sel:BYTE_0 src1_sel:DWORD
	v_cmp_eq_u32_e64 s[4:5], 1, v85
	v_cndmask_b32_e64 v33, 0, v33, s[18:19]
	s_or_b64 s[30:31], s[6:7], s[4:5]
	v_cndmask_b32_e64 v32, 0, v32, s[18:19]
	v_add_co_u32_e64 v33, s[4:5], v33, v23
	v_addc_co_u32_e64 v32, s[4:5], v32, v24, s[4:5]
	v_cmp_eq_u16_sdwa s[4:5], v80, v31 src0_sel:BYTE_0 src1_sel:DWORD
	v_cndmask_b32_e64 v33, 0, v33, s[4:5]
	v_cndmask_b32_e64 v32, 0, v32, s[4:5]
	v_add_co_u32_e64 v33, s[6:7], v33, v21
	v_addc_co_u32_e64 v32, s[6:7], v32, v22, s[6:7]
	v_cmp_eq_u16_sdwa s[6:7], v79, v31 src0_sel:BYTE_0 src1_sel:DWORD
	v_cndmask_b32_e64 v33, 0, v33, s[6:7]
	v_cndmask_b32_e64 v32, 0, v32, s[6:7]
	v_add_co_u32_e64 v33, s[8:9], v33, v19
	v_addc_co_u32_e64 v32, s[8:9], v32, v20, s[8:9]
	v_cmp_eq_u16_sdwa s[20:21], v77, v31 src0_sel:BYTE_0 src1_sel:DWORD
	v_cmp_ne_u16_sdwa s[10:11], v78, v31 src0_sel:BYTE_0 src1_sel:DWORD
	v_cmp_eq_u32_e64 s[8:9], 1, v70
	v_cndmask_b32_e64 v33, 0, v33, s[20:21]
	s_or_b64 s[34:35], s[10:11], s[8:9]
	v_cndmask_b32_e64 v32, 0, v32, s[20:21]
	v_add_co_u32_e64 v33, s[8:9], v33, v17
	v_addc_co_u32_e64 v32, s[8:9], v32, v18, s[8:9]
	v_cmp_eq_u16_sdwa s[8:9], v76, v31 src0_sel:BYTE_0 src1_sel:DWORD
	v_cndmask_b32_e64 v33, 0, v33, s[8:9]
	v_cndmask_b32_e64 v32, 0, v32, s[8:9]
	;; [unrolled: 18-line block ×3, first 2 shown]
	v_add_co_u32_e64 v33, s[14:15], v33, v7
	v_addc_co_u32_e64 v32, s[14:15], v32, v8, s[14:15]
	v_cmp_eq_u16_sdwa s[14:15], v71, v31 src0_sel:BYTE_0 src1_sel:DWORD
	v_cndmask_b32_e64 v33, 0, v33, s[14:15]
	v_cndmask_b32_e64 v32, 0, v32, s[14:15]
	v_add_co_u32_e64 v33, s[24:25], v33, v5
	v_addc_co_u32_e64 v32, s[24:25], v32, v6, s[24:25]
	v_cmp_ne_u16_sdwa s[28:29], v67, v31 src0_sel:BYTE_0 src1_sel:DWORD
	v_cmp_eq_u32_e64 s[24:25], 1, v66
	s_or_b64 s[46:47], s[28:29], s[24:25]
	v_cmp_eq_u16_sdwa s[24:25], v72, v31 src0_sel:BYTE_0 src1_sel:DWORD
	v_cndmask_b32_e64 v33, 0, v33, s[24:25]
	v_cndmask_b32_e64 v32, 0, v32, s[24:25]
	v_add_co_u32_e64 v33, s[28:29], v33, v1
	v_addc_co_u32_e64 v32, s[28:29], v32, v2, s[28:29]
	v_cmp_eq_u16_e64 s[28:29], 0, v63
	v_cndmask_b32_e64 v33, 0, v33, s[28:29]
	v_cndmask_b32_e64 v32, 0, v32, s[28:29]
	v_add_co_u32_e64 v11, s[28:29], v33, v11
	v_addc_co_u32_e64 v12, s[28:29], v32, v12, s[28:29]
	v_cmp_ne_u16_sdwa s[28:29], v65, v31 src0_sel:BYTE_0 src1_sel:DWORD
	s_or_b64 s[28:29], s[28:29], s[46:47]
	s_or_b64 s[28:29], s[28:29], s[36:37]
	;; [unrolled: 1-line block ×3, first 2 shown]
	v_cmp_eq_u32_e64 s[26:27], 1, v88
	s_or_b64 s[28:29], s[28:29], s[30:31]
	s_or_b64 s[28:29], s[28:29], s[26:27]
	v_mbcnt_hi_u32_b32 v31, -1, v64
	v_and_b32_e32 v34, 15, v31
	v_cndmask_b32_e64 v33, 0, 1, s[28:29]
	v_cndmask_b32_e64 v32, 0, 1, s[28:29]
	v_mov_b32_dpp v35, v11 row_shr:1 row_mask:0xf bank_mask:0xf
	v_mov_b32_dpp v36, v12 row_shr:1 row_mask:0xf bank_mask:0xf
	;; [unrolled: 1-line block ×3, first 2 shown]
	v_cmp_ne_u32_e64 s[26:27], 0, v34
	s_and_saveexec_b64 s[30:31], s[26:27]
; %bb.165:
	v_and_b32_e32 v33, 1, v37
	v_cndmask_b32_e64 v35, v35, 0, s[28:29]
	v_or_b32_e32 v32, v33, v32
	v_cndmask_b32_e64 v33, v36, 0, s[28:29]
	v_add_co_u32_e64 v11, s[26:27], v35, v11
	v_addc_co_u32_e64 v12, s[26:27], v33, v12, s[26:27]
	v_and_b32_e32 v33, 0xffff, v32
; %bb.166:
	s_or_b64 exec, exec, s[30:31]
	v_mov_b32_dpp v35, v11 row_shr:2 row_mask:0xf bank_mask:0xf
	v_mov_b32_dpp v36, v12 row_shr:2 row_mask:0xf bank_mask:0xf
	v_mov_b32_dpp v37, v33 row_shr:2 row_mask:0xf bank_mask:0xf
	v_cmp_lt_u32_e64 s[26:27], 1, v34
	s_and_saveexec_b64 s[30:31], s[26:27]
	s_cbranch_execz .LBB113_168
; %bb.167:
	v_and_b32_e32 v33, 1, v32
	v_cmp_eq_u32_e64 s[26:27], 1, v33
	v_and_b32_e32 v33, 1, v37
	v_cmp_eq_u32_e64 s[28:29], 1, v33
	s_or_b64 s[28:29], s[26:27], s[28:29]
	v_cmp_eq_u16_e64 s[26:27], 0, v32
	v_cndmask_b32_e64 v33, 0, v35, s[26:27]
	v_cndmask_b32_e64 v37, 0, 1, s[28:29]
	v_cndmask_b32_e64 v32, 0, v36, s[26:27]
	v_add_co_u32_e64 v11, s[26:27], v33, v11
	v_addc_co_u32_e64 v12, s[26:27], v32, v12, s[26:27]
	v_cndmask_b32_e64 v33, 0, 1, s[28:29]
	v_mov_b32_e32 v32, v37
.LBB113_168:
	s_or_b64 exec, exec, s[30:31]
	v_mov_b32_dpp v35, v11 row_shr:4 row_mask:0xf bank_mask:0xf
	v_mov_b32_dpp v36, v12 row_shr:4 row_mask:0xf bank_mask:0xf
	v_mov_b32_dpp v37, v33 row_shr:4 row_mask:0xf bank_mask:0xf
	v_cmp_lt_u32_e64 s[26:27], 3, v34
	s_and_saveexec_b64 s[30:31], s[26:27]
	s_cbranch_execz .LBB113_170
; %bb.169:
	v_and_b32_e32 v33, 1, v32
	v_cmp_eq_u32_e64 s[26:27], 1, v33
	v_and_b32_e32 v33, 1, v37
	v_cmp_eq_u32_e64 s[28:29], 1, v33
	s_or_b64 s[28:29], s[26:27], s[28:29]
	v_cmp_eq_u16_e64 s[26:27], 0, v32
	v_cndmask_b32_e64 v33, 0, v35, s[26:27]
	v_cndmask_b32_e64 v37, 0, 1, s[28:29]
	v_cndmask_b32_e64 v32, 0, v36, s[26:27]
	v_add_co_u32_e64 v11, s[26:27], v33, v11
	v_addc_co_u32_e64 v12, s[26:27], v32, v12, s[26:27]
	v_cndmask_b32_e64 v33, 0, 1, s[28:29]
	v_mov_b32_e32 v32, v37
.LBB113_170:
	s_or_b64 exec, exec, s[30:31]
	v_mov_b32_dpp v35, v11 row_shr:8 row_mask:0xf bank_mask:0xf
	v_mov_b32_dpp v36, v12 row_shr:8 row_mask:0xf bank_mask:0xf
	v_mov_b32_dpp v37, v33 row_shr:8 row_mask:0xf bank_mask:0xf
	v_cmp_lt_u32_e64 s[26:27], 7, v34
	s_and_saveexec_b64 s[30:31], s[26:27]
	s_cbranch_execz .LBB113_172
; %bb.171:
	v_and_b32_e32 v33, 1, v32
	v_cmp_eq_u32_e64 s[26:27], 1, v33
	v_and_b32_e32 v33, 1, v37
	v_cmp_eq_u32_e64 s[28:29], 1, v33
	s_or_b64 s[28:29], s[26:27], s[28:29]
	v_cmp_eq_u16_e64 s[26:27], 0, v32
	v_cndmask_b32_e64 v33, 0, v35, s[26:27]
	v_cndmask_b32_e64 v34, 0, 1, s[28:29]
	v_cndmask_b32_e64 v32, 0, v36, s[26:27]
	v_add_co_u32_e64 v11, s[26:27], v33, v11
	v_addc_co_u32_e64 v12, s[26:27], v32, v12, s[26:27]
	v_cndmask_b32_e64 v33, 0, 1, s[28:29]
	v_mov_b32_e32 v32, v34
.LBB113_172:
	s_or_b64 exec, exec, s[30:31]
	v_and_b32_e32 v37, 16, v31
	v_mov_b32_dpp v34, v11 row_bcast:15 row_mask:0xf bank_mask:0xf
	v_mov_b32_dpp v35, v12 row_bcast:15 row_mask:0xf bank_mask:0xf
	v_mov_b32_dpp v36, v33 row_bcast:15 row_mask:0xf bank_mask:0xf
	v_cmp_ne_u32_e64 s[26:27], 0, v37
	s_and_saveexec_b64 s[30:31], s[26:27]
	s_cbranch_execz .LBB113_174
; %bb.173:
	v_and_b32_e32 v33, 1, v32
	v_cmp_eq_u32_e64 s[26:27], 1, v33
	v_and_b32_e32 v33, 1, v36
	v_cmp_eq_u32_e64 s[28:29], 1, v33
	s_or_b64 s[28:29], s[26:27], s[28:29]
	v_cmp_eq_u16_e64 s[26:27], 0, v32
	v_cndmask_b32_e64 v33, 0, v34, s[26:27]
	v_cndmask_b32_e64 v36, 0, 1, s[28:29]
	;; [unrolled: 1-line block ×3, first 2 shown]
	v_add_co_u32_e64 v11, s[26:27], v33, v11
	v_addc_co_u32_e64 v12, s[26:27], v32, v12, s[26:27]
	v_cndmask_b32_e64 v33, 0, 1, s[28:29]
	v_mov_b32_e32 v32, v36
.LBB113_174:
	s_or_b64 exec, exec, s[30:31]
	v_mov_b32_dpp v34, v11 row_bcast:31 row_mask:0xf bank_mask:0xf
	v_mov_b32_dpp v35, v12 row_bcast:31 row_mask:0xf bank_mask:0xf
	;; [unrolled: 1-line block ×3, first 2 shown]
	v_cmp_lt_u32_e64 s[26:27], 31, v31
	s_and_saveexec_b64 s[30:31], s[26:27]
	s_cbranch_execz .LBB113_176
; %bb.175:
	v_and_b32_e32 v36, 1, v32
	v_and_b32_e32 v33, 1, v33
	v_cmp_eq_u32_e64 s[26:27], 1, v36
	v_cmp_eq_u32_e64 s[28:29], 1, v33
	s_or_b64 s[26:27], s[26:27], s[28:29]
	v_cndmask_b32_e64 v33, 0, 1, s[26:27]
	v_cmp_eq_u16_e64 s[26:27], 0, v32
	v_cndmask_b32_e64 v34, 0, v34, s[26:27]
	v_cndmask_b32_e64 v32, 0, v35, s[26:27]
	v_add_co_u32_e64 v11, s[26:27], v34, v11
	v_addc_co_u32_e64 v12, s[26:27], v32, v12, s[26:27]
	v_mov_b32_e32 v32, v33
.LBB113_176:
	s_or_b64 exec, exec, s[30:31]
	v_cmp_eq_u32_e64 s[26:27], 63, v0
	s_and_saveexec_b64 s[28:29], s[26:27]
	s_cbranch_execz .LBB113_178
; %bb.177:
	v_mov_b32_e32 v33, 0
	ds_write_b64 v33, v[11:12]
	ds_write_b8 v33, v32 offset:8
.LBB113_178:
	s_or_b64 exec, exec, s[28:29]
	v_cmp_eq_u16_e64 s[26:27], 0, v32
	s_waitcnt vmcnt(0)
	v_cndmask_b32_e64 v33, 0, v59, s[26:27]
	v_cndmask_b32_e64 v32, 0, v60, s[26:27]
	v_add_co_u32_e64 v11, s[26:27], v33, v11
	v_addc_co_u32_e64 v12, s[26:27], v32, v12, s[26:27]
	v_subrev_co_u32_e64 v32, s[26:27], 1, v31
	v_and_b32_e32 v33, 64, v31
	v_cmp_lt_i32_e64 s[28:29], v32, v33
	v_cndmask_b32_e64 v31, v32, v31, s[28:29]
	v_lshlrev_b32_e32 v31, 2, v31
	ds_bpermute_b32 v11, v31, v11
	ds_bpermute_b32 v12, v31, v12
	v_cmp_eq_u32_e64 s[28:29], 0, v0
	s_or_b64 s[26:27], s[28:29], s[26:27]
	s_waitcnt lgkmcnt(0)
	v_cndmask_b32_e64 v31, v11, v59, s[26:27]
	v_mov_b32_e32 v11, 0
	v_cndmask_b32_e64 v32, v12, v60, s[26:27]
	v_cmp_eq_u16_sdwa s[26:27], v83, v11 src0_sel:BYTE_0 src1_sel:DWORD
	v_cndmask_b32_e64 v33, 0, v31, s[26:27]
	v_cndmask_b32_e64 v12, 0, v32, s[26:27]
	v_add_co_u32_e64 v33, s[26:27], v33, v29
	v_addc_co_u32_e64 v34, s[26:27], v12, v30, s[26:27]
	v_cndmask_b32_e64 v29, 0, v33, s[16:17]
	v_cndmask_b32_e64 v12, 0, v34, s[16:17]
	v_add_co_u32_e64 v35, s[16:17], v29, v3
	v_addc_co_u32_e64 v36, s[16:17], v12, v4, s[16:17]
	v_cndmask_b32_e32 v4, 0, v35, vcc
	v_cndmask_b32_e32 v3, 0, v36, vcc
	v_add_co_u32_e32 v37, vcc, v4, v27
	v_addc_co_u32_e32 v38, vcc, v3, v28, vcc
	v_cndmask_b32_e64 v4, 0, v37, s[2:3]
	v_cndmask_b32_e64 v3, 0, v38, s[2:3]
	v_add_co_u32_e32 v39, vcc, v4, v25
	v_addc_co_u32_e32 v40, vcc, v3, v26, vcc
	v_cndmask_b32_e64 v4, 0, v39, s[18:19]
	v_cndmask_b32_e64 v3, 0, v40, s[18:19]
	;; [unrolled: 4-line block ×11, first 2 shown]
	; wave barrier
	s_and_saveexec_b64 s[2:3], s[28:29]
	s_cbranch_execz .LBB113_180
; %bb.179:
	ds_read_u8 v5, v11 offset:8
	ds_read_b64 v[3:4], v11
	v_mov_b32_e32 v31, v59
	v_mov_b32_e32 v32, v60
	s_waitcnt lgkmcnt(1)
	v_cmp_eq_u32_sdwa vcc, v5, v11 src0_sel:WORD_0 src1_sel:DWORD
	v_cndmask_b32_e32 v7, 0, v59, vcc
	v_cndmask_b32_e32 v6, 0, v60, vcc
	s_waitcnt lgkmcnt(0)
	v_add_co_u32_e32 v3, vcc, v7, v3
	v_addc_co_u32_e32 v4, vcc, v6, v4, vcc
	global_store_dwordx2 v11, v[3:4], s[38:39] offset:1024
	global_store_byte v11, v5, s[38:39] offset:1032
	v_mov_b32_e32 v3, 2
	s_waitcnt vmcnt(0)
	buffer_wbinvl1_vol
	global_store_byte v11, v3, s[40:41] offset:64
.LBB113_180:
	s_or_b64 exec, exec, s[2:3]
.LBB113_181:
	v_add_co_u32_e32 v29, vcc, v61, v1
	v_addc_co_u32_e32 v30, vcc, v62, v2, vcc
	s_add_u32 s2, s44, s48
	s_addc_u32 s3, s45, s49
	s_and_b64 vcc, exec, s[0:1]
	s_cbranch_vccz .LBB113_235
; %bb.182:
	s_add_i32 s33, s33, s42
	v_mul_u32_u24_e32 v1, 15, v0
	v_cmp_gt_u32_e32 vcc, s33, v1
	s_and_saveexec_b64 s[0:1], vcc
	s_cbranch_execz .LBB113_206
; %bb.183:
	v_add_u32_e32 v2, 1, v1
	v_cmp_gt_u32_e32 vcc, s33, v2
	s_and_saveexec_b64 s[4:5], vcc
	s_cbranch_execz .LBB113_205
; %bb.184:
	v_add_u32_e32 v2, 2, v1
	;; [unrolled: 5-line block ×11, first 2 shown]
	v_cmp_gt_u32_e32 vcc, s33, v2
	s_and_saveexec_b64 s[24:25], vcc
; %bb.194:
	v_add_u32_e32 v2, 12, v1
	v_cmp_gt_u32_e32 vcc, s33, v2
	s_and_saveexec_b64 s[26:27], vcc
	s_or_b64 exec, exec, s[26:27]
; %bb.195:
	s_or_b64 exec, exec, s[24:25]
.LBB113_196:
	s_or_b64 exec, exec, s[22:23]
.LBB113_197:
	s_or_b64 exec, exec, s[20:21]
.LBB113_198:
	s_or_b64 exec, exec, s[18:19]
.LBB113_199:
	s_or_b64 exec, exec, s[16:17]
.LBB113_200:
	s_or_b64 exec, exec, s[14:15]
.LBB113_201:
	s_or_b64 exec, exec, s[12:13]
.LBB113_202:
	s_or_b64 exec, exec, s[10:11]
.LBB113_203:
	s_or_b64 exec, exec, s[8:9]
.LBB113_204:
	s_or_b64 exec, exec, s[6:7]
.LBB113_205:
	s_or_b64 exec, exec, s[4:5]
.LBB113_206:
	s_or_b64 exec, exec, s[0:1]
	v_lshlrev_b32_e32 v61, 3, v1
	s_movk_i32 s0, 0xff90
	v_mad_i32_i24 v1, v0, s0, v61
	; wave barrier
	ds_write2_b64 v61, v[31:32], v[33:34] offset1:1
	ds_write2_b64 v61, v[35:36], v[37:38] offset0:2 offset1:3
	ds_write2_b64 v61, v[39:40], v[41:42] offset0:4 offset1:5
	;; [unrolled: 1-line block ×6, first 2 shown]
	ds_write_b64 v61, v[29:30] offset:112
	s_waitcnt lgkmcnt(0)
	; wave barrier
	ds_read2st64_b64 v[25:28], v1 offset0:1 offset1:2
	ds_read2st64_b64 v[21:24], v1 offset0:3 offset1:4
	ds_read2st64_b64 v[17:20], v1 offset0:5 offset1:6
	ds_read2st64_b64 v[13:16], v1 offset0:7 offset1:8
	ds_read2st64_b64 v[9:12], v1 offset0:9 offset1:10
	ds_read2st64_b64 v[5:8], v1 offset0:11 offset1:12
	ds_read2st64_b64 v[1:4], v1 offset0:13 offset1:14
	v_lshlrev_b32_e32 v59, 3, v0
	v_mov_b32_e32 v60, s3
	v_add_co_u32_e32 v59, vcc, s2, v59
	v_addc_co_u32_e32 v60, vcc, 0, v60, vcc
	v_cmp_gt_u32_e32 vcc, s33, v0
	s_and_saveexec_b64 s[0:1], vcc
	s_cbranch_execz .LBB113_208
; %bb.207:
	v_mul_i32_i24_e32 v62, 0xffffff90, v0
	v_add_u32_e32 v61, v61, v62
	ds_read_b64 v[61:62], v61
	s_waitcnt lgkmcnt(0)
	global_store_dwordx2 v[59:60], v[61:62], off
.LBB113_208:
	s_or_b64 exec, exec, s[0:1]
	v_or_b32_e32 v61, 64, v0
	v_cmp_gt_u32_e32 vcc, s33, v61
	s_and_saveexec_b64 s[0:1], vcc
	s_cbranch_execz .LBB113_210
; %bb.209:
	s_waitcnt lgkmcnt(6)
	global_store_dwordx2 v[59:60], v[25:26], off offset:512
.LBB113_210:
	s_or_b64 exec, exec, s[0:1]
	s_waitcnt lgkmcnt(6)
	v_or_b32_e32 v25, 0x80, v0
	v_cmp_gt_u32_e32 vcc, s33, v25
	s_and_saveexec_b64 s[0:1], vcc
	s_cbranch_execz .LBB113_212
; %bb.211:
	global_store_dwordx2 v[59:60], v[27:28], off offset:1024
.LBB113_212:
	s_or_b64 exec, exec, s[0:1]
	v_or_b32_e32 v25, 0xc0, v0
	v_cmp_gt_u32_e32 vcc, s33, v25
	s_and_saveexec_b64 s[0:1], vcc
	s_cbranch_execz .LBB113_214
; %bb.213:
	s_waitcnt lgkmcnt(5)
	global_store_dwordx2 v[59:60], v[21:22], off offset:1536
.LBB113_214:
	s_or_b64 exec, exec, s[0:1]
	s_waitcnt lgkmcnt(5)
	v_or_b32_e32 v21, 0x100, v0
	v_cmp_gt_u32_e32 vcc, s33, v21
	s_and_saveexec_b64 s[0:1], vcc
	s_cbranch_execz .LBB113_216
; %bb.215:
	global_store_dwordx2 v[59:60], v[23:24], off offset:2048
.LBB113_216:
	;; [unrolled: 18-line block ×3, first 2 shown]
	s_or_b64 exec, exec, s[0:1]
	v_or_b32_e32 v17, 0x1c0, v0
	v_cmp_gt_u32_e32 vcc, s33, v17
	s_and_saveexec_b64 s[0:1], vcc
	s_cbranch_execz .LBB113_222
; %bb.221:
	s_waitcnt lgkmcnt(3)
	global_store_dwordx2 v[59:60], v[13:14], off offset:3584
.LBB113_222:
	s_or_b64 exec, exec, s[0:1]
	s_waitcnt lgkmcnt(3)
	v_or_b32_e32 v13, 0x200, v0
	v_cmp_gt_u32_e32 vcc, s33, v13
	s_and_saveexec_b64 s[0:1], vcc
	s_cbranch_execz .LBB113_224
; %bb.223:
	v_add_co_u32_e32 v13, vcc, 0x1000, v59
	v_addc_co_u32_e32 v14, vcc, 0, v60, vcc
	global_store_dwordx2 v[13:14], v[15:16], off
.LBB113_224:
	s_or_b64 exec, exec, s[0:1]
	v_or_b32_e32 v13, 0x240, v0
	v_cmp_gt_u32_e32 vcc, s33, v13
	s_and_saveexec_b64 s[0:1], vcc
	s_cbranch_execz .LBB113_226
; %bb.225:
	v_add_co_u32_e32 v13, vcc, 0x1000, v59
	v_addc_co_u32_e32 v14, vcc, 0, v60, vcc
	s_waitcnt lgkmcnt(2)
	global_store_dwordx2 v[13:14], v[9:10], off offset:512
.LBB113_226:
	s_or_b64 exec, exec, s[0:1]
	s_waitcnt lgkmcnt(2)
	v_or_b32_e32 v9, 0x280, v0
	v_cmp_gt_u32_e32 vcc, s33, v9
	s_and_saveexec_b64 s[0:1], vcc
	s_cbranch_execz .LBB113_228
; %bb.227:
	v_add_co_u32_e32 v9, vcc, 0x1000, v59
	v_addc_co_u32_e32 v10, vcc, 0, v60, vcc
	global_store_dwordx2 v[9:10], v[11:12], off offset:1024
.LBB113_228:
	s_or_b64 exec, exec, s[0:1]
	v_or_b32_e32 v9, 0x2c0, v0
	v_cmp_gt_u32_e32 vcc, s33, v9
	s_and_saveexec_b64 s[0:1], vcc
	s_cbranch_execz .LBB113_230
; %bb.229:
	v_add_co_u32_e32 v9, vcc, 0x1000, v59
	v_addc_co_u32_e32 v10, vcc, 0, v60, vcc
	s_waitcnt lgkmcnt(1)
	global_store_dwordx2 v[9:10], v[5:6], off offset:1536
.LBB113_230:
	s_or_b64 exec, exec, s[0:1]
	s_waitcnt lgkmcnt(1)
	v_or_b32_e32 v5, 0x300, v0
	v_cmp_gt_u32_e32 vcc, s33, v5
	s_and_saveexec_b64 s[0:1], vcc
	s_cbranch_execz .LBB113_232
; %bb.231:
	v_add_co_u32_e32 v5, vcc, 0x1000, v59
	v_addc_co_u32_e32 v6, vcc, 0, v60, vcc
	global_store_dwordx2 v[5:6], v[7:8], off offset:2048
.LBB113_232:
	s_or_b64 exec, exec, s[0:1]
	v_or_b32_e32 v5, 0x340, v0
	v_cmp_gt_u32_e32 vcc, s33, v5
	s_and_saveexec_b64 s[0:1], vcc
	s_cbranch_execz .LBB113_234
; %bb.233:
	v_add_co_u32_e32 v5, vcc, 0x1000, v59
	v_addc_co_u32_e32 v6, vcc, 0, v60, vcc
	s_waitcnt lgkmcnt(0)
	global_store_dwordx2 v[5:6], v[1:2], off offset:2560
.LBB113_234:
	s_or_b64 exec, exec, s[0:1]
	s_waitcnt lgkmcnt(0)
	v_or_b32_e32 v1, 0x380, v0
	v_cmp_gt_u32_e64 s[0:1], s33, v1
	s_branch .LBB113_237
.LBB113_235:
	s_mov_b64 s[0:1], 0
                                        ; implicit-def: $vgpr3_vgpr4
	s_cbranch_execz .LBB113_237
; %bb.236:
	v_mul_u32_u24_e32 v1, 0x78, v0
	; wave barrier
	s_movk_i32 s4, 0x78
	ds_write2_b64 v1, v[31:32], v[33:34] offset1:1
	ds_write2_b64 v1, v[35:36], v[37:38] offset0:2 offset1:3
	ds_write2_b64 v1, v[39:40], v[41:42] offset0:4 offset1:5
	;; [unrolled: 1-line block ×6, first 2 shown]
	ds_write_b64 v1, v[29:30] offset:112
	v_mul_i32_i24_e32 v1, 0xffffff90, v0
	v_mad_u32_u24 v1, v0, s4, v1
	s_waitcnt lgkmcnt(0)
	; wave barrier
	ds_read2st64_b64 v[5:8], v1 offset1:1
	ds_read2st64_b64 v[9:12], v1 offset0:2 offset1:3
	ds_read2st64_b64 v[13:16], v1 offset0:4 offset1:5
	;; [unrolled: 1-line block ×6, first 2 shown]
	ds_read_b64 v[3:4], v1 offset:7168
	v_lshlrev_b32_e32 v1, 3, v0
	v_mov_b32_e32 v2, s3
	v_add_co_u32_e32 v33, vcc, s2, v1
	v_addc_co_u32_e32 v2, vcc, 0, v2, vcc
	s_waitcnt lgkmcnt(7)
	global_store_dwordx2 v1, v[5:6], s[2:3]
	global_store_dwordx2 v1, v[7:8], s[2:3] offset:512
	s_waitcnt lgkmcnt(6)
	global_store_dwordx2 v1, v[9:10], s[2:3] offset:1024
	global_store_dwordx2 v1, v[11:12], s[2:3] offset:1536
	s_waitcnt lgkmcnt(5)
	global_store_dwordx2 v1, v[13:14], s[2:3] offset:2048
	;; [unrolled: 3-line block ×3, first 2 shown]
	global_store_dwordx2 v1, v[19:20], s[2:3] offset:3584
	v_add_co_u32_e32 v1, vcc, 0x1000, v33
	v_addc_co_u32_e32 v2, vcc, 0, v2, vcc
	s_or_b64 s[0:1], s[0:1], exec
	s_waitcnt lgkmcnt(3)
	global_store_dwordx2 v[1:2], v[21:22], off
	global_store_dwordx2 v[1:2], v[23:24], off offset:512
	s_waitcnt lgkmcnt(2)
	global_store_dwordx2 v[1:2], v[25:26], off offset:1024
	global_store_dwordx2 v[1:2], v[27:28], off offset:1536
	s_waitcnt lgkmcnt(1)
	global_store_dwordx2 v[1:2], v[29:30], off offset:2048
	global_store_dwordx2 v[1:2], v[31:32], off offset:2560
.LBB113_237:
	s_and_saveexec_b64 s[4:5], s[0:1]
	s_cbranch_execz .LBB113_239
; %bb.238:
	v_lshlrev_b32_e32 v0, 3, v0
	v_mov_b32_e32 v1, s3
	v_add_co_u32_e32 v0, vcc, s2, v0
	v_addc_co_u32_e32 v1, vcc, 0, v1, vcc
	v_add_co_u32_e32 v0, vcc, 0x1000, v0
	v_addc_co_u32_e32 v1, vcc, 0, v1, vcc
	s_waitcnt lgkmcnt(0)
	global_store_dwordx2 v[0:1], v[3:4], off offset:3072
	s_endpgm
.LBB113_239:
	s_endpgm
	.section	.rodata,"a",@progbits
	.p2align	6, 0x0
	.amdhsa_kernel _ZN7rocprim6detail25device_scan_by_key_kernelILNS0_25lookback_scan_determinismE0ELb1ENS0_26wrapped_scan_by_key_configINS_14default_configEiyEEPiN6hipcub22TransformInputIteratorIyNS7_6CastOpIyEEPylEESB_yNS7_8EqualityENS7_3SumENS0_19lookback_scan_stateINS_5tupleIJybEEELb0ELb0EEEyEEvT2_T3_T4_T5_T6_T7_T8_mmmPKNSG_IJT9_bEEE
		.amdhsa_group_segment_fixed_size 7680
		.amdhsa_private_segment_fixed_size 0
		.amdhsa_kernarg_size 104
		.amdhsa_user_sgpr_count 6
		.amdhsa_user_sgpr_private_segment_buffer 1
		.amdhsa_user_sgpr_dispatch_ptr 0
		.amdhsa_user_sgpr_queue_ptr 0
		.amdhsa_user_sgpr_kernarg_segment_ptr 1
		.amdhsa_user_sgpr_dispatch_id 0
		.amdhsa_user_sgpr_flat_scratch_init 0
		.amdhsa_user_sgpr_private_segment_size 0
		.amdhsa_uses_dynamic_stack 0
		.amdhsa_system_sgpr_private_segment_wavefront_offset 0
		.amdhsa_system_sgpr_workgroup_id_x 1
		.amdhsa_system_sgpr_workgroup_id_y 0
		.amdhsa_system_sgpr_workgroup_id_z 0
		.amdhsa_system_sgpr_workgroup_info 0
		.amdhsa_system_vgpr_workitem_id 0
		.amdhsa_next_free_vgpr 104
		.amdhsa_next_free_sgpr 98
		.amdhsa_reserve_vcc 1
		.amdhsa_reserve_flat_scratch 0
		.amdhsa_float_round_mode_32 0
		.amdhsa_float_round_mode_16_64 0
		.amdhsa_float_denorm_mode_32 3
		.amdhsa_float_denorm_mode_16_64 3
		.amdhsa_dx10_clamp 1
		.amdhsa_ieee_mode 1
		.amdhsa_fp16_overflow 0
		.amdhsa_exception_fp_ieee_invalid_op 0
		.amdhsa_exception_fp_denorm_src 0
		.amdhsa_exception_fp_ieee_div_zero 0
		.amdhsa_exception_fp_ieee_overflow 0
		.amdhsa_exception_fp_ieee_underflow 0
		.amdhsa_exception_fp_ieee_inexact 0
		.amdhsa_exception_int_div_zero 0
	.end_amdhsa_kernel
	.section	.text._ZN7rocprim6detail25device_scan_by_key_kernelILNS0_25lookback_scan_determinismE0ELb1ENS0_26wrapped_scan_by_key_configINS_14default_configEiyEEPiN6hipcub22TransformInputIteratorIyNS7_6CastOpIyEEPylEESB_yNS7_8EqualityENS7_3SumENS0_19lookback_scan_stateINS_5tupleIJybEEELb0ELb0EEEyEEvT2_T3_T4_T5_T6_T7_T8_mmmPKNSG_IJT9_bEEE,"axG",@progbits,_ZN7rocprim6detail25device_scan_by_key_kernelILNS0_25lookback_scan_determinismE0ELb1ENS0_26wrapped_scan_by_key_configINS_14default_configEiyEEPiN6hipcub22TransformInputIteratorIyNS7_6CastOpIyEEPylEESB_yNS7_8EqualityENS7_3SumENS0_19lookback_scan_stateINS_5tupleIJybEEELb0ELb0EEEyEEvT2_T3_T4_T5_T6_T7_T8_mmmPKNSG_IJT9_bEEE,comdat
.Lfunc_end113:
	.size	_ZN7rocprim6detail25device_scan_by_key_kernelILNS0_25lookback_scan_determinismE0ELb1ENS0_26wrapped_scan_by_key_configINS_14default_configEiyEEPiN6hipcub22TransformInputIteratorIyNS7_6CastOpIyEEPylEESB_yNS7_8EqualityENS7_3SumENS0_19lookback_scan_stateINS_5tupleIJybEEELb0ELb0EEEyEEvT2_T3_T4_T5_T6_T7_T8_mmmPKNSG_IJT9_bEEE, .Lfunc_end113-_ZN7rocprim6detail25device_scan_by_key_kernelILNS0_25lookback_scan_determinismE0ELb1ENS0_26wrapped_scan_by_key_configINS_14default_configEiyEEPiN6hipcub22TransformInputIteratorIyNS7_6CastOpIyEEPylEESB_yNS7_8EqualityENS7_3SumENS0_19lookback_scan_stateINS_5tupleIJybEEELb0ELb0EEEyEEvT2_T3_T4_T5_T6_T7_T8_mmmPKNSG_IJT9_bEEE
                                        ; -- End function
	.set _ZN7rocprim6detail25device_scan_by_key_kernelILNS0_25lookback_scan_determinismE0ELb1ENS0_26wrapped_scan_by_key_configINS_14default_configEiyEEPiN6hipcub22TransformInputIteratorIyNS7_6CastOpIyEEPylEESB_yNS7_8EqualityENS7_3SumENS0_19lookback_scan_stateINS_5tupleIJybEEELb0ELb0EEEyEEvT2_T3_T4_T5_T6_T7_T8_mmmPKNSG_IJT9_bEEE.num_vgpr, 104
	.set _ZN7rocprim6detail25device_scan_by_key_kernelILNS0_25lookback_scan_determinismE0ELb1ENS0_26wrapped_scan_by_key_configINS_14default_configEiyEEPiN6hipcub22TransformInputIteratorIyNS7_6CastOpIyEEPylEESB_yNS7_8EqualityENS7_3SumENS0_19lookback_scan_stateINS_5tupleIJybEEELb0ELb0EEEyEEvT2_T3_T4_T5_T6_T7_T8_mmmPKNSG_IJT9_bEEE.num_agpr, 0
	.set _ZN7rocprim6detail25device_scan_by_key_kernelILNS0_25lookback_scan_determinismE0ELb1ENS0_26wrapped_scan_by_key_configINS_14default_configEiyEEPiN6hipcub22TransformInputIteratorIyNS7_6CastOpIyEEPylEESB_yNS7_8EqualityENS7_3SumENS0_19lookback_scan_stateINS_5tupleIJybEEELb0ELb0EEEyEEvT2_T3_T4_T5_T6_T7_T8_mmmPKNSG_IJT9_bEEE.numbered_sgpr, 90
	.set _ZN7rocprim6detail25device_scan_by_key_kernelILNS0_25lookback_scan_determinismE0ELb1ENS0_26wrapped_scan_by_key_configINS_14default_configEiyEEPiN6hipcub22TransformInputIteratorIyNS7_6CastOpIyEEPylEESB_yNS7_8EqualityENS7_3SumENS0_19lookback_scan_stateINS_5tupleIJybEEELb0ELb0EEEyEEvT2_T3_T4_T5_T6_T7_T8_mmmPKNSG_IJT9_bEEE.num_named_barrier, 0
	.set _ZN7rocprim6detail25device_scan_by_key_kernelILNS0_25lookback_scan_determinismE0ELb1ENS0_26wrapped_scan_by_key_configINS_14default_configEiyEEPiN6hipcub22TransformInputIteratorIyNS7_6CastOpIyEEPylEESB_yNS7_8EqualityENS7_3SumENS0_19lookback_scan_stateINS_5tupleIJybEEELb0ELb0EEEyEEvT2_T3_T4_T5_T6_T7_T8_mmmPKNSG_IJT9_bEEE.private_seg_size, 0
	.set _ZN7rocprim6detail25device_scan_by_key_kernelILNS0_25lookback_scan_determinismE0ELb1ENS0_26wrapped_scan_by_key_configINS_14default_configEiyEEPiN6hipcub22TransformInputIteratorIyNS7_6CastOpIyEEPylEESB_yNS7_8EqualityENS7_3SumENS0_19lookback_scan_stateINS_5tupleIJybEEELb0ELb0EEEyEEvT2_T3_T4_T5_T6_T7_T8_mmmPKNSG_IJT9_bEEE.uses_vcc, 1
	.set _ZN7rocprim6detail25device_scan_by_key_kernelILNS0_25lookback_scan_determinismE0ELb1ENS0_26wrapped_scan_by_key_configINS_14default_configEiyEEPiN6hipcub22TransformInputIteratorIyNS7_6CastOpIyEEPylEESB_yNS7_8EqualityENS7_3SumENS0_19lookback_scan_stateINS_5tupleIJybEEELb0ELb0EEEyEEvT2_T3_T4_T5_T6_T7_T8_mmmPKNSG_IJT9_bEEE.uses_flat_scratch, 0
	.set _ZN7rocprim6detail25device_scan_by_key_kernelILNS0_25lookback_scan_determinismE0ELb1ENS0_26wrapped_scan_by_key_configINS_14default_configEiyEEPiN6hipcub22TransformInputIteratorIyNS7_6CastOpIyEEPylEESB_yNS7_8EqualityENS7_3SumENS0_19lookback_scan_stateINS_5tupleIJybEEELb0ELb0EEEyEEvT2_T3_T4_T5_T6_T7_T8_mmmPKNSG_IJT9_bEEE.has_dyn_sized_stack, 0
	.set _ZN7rocprim6detail25device_scan_by_key_kernelILNS0_25lookback_scan_determinismE0ELb1ENS0_26wrapped_scan_by_key_configINS_14default_configEiyEEPiN6hipcub22TransformInputIteratorIyNS7_6CastOpIyEEPylEESB_yNS7_8EqualityENS7_3SumENS0_19lookback_scan_stateINS_5tupleIJybEEELb0ELb0EEEyEEvT2_T3_T4_T5_T6_T7_T8_mmmPKNSG_IJT9_bEEE.has_recursion, 0
	.set _ZN7rocprim6detail25device_scan_by_key_kernelILNS0_25lookback_scan_determinismE0ELb1ENS0_26wrapped_scan_by_key_configINS_14default_configEiyEEPiN6hipcub22TransformInputIteratorIyNS7_6CastOpIyEEPylEESB_yNS7_8EqualityENS7_3SumENS0_19lookback_scan_stateINS_5tupleIJybEEELb0ELb0EEEyEEvT2_T3_T4_T5_T6_T7_T8_mmmPKNSG_IJT9_bEEE.has_indirect_call, 0
	.section	.AMDGPU.csdata,"",@progbits
; Kernel info:
; codeLenInByte = 14932
; TotalNumSgprs: 94
; NumVgprs: 104
; ScratchSize: 0
; MemoryBound: 0
; FloatMode: 240
; IeeeMode: 1
; LDSByteSize: 7680 bytes/workgroup (compile time only)
; SGPRBlocks: 12
; VGPRBlocks: 25
; NumSGPRsForWavesPerEU: 102
; NumVGPRsForWavesPerEU: 104
; Occupancy: 2
; WaveLimiterHint : 1
; COMPUTE_PGM_RSRC2:SCRATCH_EN: 0
; COMPUTE_PGM_RSRC2:USER_SGPR: 6
; COMPUTE_PGM_RSRC2:TRAP_HANDLER: 0
; COMPUTE_PGM_RSRC2:TGID_X_EN: 1
; COMPUTE_PGM_RSRC2:TGID_Y_EN: 0
; COMPUTE_PGM_RSRC2:TGID_Z_EN: 0
; COMPUTE_PGM_RSRC2:TIDIG_COMP_CNT: 0
	.section	.text._ZN7rocprim6detail25device_scan_by_key_kernelILNS0_25lookback_scan_determinismE0ELb1ENS0_26wrapped_scan_by_key_configINS_14default_configEiyEEPiN6hipcub22TransformInputIteratorIyNS7_6CastOpIyEEPylEESB_yNS7_8EqualityENS7_3MinENS0_19lookback_scan_stateINS_5tupleIJybEEELb1ELb0EEEyEEvT2_T3_T4_T5_T6_T7_T8_mmmPKNSG_IJT9_bEEE,"axG",@progbits,_ZN7rocprim6detail25device_scan_by_key_kernelILNS0_25lookback_scan_determinismE0ELb1ENS0_26wrapped_scan_by_key_configINS_14default_configEiyEEPiN6hipcub22TransformInputIteratorIyNS7_6CastOpIyEEPylEESB_yNS7_8EqualityENS7_3MinENS0_19lookback_scan_stateINS_5tupleIJybEEELb1ELb0EEEyEEvT2_T3_T4_T5_T6_T7_T8_mmmPKNSG_IJT9_bEEE,comdat
	.protected	_ZN7rocprim6detail25device_scan_by_key_kernelILNS0_25lookback_scan_determinismE0ELb1ENS0_26wrapped_scan_by_key_configINS_14default_configEiyEEPiN6hipcub22TransformInputIteratorIyNS7_6CastOpIyEEPylEESB_yNS7_8EqualityENS7_3MinENS0_19lookback_scan_stateINS_5tupleIJybEEELb1ELb0EEEyEEvT2_T3_T4_T5_T6_T7_T8_mmmPKNSG_IJT9_bEEE ; -- Begin function _ZN7rocprim6detail25device_scan_by_key_kernelILNS0_25lookback_scan_determinismE0ELb1ENS0_26wrapped_scan_by_key_configINS_14default_configEiyEEPiN6hipcub22TransformInputIteratorIyNS7_6CastOpIyEEPylEESB_yNS7_8EqualityENS7_3MinENS0_19lookback_scan_stateINS_5tupleIJybEEELb1ELb0EEEyEEvT2_T3_T4_T5_T6_T7_T8_mmmPKNSG_IJT9_bEEE
	.globl	_ZN7rocprim6detail25device_scan_by_key_kernelILNS0_25lookback_scan_determinismE0ELb1ENS0_26wrapped_scan_by_key_configINS_14default_configEiyEEPiN6hipcub22TransformInputIteratorIyNS7_6CastOpIyEEPylEESB_yNS7_8EqualityENS7_3MinENS0_19lookback_scan_stateINS_5tupleIJybEEELb1ELb0EEEyEEvT2_T3_T4_T5_T6_T7_T8_mmmPKNSG_IJT9_bEEE
	.p2align	8
	.type	_ZN7rocprim6detail25device_scan_by_key_kernelILNS0_25lookback_scan_determinismE0ELb1ENS0_26wrapped_scan_by_key_configINS_14default_configEiyEEPiN6hipcub22TransformInputIteratorIyNS7_6CastOpIyEEPylEESB_yNS7_8EqualityENS7_3MinENS0_19lookback_scan_stateINS_5tupleIJybEEELb1ELb0EEEyEEvT2_T3_T4_T5_T6_T7_T8_mmmPKNSG_IJT9_bEEE,@function
_ZN7rocprim6detail25device_scan_by_key_kernelILNS0_25lookback_scan_determinismE0ELb1ENS0_26wrapped_scan_by_key_configINS_14default_configEiyEEPiN6hipcub22TransformInputIteratorIyNS7_6CastOpIyEEPylEESB_yNS7_8EqualityENS7_3MinENS0_19lookback_scan_stateINS_5tupleIJybEEELb1ELb0EEEyEEvT2_T3_T4_T5_T6_T7_T8_mmmPKNSG_IJT9_bEEE: ; @_ZN7rocprim6detail25device_scan_by_key_kernelILNS0_25lookback_scan_determinismE0ELb1ENS0_26wrapped_scan_by_key_configINS_14default_configEiyEEPiN6hipcub22TransformInputIteratorIyNS7_6CastOpIyEEPylEESB_yNS7_8EqualityENS7_3MinENS0_19lookback_scan_stateINS_5tupleIJybEEELb1ELb0EEEyEEvT2_T3_T4_T5_T6_T7_T8_mmmPKNSG_IJT9_bEEE
; %bb.0:
	s_endpgm
	.section	.rodata,"a",@progbits
	.p2align	6, 0x0
	.amdhsa_kernel _ZN7rocprim6detail25device_scan_by_key_kernelILNS0_25lookback_scan_determinismE0ELb1ENS0_26wrapped_scan_by_key_configINS_14default_configEiyEEPiN6hipcub22TransformInputIteratorIyNS7_6CastOpIyEEPylEESB_yNS7_8EqualityENS7_3MinENS0_19lookback_scan_stateINS_5tupleIJybEEELb1ELb0EEEyEEvT2_T3_T4_T5_T6_T7_T8_mmmPKNSG_IJT9_bEEE
		.amdhsa_group_segment_fixed_size 0
		.amdhsa_private_segment_fixed_size 0
		.amdhsa_kernarg_size 104
		.amdhsa_user_sgpr_count 6
		.amdhsa_user_sgpr_private_segment_buffer 1
		.amdhsa_user_sgpr_dispatch_ptr 0
		.amdhsa_user_sgpr_queue_ptr 0
		.amdhsa_user_sgpr_kernarg_segment_ptr 1
		.amdhsa_user_sgpr_dispatch_id 0
		.amdhsa_user_sgpr_flat_scratch_init 0
		.amdhsa_user_sgpr_private_segment_size 0
		.amdhsa_uses_dynamic_stack 0
		.amdhsa_system_sgpr_private_segment_wavefront_offset 0
		.amdhsa_system_sgpr_workgroup_id_x 1
		.amdhsa_system_sgpr_workgroup_id_y 0
		.amdhsa_system_sgpr_workgroup_id_z 0
		.amdhsa_system_sgpr_workgroup_info 0
		.amdhsa_system_vgpr_workitem_id 0
		.amdhsa_next_free_vgpr 1
		.amdhsa_next_free_sgpr 0
		.amdhsa_reserve_vcc 0
		.amdhsa_reserve_flat_scratch 0
		.amdhsa_float_round_mode_32 0
		.amdhsa_float_round_mode_16_64 0
		.amdhsa_float_denorm_mode_32 3
		.amdhsa_float_denorm_mode_16_64 3
		.amdhsa_dx10_clamp 1
		.amdhsa_ieee_mode 1
		.amdhsa_fp16_overflow 0
		.amdhsa_exception_fp_ieee_invalid_op 0
		.amdhsa_exception_fp_denorm_src 0
		.amdhsa_exception_fp_ieee_div_zero 0
		.amdhsa_exception_fp_ieee_overflow 0
		.amdhsa_exception_fp_ieee_underflow 0
		.amdhsa_exception_fp_ieee_inexact 0
		.amdhsa_exception_int_div_zero 0
	.end_amdhsa_kernel
	.section	.text._ZN7rocprim6detail25device_scan_by_key_kernelILNS0_25lookback_scan_determinismE0ELb1ENS0_26wrapped_scan_by_key_configINS_14default_configEiyEEPiN6hipcub22TransformInputIteratorIyNS7_6CastOpIyEEPylEESB_yNS7_8EqualityENS7_3MinENS0_19lookback_scan_stateINS_5tupleIJybEEELb1ELb0EEEyEEvT2_T3_T4_T5_T6_T7_T8_mmmPKNSG_IJT9_bEEE,"axG",@progbits,_ZN7rocprim6detail25device_scan_by_key_kernelILNS0_25lookback_scan_determinismE0ELb1ENS0_26wrapped_scan_by_key_configINS_14default_configEiyEEPiN6hipcub22TransformInputIteratorIyNS7_6CastOpIyEEPylEESB_yNS7_8EqualityENS7_3MinENS0_19lookback_scan_stateINS_5tupleIJybEEELb1ELb0EEEyEEvT2_T3_T4_T5_T6_T7_T8_mmmPKNSG_IJT9_bEEE,comdat
.Lfunc_end114:
	.size	_ZN7rocprim6detail25device_scan_by_key_kernelILNS0_25lookback_scan_determinismE0ELb1ENS0_26wrapped_scan_by_key_configINS_14default_configEiyEEPiN6hipcub22TransformInputIteratorIyNS7_6CastOpIyEEPylEESB_yNS7_8EqualityENS7_3MinENS0_19lookback_scan_stateINS_5tupleIJybEEELb1ELb0EEEyEEvT2_T3_T4_T5_T6_T7_T8_mmmPKNSG_IJT9_bEEE, .Lfunc_end114-_ZN7rocprim6detail25device_scan_by_key_kernelILNS0_25lookback_scan_determinismE0ELb1ENS0_26wrapped_scan_by_key_configINS_14default_configEiyEEPiN6hipcub22TransformInputIteratorIyNS7_6CastOpIyEEPylEESB_yNS7_8EqualityENS7_3MinENS0_19lookback_scan_stateINS_5tupleIJybEEELb1ELb0EEEyEEvT2_T3_T4_T5_T6_T7_T8_mmmPKNSG_IJT9_bEEE
                                        ; -- End function
	.set _ZN7rocprim6detail25device_scan_by_key_kernelILNS0_25lookback_scan_determinismE0ELb1ENS0_26wrapped_scan_by_key_configINS_14default_configEiyEEPiN6hipcub22TransformInputIteratorIyNS7_6CastOpIyEEPylEESB_yNS7_8EqualityENS7_3MinENS0_19lookback_scan_stateINS_5tupleIJybEEELb1ELb0EEEyEEvT2_T3_T4_T5_T6_T7_T8_mmmPKNSG_IJT9_bEEE.num_vgpr, 0
	.set _ZN7rocprim6detail25device_scan_by_key_kernelILNS0_25lookback_scan_determinismE0ELb1ENS0_26wrapped_scan_by_key_configINS_14default_configEiyEEPiN6hipcub22TransformInputIteratorIyNS7_6CastOpIyEEPylEESB_yNS7_8EqualityENS7_3MinENS0_19lookback_scan_stateINS_5tupleIJybEEELb1ELb0EEEyEEvT2_T3_T4_T5_T6_T7_T8_mmmPKNSG_IJT9_bEEE.num_agpr, 0
	.set _ZN7rocprim6detail25device_scan_by_key_kernelILNS0_25lookback_scan_determinismE0ELb1ENS0_26wrapped_scan_by_key_configINS_14default_configEiyEEPiN6hipcub22TransformInputIteratorIyNS7_6CastOpIyEEPylEESB_yNS7_8EqualityENS7_3MinENS0_19lookback_scan_stateINS_5tupleIJybEEELb1ELb0EEEyEEvT2_T3_T4_T5_T6_T7_T8_mmmPKNSG_IJT9_bEEE.numbered_sgpr, 0
	.set _ZN7rocprim6detail25device_scan_by_key_kernelILNS0_25lookback_scan_determinismE0ELb1ENS0_26wrapped_scan_by_key_configINS_14default_configEiyEEPiN6hipcub22TransformInputIteratorIyNS7_6CastOpIyEEPylEESB_yNS7_8EqualityENS7_3MinENS0_19lookback_scan_stateINS_5tupleIJybEEELb1ELb0EEEyEEvT2_T3_T4_T5_T6_T7_T8_mmmPKNSG_IJT9_bEEE.num_named_barrier, 0
	.set _ZN7rocprim6detail25device_scan_by_key_kernelILNS0_25lookback_scan_determinismE0ELb1ENS0_26wrapped_scan_by_key_configINS_14default_configEiyEEPiN6hipcub22TransformInputIteratorIyNS7_6CastOpIyEEPylEESB_yNS7_8EqualityENS7_3MinENS0_19lookback_scan_stateINS_5tupleIJybEEELb1ELb0EEEyEEvT2_T3_T4_T5_T6_T7_T8_mmmPKNSG_IJT9_bEEE.private_seg_size, 0
	.set _ZN7rocprim6detail25device_scan_by_key_kernelILNS0_25lookback_scan_determinismE0ELb1ENS0_26wrapped_scan_by_key_configINS_14default_configEiyEEPiN6hipcub22TransformInputIteratorIyNS7_6CastOpIyEEPylEESB_yNS7_8EqualityENS7_3MinENS0_19lookback_scan_stateINS_5tupleIJybEEELb1ELb0EEEyEEvT2_T3_T4_T5_T6_T7_T8_mmmPKNSG_IJT9_bEEE.uses_vcc, 0
	.set _ZN7rocprim6detail25device_scan_by_key_kernelILNS0_25lookback_scan_determinismE0ELb1ENS0_26wrapped_scan_by_key_configINS_14default_configEiyEEPiN6hipcub22TransformInputIteratorIyNS7_6CastOpIyEEPylEESB_yNS7_8EqualityENS7_3MinENS0_19lookback_scan_stateINS_5tupleIJybEEELb1ELb0EEEyEEvT2_T3_T4_T5_T6_T7_T8_mmmPKNSG_IJT9_bEEE.uses_flat_scratch, 0
	.set _ZN7rocprim6detail25device_scan_by_key_kernelILNS0_25lookback_scan_determinismE0ELb1ENS0_26wrapped_scan_by_key_configINS_14default_configEiyEEPiN6hipcub22TransformInputIteratorIyNS7_6CastOpIyEEPylEESB_yNS7_8EqualityENS7_3MinENS0_19lookback_scan_stateINS_5tupleIJybEEELb1ELb0EEEyEEvT2_T3_T4_T5_T6_T7_T8_mmmPKNSG_IJT9_bEEE.has_dyn_sized_stack, 0
	.set _ZN7rocprim6detail25device_scan_by_key_kernelILNS0_25lookback_scan_determinismE0ELb1ENS0_26wrapped_scan_by_key_configINS_14default_configEiyEEPiN6hipcub22TransformInputIteratorIyNS7_6CastOpIyEEPylEESB_yNS7_8EqualityENS7_3MinENS0_19lookback_scan_stateINS_5tupleIJybEEELb1ELb0EEEyEEvT2_T3_T4_T5_T6_T7_T8_mmmPKNSG_IJT9_bEEE.has_recursion, 0
	.set _ZN7rocprim6detail25device_scan_by_key_kernelILNS0_25lookback_scan_determinismE0ELb1ENS0_26wrapped_scan_by_key_configINS_14default_configEiyEEPiN6hipcub22TransformInputIteratorIyNS7_6CastOpIyEEPylEESB_yNS7_8EqualityENS7_3MinENS0_19lookback_scan_stateINS_5tupleIJybEEELb1ELb0EEEyEEvT2_T3_T4_T5_T6_T7_T8_mmmPKNSG_IJT9_bEEE.has_indirect_call, 0
	.section	.AMDGPU.csdata,"",@progbits
; Kernel info:
; codeLenInByte = 4
; TotalNumSgprs: 4
; NumVgprs: 0
; ScratchSize: 0
; MemoryBound: 0
; FloatMode: 240
; IeeeMode: 1
; LDSByteSize: 0 bytes/workgroup (compile time only)
; SGPRBlocks: 0
; VGPRBlocks: 0
; NumSGPRsForWavesPerEU: 4
; NumVGPRsForWavesPerEU: 1
; Occupancy: 10
; WaveLimiterHint : 0
; COMPUTE_PGM_RSRC2:SCRATCH_EN: 0
; COMPUTE_PGM_RSRC2:USER_SGPR: 6
; COMPUTE_PGM_RSRC2:TRAP_HANDLER: 0
; COMPUTE_PGM_RSRC2:TGID_X_EN: 1
; COMPUTE_PGM_RSRC2:TGID_Y_EN: 0
; COMPUTE_PGM_RSRC2:TGID_Z_EN: 0
; COMPUTE_PGM_RSRC2:TIDIG_COMP_CNT: 0
	.section	.text._ZN7rocprim6detail25device_scan_by_key_kernelILNS0_25lookback_scan_determinismE0ELb1ENS0_26wrapped_scan_by_key_configINS_14default_configEiyEEPiN6hipcub22TransformInputIteratorIyNS7_6CastOpIyEEPylEESB_yNS7_8EqualityENS7_3MinENS0_19lookback_scan_stateINS_5tupleIJybEEELb0ELb0EEEyEEvT2_T3_T4_T5_T6_T7_T8_mmmPKNSG_IJT9_bEEE,"axG",@progbits,_ZN7rocprim6detail25device_scan_by_key_kernelILNS0_25lookback_scan_determinismE0ELb1ENS0_26wrapped_scan_by_key_configINS_14default_configEiyEEPiN6hipcub22TransformInputIteratorIyNS7_6CastOpIyEEPylEESB_yNS7_8EqualityENS7_3MinENS0_19lookback_scan_stateINS_5tupleIJybEEELb0ELb0EEEyEEvT2_T3_T4_T5_T6_T7_T8_mmmPKNSG_IJT9_bEEE,comdat
	.protected	_ZN7rocprim6detail25device_scan_by_key_kernelILNS0_25lookback_scan_determinismE0ELb1ENS0_26wrapped_scan_by_key_configINS_14default_configEiyEEPiN6hipcub22TransformInputIteratorIyNS7_6CastOpIyEEPylEESB_yNS7_8EqualityENS7_3MinENS0_19lookback_scan_stateINS_5tupleIJybEEELb0ELb0EEEyEEvT2_T3_T4_T5_T6_T7_T8_mmmPKNSG_IJT9_bEEE ; -- Begin function _ZN7rocprim6detail25device_scan_by_key_kernelILNS0_25lookback_scan_determinismE0ELb1ENS0_26wrapped_scan_by_key_configINS_14default_configEiyEEPiN6hipcub22TransformInputIteratorIyNS7_6CastOpIyEEPylEESB_yNS7_8EqualityENS7_3MinENS0_19lookback_scan_stateINS_5tupleIJybEEELb0ELb0EEEyEEvT2_T3_T4_T5_T6_T7_T8_mmmPKNSG_IJT9_bEEE
	.globl	_ZN7rocprim6detail25device_scan_by_key_kernelILNS0_25lookback_scan_determinismE0ELb1ENS0_26wrapped_scan_by_key_configINS_14default_configEiyEEPiN6hipcub22TransformInputIteratorIyNS7_6CastOpIyEEPylEESB_yNS7_8EqualityENS7_3MinENS0_19lookback_scan_stateINS_5tupleIJybEEELb0ELb0EEEyEEvT2_T3_T4_T5_T6_T7_T8_mmmPKNSG_IJT9_bEEE
	.p2align	8
	.type	_ZN7rocprim6detail25device_scan_by_key_kernelILNS0_25lookback_scan_determinismE0ELb1ENS0_26wrapped_scan_by_key_configINS_14default_configEiyEEPiN6hipcub22TransformInputIteratorIyNS7_6CastOpIyEEPylEESB_yNS7_8EqualityENS7_3MinENS0_19lookback_scan_stateINS_5tupleIJybEEELb0ELb0EEEyEEvT2_T3_T4_T5_T6_T7_T8_mmmPKNSG_IJT9_bEEE,@function
_ZN7rocprim6detail25device_scan_by_key_kernelILNS0_25lookback_scan_determinismE0ELb1ENS0_26wrapped_scan_by_key_configINS_14default_configEiyEEPiN6hipcub22TransformInputIteratorIyNS7_6CastOpIyEEPylEESB_yNS7_8EqualityENS7_3MinENS0_19lookback_scan_stateINS_5tupleIJybEEELb0ELb0EEEyEEvT2_T3_T4_T5_T6_T7_T8_mmmPKNSG_IJT9_bEEE: ; @_ZN7rocprim6detail25device_scan_by_key_kernelILNS0_25lookback_scan_determinismE0ELb1ENS0_26wrapped_scan_by_key_configINS_14default_configEiyEEPiN6hipcub22TransformInputIteratorIyNS7_6CastOpIyEEPylEESB_yNS7_8EqualityENS7_3MinENS0_19lookback_scan_stateINS_5tupleIJybEEELb0ELb0EEEyEEvT2_T3_T4_T5_T6_T7_T8_mmmPKNSG_IJT9_bEEE
; %bb.0:
	s_load_dwordx4 s[0:3], s[4:5], 0x0
	s_load_dwordx4 s[48:51], s[4:5], 0x18
	s_load_dwordx8 s[40:47], s[4:5], 0x30
	s_load_dwordx2 s[52:53], s[4:5], 0x60
	s_load_dwordx4 s[8:11], s[4:5], 0x50
	s_mul_i32 s4, s6, 0x3c0
	s_mov_b32 s5, 0
	s_lshl_b64 s[12:13], s[4:5], 2
	s_waitcnt lgkmcnt(0)
	s_add_u32 s54, s0, s12
	s_addc_u32 s55, s1, s13
	s_lshl_b64 s[38:39], s[4:5], 3
	s_add_u32 s36, s2, s38
	s_addc_u32 s37, s3, s39
	s_add_u32 s0, s8, s6
	s_addc_u32 s1, s9, 0
	s_add_u32 s2, s10, -1
	s_addc_u32 s3, s11, -1
	v_mov_b32_e32 v1, s2
	v_mov_b32_e32 v2, s3
	v_cmp_ge_u64_e64 s[0:1], s[0:1], v[1:2]
	s_mov_b64 s[56:57], -1
	s_and_b64 vcc, exec, s[0:1]
	s_mul_i32 s33, s2, 0xfffffc40
	v_lshlrev_b32_e32 v80, 2, v0
	s_cbranch_vccz .LBB115_47
; %bb.1:
	s_load_dword s34, s[54:55], 0x0
	v_mov_b32_e32 v2, s55
	v_add_co_u32_e32 v1, vcc, s54, v80
	s_add_i32 s7, s33, s46
	v_addc_co_u32_e32 v2, vcc, 0, v2, vcc
	v_cmp_gt_u32_e32 vcc, s7, v0
	s_waitcnt lgkmcnt(0)
	v_mov_b32_e32 v3, s34
	s_and_saveexec_b64 s[2:3], vcc
	s_cbranch_execz .LBB115_3
; %bb.2:
	global_load_dword v3, v[1:2], off
.LBB115_3:
	s_or_b64 exec, exec, s[2:3]
	v_or_b32_e32 v4, 64, v0
	v_cmp_gt_u32_e64 s[2:3], s7, v4
	v_mov_b32_e32 v4, s34
	s_and_saveexec_b64 s[4:5], s[2:3]
	s_cbranch_execz .LBB115_5
; %bb.4:
	global_load_dword v4, v[1:2], off offset:256
.LBB115_5:
	s_or_b64 exec, exec, s[4:5]
	v_or_b32_e32 v5, 0x80, v0
	v_cmp_gt_u32_e64 s[30:31], s7, v5
	v_mov_b32_e32 v5, s34
	s_and_saveexec_b64 s[4:5], s[30:31]
	s_cbranch_execz .LBB115_7
; %bb.6:
	global_load_dword v5, v[1:2], off offset:512
.LBB115_7:
	;; [unrolled: 9-line block ×14, first 2 shown]
	s_or_b64 exec, exec, s[34:35]
	v_mad_u32_u24 v1, v0, 56, v80
	s_waitcnt vmcnt(0)
	ds_write2st64_b32 v80, v3, v4 offset1:1
	ds_write2st64_b32 v80, v5, v6 offset0:2 offset1:3
	ds_write2st64_b32 v80, v7, v8 offset0:4 offset1:5
	;; [unrolled: 1-line block ×6, first 2 shown]
	ds_write_b32 v80, v17 offset:3584
	s_waitcnt lgkmcnt(0)
	; wave barrier
	ds_read_b32 v102, v1
	ds_read2_b32 v[69:70], v1 offset0:1 offset1:2
	ds_read2_b32 v[67:68], v1 offset0:3 offset1:4
	;; [unrolled: 1-line block ×7, first 2 shown]
	s_load_dword s47, s[54:55], 0x0
	s_movk_i32 s34, 0xffc8
	v_mad_i32_i24 v33, v0, s34, v1
	v_cmp_ne_u32_e64 s[34:35], 63, v0
	s_waitcnt lgkmcnt(0)
	ds_write_b32 v33, v102 offset:4096
	v_mov_b32_e32 v97, s47
	s_waitcnt lgkmcnt(0)
	; wave barrier
	s_and_saveexec_b64 s[56:57], s[34:35]
; %bb.32:
	ds_read_b32 v97, v33 offset:4100
; %bb.33:
	s_or_b64 exec, exec, s[56:57]
	v_lshlrev_b32_e32 v1, 3, v0
	v_mov_b32_e32 v2, s37
	v_add_co_u32_e64 v3, s[34:35], s36, v1
	v_addc_co_u32_e64 v4, s[34:35], 0, v2, s[34:35]
	s_waitcnt lgkmcnt(0)
	; wave barrier
                                        ; implicit-def: $vgpr1_vgpr2
	s_and_saveexec_b64 s[34:35], vcc
	s_cbranch_execz .LBB115_48
; %bb.34:
	global_load_dwordx2 v[1:2], v[3:4], off
	s_or_b64 exec, exec, s[34:35]
                                        ; implicit-def: $vgpr5_vgpr6
	s_and_saveexec_b64 s[34:35], s[2:3]
	s_cbranch_execnz .LBB115_49
.LBB115_35:
	s_or_b64 exec, exec, s[34:35]
                                        ; implicit-def: $vgpr7_vgpr8
	s_and_saveexec_b64 s[2:3], s[30:31]
	s_cbranch_execz .LBB115_50
.LBB115_36:
	global_load_dwordx2 v[7:8], v[3:4], off offset:1024
	s_or_b64 exec, exec, s[2:3]
                                        ; implicit-def: $vgpr9_vgpr10
	s_and_saveexec_b64 s[2:3], s[8:9]
	s_cbranch_execnz .LBB115_51
.LBB115_37:
	s_or_b64 exec, exec, s[2:3]
                                        ; implicit-def: $vgpr11_vgpr12
	s_and_saveexec_b64 s[2:3], s[12:13]
	s_cbranch_execz .LBB115_52
.LBB115_38:
	global_load_dwordx2 v[11:12], v[3:4], off offset:2048
	s_or_b64 exec, exec, s[2:3]
                                        ; implicit-def: $vgpr13_vgpr14
	s_and_saveexec_b64 s[2:3], s[16:17]
	s_cbranch_execnz .LBB115_53
.LBB115_39:
	s_or_b64 exec, exec, s[2:3]
                                        ; implicit-def: $vgpr15_vgpr16
	s_and_saveexec_b64 s[2:3], s[20:21]
	s_cbranch_execz .LBB115_54
.LBB115_40:
	global_load_dwordx2 v[15:16], v[3:4], off offset:3072
	s_or_b64 exec, exec, s[2:3]
                                        ; implicit-def: $vgpr17_vgpr18
	s_and_saveexec_b64 s[2:3], s[24:25]
	s_cbranch_execnz .LBB115_55
.LBB115_41:
	s_or_b64 exec, exec, s[2:3]
                                        ; implicit-def: $vgpr19_vgpr20
	s_and_saveexec_b64 s[2:3], s[28:29]
	s_cbranch_execz .LBB115_56
.LBB115_42:
	v_add_co_u32_e32 v19, vcc, 0x1000, v3
	v_addc_co_u32_e32 v20, vcc, 0, v4, vcc
	global_load_dwordx2 v[19:20], v[19:20], off
	s_or_b64 exec, exec, s[2:3]
                                        ; implicit-def: $vgpr21_vgpr22
	s_and_saveexec_b64 s[2:3], s[26:27]
	s_cbranch_execnz .LBB115_57
.LBB115_43:
	s_or_b64 exec, exec, s[2:3]
                                        ; implicit-def: $vgpr23_vgpr24
	s_and_saveexec_b64 s[2:3], s[22:23]
	s_cbranch_execz .LBB115_58
.LBB115_44:
	v_add_co_u32_e32 v23, vcc, 0x1000, v3
	v_addc_co_u32_e32 v24, vcc, 0, v4, vcc
	global_load_dwordx2 v[23:24], v[23:24], off offset:1024
	s_or_b64 exec, exec, s[2:3]
                                        ; implicit-def: $vgpr25_vgpr26
	s_and_saveexec_b64 s[2:3], s[18:19]
	s_cbranch_execnz .LBB115_59
.LBB115_45:
	s_or_b64 exec, exec, s[2:3]
                                        ; implicit-def: $vgpr27_vgpr28
	s_and_saveexec_b64 s[2:3], s[14:15]
	s_cbranch_execz .LBB115_60
.LBB115_46:
	v_add_co_u32_e32 v27, vcc, 0x1000, v3
	v_addc_co_u32_e32 v28, vcc, 0, v4, vcc
	global_load_dwordx2 v[27:28], v[27:28], off offset:2048
	s_or_b64 exec, exec, s[2:3]
                                        ; implicit-def: $vgpr29_vgpr30
	s_and_saveexec_b64 s[2:3], s[10:11]
	s_cbranch_execz .LBB115_62
	s_branch .LBB115_61
.LBB115_47:
	s_mov_b64 s[2:3], 0
                                        ; implicit-def: $sgpr34_sgpr35
                                        ; implicit-def: $vgpr29_vgpr30
                                        ; implicit-def: $vgpr86
                                        ; implicit-def: $vgpr39_vgpr40
                                        ; implicit-def: $vgpr87
                                        ; implicit-def: $vgpr49_vgpr50
                                        ; implicit-def: $vgpr88
                                        ; implicit-def: $vgpr55_vgpr56
                                        ; implicit-def: $vgpr89
                                        ; implicit-def: $vgpr53_vgpr54
                                        ; implicit-def: $vgpr90
                                        ; implicit-def: $vgpr51_vgpr52
                                        ; implicit-def: $vgpr91
                                        ; implicit-def: $vgpr47_vgpr48
                                        ; implicit-def: $vgpr92
                                        ; implicit-def: $vgpr45_vgpr46
                                        ; implicit-def: $vgpr93
                                        ; implicit-def: $vgpr43_vgpr44
                                        ; implicit-def: $vgpr94
                                        ; implicit-def: $vgpr41_vgpr42
                                        ; implicit-def: $vgpr95
                                        ; implicit-def: $vgpr37_vgpr38
                                        ; implicit-def: $vgpr96
                                        ; implicit-def: $vgpr35_vgpr36
                                        ; implicit-def: $vgpr98
                                        ; implicit-def: $vgpr33_vgpr34
                                        ; implicit-def: $vgpr99
                                        ; implicit-def: $vgpr31_vgpr32
                                        ; implicit-def: $vgpr101
                                        ; implicit-def: $vgpr11_vgpr12
                                        ; implicit-def: $vgpr71
                                        ; implicit-def: $vgpr5_vgpr6
                                        ; implicit-def: $vgpr72
                                        ; implicit-def: $vgpr1_vgpr2
                                        ; implicit-def: $vgpr73
                                        ; implicit-def: $vgpr7_vgpr8
                                        ; implicit-def: $vgpr74
                                        ; implicit-def: $vgpr9_vgpr10
                                        ; implicit-def: $vgpr75
                                        ; implicit-def: $vgpr13_vgpr14
                                        ; implicit-def: $vgpr76
                                        ; implicit-def: $vgpr15_vgpr16
                                        ; implicit-def: $vgpr77
                                        ; implicit-def: $vgpr17_vgpr18
                                        ; implicit-def: $vgpr78
                                        ; implicit-def: $vgpr19_vgpr20
                                        ; implicit-def: $vgpr79
                                        ; implicit-def: $vgpr21_vgpr22
                                        ; implicit-def: $vgpr81
                                        ; implicit-def: $vgpr23_vgpr24
                                        ; implicit-def: $vgpr83
                                        ; implicit-def: $vgpr25_vgpr26
                                        ; implicit-def: $vgpr84
                                        ; implicit-def: $vgpr27_vgpr28
                                        ; implicit-def: $vgpr85
                                        ; implicit-def: $vgpr3_vgpr4
                                        ; implicit-def: $vgpr82
	s_and_b64 vcc, exec, s[56:57]
	s_cbranch_vccz .LBB115_100
	s_branch .LBB115_95
.LBB115_48:
	s_or_b64 exec, exec, s[34:35]
                                        ; implicit-def: $vgpr5_vgpr6
	s_and_saveexec_b64 s[34:35], s[2:3]
	s_cbranch_execz .LBB115_35
.LBB115_49:
	global_load_dwordx2 v[5:6], v[3:4], off offset:512
	s_or_b64 exec, exec, s[34:35]
                                        ; implicit-def: $vgpr7_vgpr8
	s_and_saveexec_b64 s[2:3], s[30:31]
	s_cbranch_execnz .LBB115_36
.LBB115_50:
	s_or_b64 exec, exec, s[2:3]
                                        ; implicit-def: $vgpr9_vgpr10
	s_and_saveexec_b64 s[2:3], s[8:9]
	s_cbranch_execz .LBB115_37
.LBB115_51:
	global_load_dwordx2 v[9:10], v[3:4], off offset:1536
	s_or_b64 exec, exec, s[2:3]
                                        ; implicit-def: $vgpr11_vgpr12
	s_and_saveexec_b64 s[2:3], s[12:13]
	s_cbranch_execnz .LBB115_38
.LBB115_52:
	s_or_b64 exec, exec, s[2:3]
                                        ; implicit-def: $vgpr13_vgpr14
	s_and_saveexec_b64 s[2:3], s[16:17]
	s_cbranch_execz .LBB115_39
.LBB115_53:
	global_load_dwordx2 v[13:14], v[3:4], off offset:2560
	s_or_b64 exec, exec, s[2:3]
                                        ; implicit-def: $vgpr15_vgpr16
	s_and_saveexec_b64 s[2:3], s[20:21]
	s_cbranch_execnz .LBB115_40
.LBB115_54:
	s_or_b64 exec, exec, s[2:3]
                                        ; implicit-def: $vgpr17_vgpr18
	s_and_saveexec_b64 s[2:3], s[24:25]
	s_cbranch_execz .LBB115_41
.LBB115_55:
	global_load_dwordx2 v[17:18], v[3:4], off offset:3584
	s_or_b64 exec, exec, s[2:3]
                                        ; implicit-def: $vgpr19_vgpr20
	s_and_saveexec_b64 s[2:3], s[28:29]
	s_cbranch_execnz .LBB115_42
.LBB115_56:
	s_or_b64 exec, exec, s[2:3]
                                        ; implicit-def: $vgpr21_vgpr22
	s_and_saveexec_b64 s[2:3], s[26:27]
	s_cbranch_execz .LBB115_43
.LBB115_57:
	v_add_co_u32_e32 v21, vcc, 0x1000, v3
	v_addc_co_u32_e32 v22, vcc, 0, v4, vcc
	global_load_dwordx2 v[21:22], v[21:22], off offset:512
	s_or_b64 exec, exec, s[2:3]
                                        ; implicit-def: $vgpr23_vgpr24
	s_and_saveexec_b64 s[2:3], s[22:23]
	s_cbranch_execnz .LBB115_44
.LBB115_58:
	s_or_b64 exec, exec, s[2:3]
                                        ; implicit-def: $vgpr25_vgpr26
	s_and_saveexec_b64 s[2:3], s[18:19]
	s_cbranch_execz .LBB115_45
.LBB115_59:
	v_add_co_u32_e32 v25, vcc, 0x1000, v3
	v_addc_co_u32_e32 v26, vcc, 0, v4, vcc
	global_load_dwordx2 v[25:26], v[25:26], off offset:1536
	s_or_b64 exec, exec, s[2:3]
                                        ; implicit-def: $vgpr27_vgpr28
	s_and_saveexec_b64 s[2:3], s[14:15]
	s_cbranch_execnz .LBB115_46
.LBB115_60:
	s_or_b64 exec, exec, s[2:3]
                                        ; implicit-def: $vgpr29_vgpr30
	s_and_saveexec_b64 s[2:3], s[10:11]
	s_cbranch_execz .LBB115_62
.LBB115_61:
	v_add_co_u32_e32 v29, vcc, 0x1000, v3
	v_addc_co_u32_e32 v30, vcc, 0, v4, vcc
	global_load_dwordx2 v[29:30], v[29:30], off offset:2560
.LBB115_62:
	s_or_b64 exec, exec, s[2:3]
	v_mul_u32_u24_e32 v100, 15, v0
                                        ; implicit-def: $vgpr31_vgpr32
	s_and_saveexec_b64 s[2:3], s[4:5]
	s_cbranch_execz .LBB115_64
; %bb.63:
	v_add_co_u32_e32 v3, vcc, 0x1000, v3
	v_addc_co_u32_e32 v4, vcc, 0, v4, vcc
	global_load_dwordx2 v[31:32], v[3:4], off offset:3072
.LBB115_64:
	s_or_b64 exec, exec, s[2:3]
	v_lshl_add_u32 v103, v0, 2, v33
	s_waitcnt vmcnt(0)
	ds_write2st64_b64 v103, v[1:2], v[5:6] offset1:1
	ds_write2st64_b64 v103, v[7:8], v[9:10] offset0:2 offset1:3
	ds_write2st64_b64 v103, v[11:12], v[13:14] offset0:4 offset1:5
	ds_write2st64_b64 v103, v[15:16], v[17:18] offset0:6 offset1:7
	ds_write2st64_b64 v103, v[19:20], v[21:22] offset0:8 offset1:9
	ds_write2st64_b64 v103, v[23:24], v[25:26] offset0:10 offset1:11
	ds_write2st64_b64 v103, v[27:28], v[29:30] offset0:12 offset1:13
	ds_write_b64 v103, v[31:32] offset:7168
	v_mov_b32_e32 v29, 0
	v_mov_b32_e32 v39, 0
	;; [unrolled: 1-line block ×28, first 2 shown]
	v_cmp_gt_u32_e32 vcc, s7, v100
	s_mov_b64 s[56:57], 0
	v_mov_b32_e32 v86, 0
	v_mov_b32_e32 v30, 0
	s_mov_b64 s[2:3], 0
	v_mov_b32_e32 v40, 0
	v_mov_b32_e32 v87, 0
	;; [unrolled: 1-line block ×54, first 2 shown]
	s_waitcnt lgkmcnt(0)
	; wave barrier
                                        ; implicit-def: $sgpr34_sgpr35
	s_and_saveexec_b64 s[58:59], vcc
	s_cbranch_execz .LBB115_94
; %bb.65:
	s_movk_i32 s2, 0x70
	v_mad_u32_u24 v1, v0, s2, v103
	ds_read_b64 v[1:2], v1
	v_mov_b32_e32 v4, s50
	v_cmp_ne_u32_e32 vcc, v102, v69
	v_mov_b32_e32 v3, s51
	v_mov_b32_e32 v39, 0
	s_waitcnt lgkmcnt(0)
	v_cndmask_b32_e32 v29, v1, v4, vcc
	v_add_u32_e32 v1, 1, v100
	v_cndmask_b32_e32 v30, v2, v3, vcc
	v_cmp_gt_u32_e64 s[2:3], s7, v1
	v_mov_b32_e32 v49, 0
	v_mov_b32_e32 v55, 0
	;; [unrolled: 1-line block ×26, first 2 shown]
	s_mov_b64 s[4:5], 0
	v_mov_b32_e32 v40, 0
	v_mov_b32_e32 v86, 0
	;; [unrolled: 1-line block ×53, first 2 shown]
                                        ; implicit-def: $sgpr34_sgpr35
	s_and_saveexec_b64 s[60:61], s[2:3]
	s_cbranch_execz .LBB115_93
; %bb.66:
	v_mul_u32_u24_e32 v1, 0x70, v0
	v_add_u32_e32 v82, v103, v1
	ds_read2_b64 v[1:4], v82 offset0:1 offset1:2
	v_mov_b32_e32 v6, s50
	v_cmp_ne_u32_e64 s[2:3], v69, v70
	v_mov_b32_e32 v5, s51
	v_mov_b32_e32 v39, 0
	s_waitcnt lgkmcnt(0)
	v_cndmask_b32_e64 v31, v1, v6, s[2:3]
	v_add_u32_e32 v1, 2, v100
	v_cndmask_b32_e64 v32, v2, v5, s[2:3]
	v_cmp_gt_u32_e64 s[4:5], s7, v1
	v_mov_b32_e32 v49, 0
	v_mov_b32_e32 v55, 0
	;; [unrolled: 1-line block ×24, first 2 shown]
	s_mov_b64 s[8:9], 0
	v_mov_b32_e32 v40, 0
	v_mov_b32_e32 v86, 0
	;; [unrolled: 1-line block ×49, first 2 shown]
                                        ; implicit-def: $sgpr34_sgpr35
	s_and_saveexec_b64 s[62:63], s[4:5]
	s_cbranch_execz .LBB115_92
; %bb.67:
	v_mov_b32_e32 v1, s51
	v_cmp_ne_u32_e64 s[4:5], v70, v67
	v_cndmask_b32_e64 v34, v4, v1, s[4:5]
	v_mov_b32_e32 v1, s50
	v_cndmask_b32_e64 v33, v3, v1, s[4:5]
	v_add_u32_e32 v1, 3, v100
	v_cmp_gt_u32_e64 s[8:9], s7, v1
	v_mov_b32_e32 v39, 0
	v_mov_b32_e32 v49, 0
	v_mov_b32_e32 v55, 0
	v_mov_b32_e32 v53, 0
	v_mov_b32_e32 v51, 0
	v_mov_b32_e32 v47, 0
	v_mov_b32_e32 v45, 0
	v_mov_b32_e32 v43, 0
	v_mov_b32_e32 v41, 0
	v_mov_b32_e32 v37, 0
	v_mov_b32_e32 v35, 0
	v_mov_b32_e32 v11, 0
	v_mov_b32_e32 v5, 0
	v_mov_b32_e32 v1, 0
	v_mov_b32_e32 v7, 0
	v_mov_b32_e32 v9, 0
	v_mov_b32_e32 v13, 0
	v_mov_b32_e32 v15, 0
	v_mov_b32_e32 v17, 0
	v_mov_b32_e32 v19, 0
	v_mov_b32_e32 v21, 0
	v_mov_b32_e32 v23, 0
	v_mov_b32_e32 v25, 0
	s_mov_b64 s[10:11], 0
	v_mov_b32_e32 v40, 0
	v_mov_b32_e32 v86, 0
	;; [unrolled: 1-line block ×45, first 2 shown]
                                        ; implicit-def: $sgpr34_sgpr35
	s_and_saveexec_b64 s[64:65], s[8:9]
	s_cbranch_execz .LBB115_91
; %bb.68:
	ds_read2_b64 v[1:4], v82 offset0:3 offset1:4
	v_mov_b32_e32 v6, s50
	v_cmp_ne_u32_e64 s[28:29], v67, v68
	v_mov_b32_e32 v5, s51
	v_mov_b32_e32 v39, 0
	s_waitcnt lgkmcnt(0)
	v_cndmask_b32_e64 v35, v1, v6, s[28:29]
	v_add_u32_e32 v1, 4, v100
	v_cndmask_b32_e64 v36, v2, v5, s[28:29]
	v_cmp_gt_u32_e64 s[8:9], s7, v1
	v_mov_b32_e32 v49, 0
	v_mov_b32_e32 v55, 0
	;; [unrolled: 1-line block ×61, first 2 shown]
                                        ; implicit-def: $sgpr34_sgpr35
	s_and_saveexec_b64 s[66:67], s[8:9]
	s_cbranch_execz .LBB115_90
; %bb.69:
	v_mov_b32_e32 v1, s51
	v_cmp_ne_u32_e64 s[8:9], v68, v65
	v_cndmask_b32_e64 v38, v4, v1, s[8:9]
	v_mov_b32_e32 v1, s50
	v_cndmask_b32_e64 v37, v3, v1, s[8:9]
	v_add_u32_e32 v1, 5, v100
	v_cmp_gt_u32_e64 s[10:11], s7, v1
	v_mov_b32_e32 v39, 0
	v_mov_b32_e32 v49, 0
	;; [unrolled: 1-line block ×19, first 2 shown]
	s_mov_b64 s[12:13], 0
	v_mov_b32_e32 v40, 0
	v_mov_b32_e32 v86, 0
	;; [unrolled: 1-line block ×37, first 2 shown]
                                        ; implicit-def: $sgpr34_sgpr35
	s_and_saveexec_b64 s[68:69], s[10:11]
	s_cbranch_execz .LBB115_89
; %bb.70:
	ds_read2_b64 v[1:4], v82 offset0:5 offset1:6
	v_mov_b32_e32 v6, s50
	v_cmp_ne_u32_e64 s[10:11], v65, v66
	v_mov_b32_e32 v5, s51
	v_mov_b32_e32 v39, 0
	s_waitcnt lgkmcnt(0)
	v_cndmask_b32_e64 v41, v1, v6, s[10:11]
	v_add_u32_e32 v1, 6, v100
	v_cndmask_b32_e64 v42, v2, v5, s[10:11]
	v_cmp_gt_u32_e64 s[12:13], s7, v1
	v_mov_b32_e32 v49, 0
	v_mov_b32_e32 v55, 0
	;; [unrolled: 1-line block ×16, first 2 shown]
	s_mov_b64 s[14:15], 0
	v_mov_b32_e32 v40, 0
	v_mov_b32_e32 v86, 0
	;; [unrolled: 1-line block ×33, first 2 shown]
                                        ; implicit-def: $sgpr34_sgpr35
	s_and_saveexec_b64 s[70:71], s[12:13]
	s_cbranch_execz .LBB115_88
; %bb.71:
	v_mov_b32_e32 v1, s51
	v_cmp_ne_u32_e64 s[12:13], v66, v63
	v_cndmask_b32_e64 v44, v4, v1, s[12:13]
	v_mov_b32_e32 v1, s50
	v_cndmask_b32_e64 v43, v3, v1, s[12:13]
	v_add_u32_e32 v1, 7, v100
	v_cmp_gt_u32_e64 s[14:15], s7, v1
	v_mov_b32_e32 v39, 0
	v_mov_b32_e32 v49, 0
	;; [unrolled: 1-line block ×15, first 2 shown]
	s_mov_b64 s[16:17], 0
	v_mov_b32_e32 v40, 0
	v_mov_b32_e32 v86, 0
	v_mov_b32_e32 v87, 0
	v_mov_b32_e32 v50, 0
	v_mov_b32_e32 v88, 0
	v_mov_b32_e32 v56, 0
	v_mov_b32_e32 v89, 0
	v_mov_b32_e32 v54, 0
	v_mov_b32_e32 v90, 0
	v_mov_b32_e32 v52, 0
	v_mov_b32_e32 v91, 0
	v_mov_b32_e32 v48, 0
	v_mov_b32_e32 v92, 0
	v_mov_b32_e32 v46, 0
	v_mov_b32_e32 v12, 0
	v_mov_b32_e32 v71, 0
	v_mov_b32_e32 v6, 0
	v_mov_b32_e32 v72, 0
	v_mov_b32_e32 v2, 0
	v_mov_b32_e32 v73, 0
	v_mov_b32_e32 v8, 0
	v_mov_b32_e32 v74, 0
	v_mov_b32_e32 v10, 0
	v_mov_b32_e32 v75, 0
	v_mov_b32_e32 v14, 0
	v_mov_b32_e32 v76, 0
	v_mov_b32_e32 v16, 0
	v_mov_b32_e32 v18, 0
	v_mov_b32_e32 v77, 0
                                        ; implicit-def: $sgpr34_sgpr35
	s_and_saveexec_b64 s[72:73], s[14:15]
	s_cbranch_execz .LBB115_87
; %bb.72:
	ds_read2_b64 v[1:4], v82 offset0:7 offset1:8
	v_mov_b32_e32 v6, s50
	v_cmp_ne_u32_e64 s[14:15], v63, v64
	v_mov_b32_e32 v5, s51
	v_mov_b32_e32 v39, 0
	s_waitcnt lgkmcnt(0)
	v_cndmask_b32_e64 v45, v1, v6, s[14:15]
	v_add_u32_e32 v1, 8, v100
	v_cndmask_b32_e64 v46, v2, v5, s[14:15]
	v_cmp_gt_u32_e64 s[16:17], s7, v1
	v_mov_b32_e32 v49, 0
	v_mov_b32_e32 v55, 0
	;; [unrolled: 1-line block ×12, first 2 shown]
	s_mov_b64 s[18:19], 0
	v_mov_b32_e32 v40, 0
	v_mov_b32_e32 v86, 0
	;; [unrolled: 1-line block ×25, first 2 shown]
                                        ; implicit-def: $sgpr34_sgpr35
	s_and_saveexec_b64 s[74:75], s[16:17]
	s_cbranch_execz .LBB115_86
; %bb.73:
	v_mov_b32_e32 v1, s51
	v_cmp_ne_u32_e64 s[16:17], v64, v61
	v_cndmask_b32_e64 v48, v4, v1, s[16:17]
	v_mov_b32_e32 v1, s50
	v_cndmask_b32_e64 v47, v3, v1, s[16:17]
	v_add_u32_e32 v1, 9, v100
	v_cmp_gt_u32_e64 s[18:19], s7, v1
	v_mov_b32_e32 v39, 0
	v_mov_b32_e32 v49, 0
	;; [unrolled: 1-line block ×11, first 2 shown]
	s_mov_b64 s[20:21], 0
	v_mov_b32_e32 v40, 0
	v_mov_b32_e32 v86, 0
	;; [unrolled: 1-line block ×21, first 2 shown]
                                        ; implicit-def: $sgpr34_sgpr35
	s_and_saveexec_b64 s[76:77], s[18:19]
	s_cbranch_execz .LBB115_85
; %bb.74:
	ds_read2_b64 v[1:4], v82 offset0:9 offset1:10
	v_mov_b32_e32 v6, s50
	v_cmp_ne_u32_e64 s[18:19], v61, v62
	v_mov_b32_e32 v5, s51
	v_mov_b32_e32 v39, 0
	s_waitcnt lgkmcnt(0)
	v_cndmask_b32_e64 v51, v1, v6, s[18:19]
	v_add_u32_e32 v1, 10, v100
	v_cndmask_b32_e64 v52, v2, v5, s[18:19]
	v_cmp_gt_u32_e64 s[20:21], s7, v1
	v_mov_b32_e32 v49, 0
	v_mov_b32_e32 v55, 0
	;; [unrolled: 1-line block ×8, first 2 shown]
	s_mov_b64 s[22:23], 0
	v_mov_b32_e32 v40, 0
	v_mov_b32_e32 v86, 0
	;; [unrolled: 1-line block ×17, first 2 shown]
                                        ; implicit-def: $sgpr34_sgpr35
	s_and_saveexec_b64 s[78:79], s[20:21]
	s_cbranch_execz .LBB115_84
; %bb.75:
	v_mov_b32_e32 v1, s51
	v_cmp_ne_u32_e64 s[20:21], v62, v59
	v_cndmask_b32_e64 v54, v4, v1, s[20:21]
	v_mov_b32_e32 v1, s50
	v_cndmask_b32_e64 v53, v3, v1, s[20:21]
	v_add_u32_e32 v1, 11, v100
	v_cmp_gt_u32_e64 s[22:23], s7, v1
	v_mov_b32_e32 v39, 0
	v_mov_b32_e32 v49, 0
	;; [unrolled: 1-line block ×7, first 2 shown]
	s_mov_b64 s[24:25], 0
	v_mov_b32_e32 v40, 0
	v_mov_b32_e32 v86, 0
	;; [unrolled: 1-line block ×13, first 2 shown]
                                        ; implicit-def: $sgpr34_sgpr35
	s_and_saveexec_b64 s[80:81], s[22:23]
	s_cbranch_execz .LBB115_83
; %bb.76:
	ds_read2_b64 v[1:4], v82 offset0:11 offset1:12
	v_mov_b32_e32 v6, s50
	v_cmp_ne_u32_e64 s[22:23], v59, v60
	v_mov_b32_e32 v5, s51
	v_mov_b32_e32 v39, 0
	s_waitcnt lgkmcnt(0)
	v_cndmask_b32_e64 v55, v1, v6, s[22:23]
	v_add_u32_e32 v1, 12, v100
	v_cndmask_b32_e64 v56, v2, v5, s[22:23]
	v_cmp_gt_u32_e64 s[24:25], s7, v1
	v_mov_b32_e32 v49, 0
	v_mov_b32_e32 v11, 0
	;; [unrolled: 1-line block ×3, first 2 shown]
	s_mov_b64 s[26:27], 0
	v_mov_b32_e32 v40, 0
	v_mov_b32_e32 v86, 0
	v_mov_b32_e32 v87, 0
	v_mov_b32_e32 v50, 0
	v_mov_b32_e32 v12, 0
	v_mov_b32_e32 v2, 0
	v_mov_b32_e32 v72, 0
                                        ; implicit-def: $sgpr34_sgpr35
	s_and_saveexec_b64 s[82:83], s[24:25]
	s_cbranch_execz .LBB115_82
; %bb.77:
	v_mov_b32_e32 v1, s51
	v_cmp_ne_u32_e64 s[24:25], v60, v57
	v_cndmask_b32_e64 v50, v4, v1, s[24:25]
	v_mov_b32_e32 v1, s50
	v_cndmask_b32_e64 v49, v3, v1, s[24:25]
	v_add_u32_e32 v1, 13, v100
	v_mov_b32_e32 v39, 0
	v_mov_b32_e32 v11, 0
	v_cmp_gt_u32_e64 s[26:27], s7, v1
	s_mov_b64 s[30:31], 0
	v_mov_b32_e32 v40, 0
	v_mov_b32_e32 v12, 0
	;; [unrolled: 1-line block ×3, first 2 shown]
                                        ; implicit-def: $sgpr34_sgpr35
	s_and_saveexec_b64 s[84:85], s[26:27]
	s_cbranch_execz .LBB115_81
; %bb.78:
	ds_read2_b64 v[1:4], v82 offset0:13 offset1:14
	v_mov_b32_e32 v6, s50
	v_cmp_ne_u32_e64 s[26:27], v57, v58
	v_mov_b32_e32 v5, s51
	v_mov_b32_e32 v11, 0
	s_waitcnt lgkmcnt(0)
	v_cndmask_b32_e64 v39, v1, v6, s[26:27]
	v_add_u32_e32 v1, 14, v100
	v_cndmask_b32_e64 v40, v2, v5, s[26:27]
	v_cmp_gt_u32_e64 s[30:31], s7, v1
	v_mov_b32_e32 v12, 0
	s_mov_b64 s[86:87], 0
                                        ; implicit-def: $sgpr34_sgpr35
	s_and_saveexec_b64 s[88:89], s[30:31]
	s_xor_b64 s[30:31], exec, s[88:89]
; %bb.79:
	v_mov_b32_e32 v1, s51
	v_cmp_ne_u32_e64 s[34:35], v58, v97
	v_cndmask_b32_e64 v12, v4, v1, s[34:35]
	v_mov_b32_e32 v1, s50
	s_mov_b64 s[86:87], exec
	v_cndmask_b32_e64 v11, v3, v1, s[34:35]
; %bb.80:
	s_or_b64 exec, exec, s[30:31]
	v_cndmask_b32_e64 v86, 0, 1, s[26:27]
	s_and_b64 s[30:31], s[86:87], exec
.LBB115_81:
	s_or_b64 exec, exec, s[84:85]
	v_cndmask_b32_e64 v87, 0, 1, s[24:25]
	v_mov_b32_e32 v1, v49
	s_and_b64 s[26:27], s[30:31], exec
	v_mov_b32_e32 v72, v87
	v_mov_b32_e32 v2, v50
.LBB115_82:
	s_or_b64 exec, exec, s[82:83]
	v_cndmask_b32_e64 v88, 0, 1, s[22:23]
	v_mov_b32_e32 v5, v39
	v_mov_b32_e32 v7, v55
	s_and_b64 s[24:25], s[26:27], exec
	v_mov_b32_e32 v71, v86
	v_mov_b32_e32 v6, v40
	;; [unrolled: 1-line block ×4, first 2 shown]
.LBB115_83:
	s_or_b64 exec, exec, s[80:81]
	v_cndmask_b32_e64 v89, 0, 1, s[20:21]
	v_mov_b32_e32 v9, v53
	s_and_b64 s[22:23], s[24:25], exec
	v_mov_b32_e32 v74, v89
	v_mov_b32_e32 v10, v54
.LBB115_84:
	s_or_b64 exec, exec, s[78:79]
	v_cndmask_b32_e64 v90, 0, 1, s[18:19]
	v_mov_b32_e32 v13, v51
	s_and_b64 s[20:21], s[22:23], exec
	v_mov_b32_e32 v75, v90
	v_mov_b32_e32 v14, v52
.LBB115_85:
	s_or_b64 exec, exec, s[76:77]
	v_cndmask_b32_e64 v91, 0, 1, s[16:17]
	v_mov_b32_e32 v15, v47
	s_and_b64 s[18:19], s[20:21], exec
	v_mov_b32_e32 v76, v91
	v_mov_b32_e32 v16, v48
.LBB115_86:
	s_or_b64 exec, exec, s[74:75]
	v_cndmask_b32_e64 v92, 0, 1, s[14:15]
	v_mov_b32_e32 v17, v45
	s_and_b64 s[16:17], s[18:19], exec
	v_mov_b32_e32 v77, v92
	v_mov_b32_e32 v18, v46
.LBB115_87:
	s_or_b64 exec, exec, s[72:73]
	v_cndmask_b32_e64 v93, 0, 1, s[12:13]
	v_mov_b32_e32 v19, v43
	s_and_b64 s[14:15], s[16:17], exec
	v_mov_b32_e32 v78, v93
	v_mov_b32_e32 v20, v44
.LBB115_88:
	s_or_b64 exec, exec, s[70:71]
	v_cndmask_b32_e64 v94, 0, 1, s[10:11]
	v_mov_b32_e32 v21, v41
	s_and_b64 s[12:13], s[14:15], exec
	v_mov_b32_e32 v79, v94
	v_mov_b32_e32 v22, v42
.LBB115_89:
	s_or_b64 exec, exec, s[68:69]
	v_cndmask_b32_e64 v95, 0, 1, s[8:9]
	v_mov_b32_e32 v23, v37
	s_and_b64 s[10:11], s[12:13], exec
	v_mov_b32_e32 v81, v95
	v_mov_b32_e32 v24, v38
.LBB115_90:
	s_or_b64 exec, exec, s[66:67]
	v_cndmask_b32_e64 v96, 0, 1, s[28:29]
	v_mov_b32_e32 v25, v35
	s_and_b64 s[10:11], s[10:11], exec
	v_mov_b32_e32 v83, v96
	v_mov_b32_e32 v26, v36
.LBB115_91:
	s_or_b64 exec, exec, s[64:65]
	v_cndmask_b32_e64 v98, 0, 1, s[4:5]
	v_mov_b32_e32 v27, v33
	s_and_b64 s[8:9], s[10:11], exec
	v_mov_b32_e32 v84, v98
	v_mov_b32_e32 v28, v34
.LBB115_92:
	s_or_b64 exec, exec, s[62:63]
	v_cndmask_b32_e64 v99, 0, 1, s[2:3]
	v_mov_b32_e32 v3, v31
	s_and_b64 s[4:5], s[8:9], exec
	v_mov_b32_e32 v85, v99
	v_mov_b32_e32 v4, v32
.LBB115_93:
	s_or_b64 exec, exec, s[60:61]
	v_cndmask_b32_e64 v101, 0, 1, vcc
	s_and_b64 s[2:3], s[4:5], exec
	v_mov_b32_e32 v82, v101
.LBB115_94:
	s_or_b64 exec, exec, s[58:59]
	s_and_b64 vcc, exec, s[56:57]
	s_cbranch_vccz .LBB115_100
.LBB115_95:
	global_load_dword v2, v80, s[54:55]
	global_load_dword v3, v80, s[54:55] offset:256
	global_load_dword v4, v80, s[54:55] offset:512
	;; [unrolled: 1-line block ×14, first 2 shown]
	v_mad_u32_u24 v17, v0, 56, v80
	s_movk_i32 s2, 0xffc8
	v_mad_i32_i24 v1, v0, s2, v17
	v_cmp_ne_u32_e32 vcc, 63, v0
	s_waitcnt vmcnt(13)
	ds_write2st64_b32 v80, v2, v3 offset1:1
	s_waitcnt vmcnt(11)
	ds_write2st64_b32 v80, v4, v5 offset0:2 offset1:3
	s_waitcnt vmcnt(9)
	ds_write2st64_b32 v80, v6, v7 offset0:4 offset1:5
	;; [unrolled: 2-line block ×6, first 2 shown]
	s_waitcnt vmcnt(0)
	ds_write_b32 v80, v16 offset:3584
	s_waitcnt lgkmcnt(0)
	; wave barrier
	ds_read_b32 v29, v17
	ds_read2_b32 v[41:42], v17 offset0:1 offset1:2
	ds_read2_b32 v[39:40], v17 offset0:3 offset1:4
	;; [unrolled: 1-line block ×3, first 2 shown]
	s_load_dword s2, s[54:55], 0xf00
	ds_read2_b32 v[35:36], v17 offset0:7 offset1:8
	ds_read2_b32 v[33:34], v17 offset0:9 offset1:10
	;; [unrolled: 1-line block ×4, first 2 shown]
	s_waitcnt lgkmcnt(0)
	ds_write_b32 v1, v29 offset:4096
	s_waitcnt lgkmcnt(0)
	; wave barrier
	v_mov_b32_e32 v58, s2
	s_and_saveexec_b64 s[2:3], vcc
; %bb.96:
	ds_read_b32 v58, v1 offset:4100
; %bb.97:
	s_or_b64 exec, exec, s[2:3]
	v_lshlrev_b32_e32 v18, 3, v0
	v_mov_b32_e32 v2, s37
	v_add_co_u32_e32 v19, vcc, s36, v18
	v_addc_co_u32_e32 v20, vcc, 0, v2, vcc
	s_movk_i32 s2, 0x1000
	s_waitcnt lgkmcnt(0)
	; wave barrier
	global_load_dwordx2 v[2:3], v18, s[36:37]
	global_load_dwordx2 v[4:5], v18, s[36:37] offset:512
	global_load_dwordx2 v[6:7], v18, s[36:37] offset:1024
	;; [unrolled: 1-line block ×7, first 2 shown]
	v_add_co_u32_e32 v18, vcc, s2, v19
	v_addc_co_u32_e32 v19, vcc, 0, v20, vcc
	global_load_dwordx2 v[20:21], v[18:19], off
	global_load_dwordx2 v[22:23], v[18:19], off offset:512
	global_load_dwordx2 v[24:25], v[18:19], off offset:1024
	;; [unrolled: 1-line block ×6, first 2 shown]
	v_lshl_add_u32 v43, v0, 2, v1
	s_movk_i32 s2, 0x70
	v_mad_u32_u24 v1, v0, s2, v43
	v_cmp_ne_u32_e32 vcc, v29, v41
	v_cmp_eq_u32_e64 s[2:3], v29, v41
	v_mov_b32_e32 v29, s50
	v_mov_b32_e32 v30, s51
	s_waitcnt vmcnt(13)
	ds_write2st64_b64 v43, v[2:3], v[4:5] offset1:1
	s_waitcnt vmcnt(11)
	ds_write2st64_b64 v43, v[6:7], v[8:9] offset0:2 offset1:3
	s_waitcnt vmcnt(9)
	ds_write2st64_b64 v43, v[10:11], v[12:13] offset0:4 offset1:5
	;; [unrolled: 2-line block ×6, first 2 shown]
	s_waitcnt vmcnt(0)
	ds_write_b64 v43, v[48:49] offset:7168
	s_waitcnt lgkmcnt(0)
	; wave barrier
	ds_read2_b64 v[25:28], v1 offset0:1 offset1:2
	ds_read2_b64 v[21:24], v1 offset0:3 offset1:4
	;; [unrolled: 1-line block ×7, first 2 shown]
	s_and_saveexec_b64 s[4:5], s[2:3]
; %bb.98:
	v_mul_u32_u24_e32 v29, 0x70, v0
	v_add_u32_e32 v29, v43, v29
	ds_read_b64 v[29:30], v29
; %bb.99:
	s_or_b64 exec, exec, s[4:5]
	v_cndmask_b32_e64 v101, 0, 1, vcc
	v_cmp_ne_u32_e32 vcc, v41, v42
	v_mov_b32_e32 v59, s51
	v_cmp_ne_u32_e64 s[2:3], v42, v39
	v_cmp_ne_u32_e64 s[4:5], v39, v40
	v_cmp_ne_u32_e64 s[8:9], v40, v37
	v_cmp_ne_u32_e64 s[10:11], v37, v38
	v_cmp_ne_u32_e64 s[12:13], v38, v35
	v_cmp_ne_u32_e64 s[14:15], v35, v36
	v_cmp_ne_u32_e64 s[16:17], v36, v33
	v_cmp_ne_u32_e64 s[18:19], v33, v34
	v_cmp_ne_u32_e64 s[20:21], v34, v31
	v_cmp_ne_u32_e64 s[22:23], v31, v32
	v_cmp_ne_u32_e64 s[24:25], v32, v56
	v_cmp_ne_u32_e64 s[26:27], v56, v57
	s_waitcnt lgkmcnt(6)
	v_cndmask_b32_e32 v32, v26, v59, vcc
	v_mov_b32_e32 v26, s50
	v_cndmask_b32_e32 v31, v25, v26, vcc
	v_cndmask_b32_e64 v33, v27, v26, s[2:3]
	s_waitcnt lgkmcnt(5)
	v_cndmask_b32_e64 v35, v21, v26, s[4:5]
	v_cndmask_b32_e64 v37, v23, v26, s[8:9]
	s_waitcnt lgkmcnt(4)
	v_cndmask_b32_e64 v41, v17, v26, s[10:11]
	;; [unrolled: 3-line block ×6, first 2 shown]
	v_cmp_ne_u32_e64 s[34:35], v57, v58
	v_cndmask_b32_e64 v99, 0, 1, vcc
	v_cndmask_b32_e64 v98, 0, 1, s[2:3]
	v_cndmask_b32_e64 v96, 0, 1, s[4:5]
	;; [unrolled: 1-line block ×26, first 2 shown]
	v_mov_b32_e32 v5, v39
	v_mov_b32_e32 v1, v49
	;; [unrolled: 1-line block ×13, first 2 shown]
	s_mov_b64 s[2:3], -1
	v_mov_b32_e32 v71, v86
	v_mov_b32_e32 v6, v40
	;; [unrolled: 1-line block ×27, first 2 shown]
.LBB115_100:
	v_mov_b32_e32 v63, 0
	s_and_saveexec_b64 s[4:5], s[2:3]
	s_cbranch_execz .LBB115_102
; %bb.101:
	v_mov_b32_e32 v3, v31
	v_mov_b32_e32 v27, v33
	;; [unrolled: 1-line block ×13, first 2 shown]
	v_cndmask_b32_e64 v63, 0, 1, s[34:35]
	v_mov_b32_e32 v82, v101
	v_mov_b32_e32 v4, v32
	;; [unrolled: 1-line block ×27, first 2 shown]
.LBB115_102:
	s_or_b64 exec, exec, s[4:5]
	v_and_b32_e32 v88, 1, v82
	v_cmp_lt_u64_e64 s[4:5], v[29:30], v[3:4]
	v_and_b32_e32 v86, 1, v83
	v_and_b32_e32 v70, 1, v78
	;; [unrolled: 1-line block ×4, first 2 shown]
	s_cmp_lg_u32 s6, 0
	v_or_b32_e32 v87, v84, v85
	v_or_b32_e32 v80, v79, v81
	;; [unrolled: 1-line block ×4, first 2 shown]
	v_cmp_eq_u32_e32 vcc, 1, v88
	v_cmp_eq_u32_e64 s[8:9], 1, v86
	v_cmp_eq_u32_e64 s[14:15], 1, v70
	v_cmp_eq_u32_e64 s[20:21], 1, v68
	v_cmp_eq_u32_e64 s[28:29], 1, v66
	v_cmp_eq_u16_e64 s[30:31], 0, v63
	v_or_b32_e32 v65, v63, v71
	v_mbcnt_lo_u32_b32 v64, -1, 0
	; wave barrier
	s_cbranch_scc0 .LBB115_156
; %bb.103:
	v_mov_b32_e32 v33, 0
	v_cmp_eq_u16_sdwa s[2:3], v85, v33 src0_sel:BYTE_0 src1_sel:DWORD
	v_cndmask_b32_e64 v31, v4, v30, s[4:5]
	s_and_b64 s[4:5], s[2:3], s[4:5]
	v_cndmask_b32_e64 v32, v4, v31, s[2:3]
	v_cndmask_b32_e64 v31, v3, v29, s[4:5]
	v_cmp_lt_u64_e64 s[10:11], v[31:32], v[27:28]
	v_cmp_eq_u16_sdwa s[4:5], v84, v33 src0_sel:BYTE_0 src1_sel:DWORD
	v_cndmask_b32_e64 v32, v28, v32, s[10:11]
	s_and_b64 s[10:11], s[4:5], s[10:11]
	v_cndmask_b32_e64 v32, v28, v32, s[4:5]
	v_cndmask_b32_e64 v31, v27, v31, s[10:11]
	v_cmp_lt_u64_e64 s[10:11], v[31:32], v[25:26]
	v_cmp_eq_u16_sdwa s[34:35], v83, v33 src0_sel:BYTE_0 src1_sel:DWORD
	v_cndmask_b32_e64 v31, v25, v31, s[10:11]
	v_cndmask_b32_e64 v32, v26, v32, s[10:11]
	;; [unrolled: 1-line block ×4, first 2 shown]
	v_cmp_ne_u16_sdwa s[12:13], v87, v33 src0_sel:BYTE_0 src1_sel:DWORD
	v_cmp_lt_u64_e64 s[10:11], v[31:32], v[23:24]
	s_or_b64 s[54:55], s[12:13], s[8:9]
	v_cmp_eq_u16_sdwa s[8:9], v81, v33 src0_sel:BYTE_0 src1_sel:DWORD
	v_cndmask_b32_e64 v32, v24, v32, s[10:11]
	s_and_b64 s[10:11], s[8:9], s[10:11]
	v_cndmask_b32_e64 v32, v24, v32, s[8:9]
	v_cndmask_b32_e64 v31, v23, v31, s[10:11]
	v_cmp_lt_u64_e64 s[10:11], v[31:32], v[21:22]
	v_cmp_eq_u16_sdwa s[12:13], v78, v33 src0_sel:BYTE_0 src1_sel:DWORD
	v_cndmask_b32_e64 v31, v21, v31, s[10:11]
	v_cndmask_b32_e64 v32, v22, v32, s[10:11]
	v_cmp_eq_u16_sdwa s[10:11], v79, v33 src0_sel:BYTE_0 src1_sel:DWORD
	v_cndmask_b32_e64 v32, v22, v32, s[10:11]
	v_cndmask_b32_e64 v31, v21, v31, s[10:11]
	v_cmp_lt_u64_e64 s[16:17], v[31:32], v[19:20]
	v_cmp_ne_u16_sdwa s[18:19], v80, v33 src0_sel:BYTE_0 src1_sel:DWORD
	v_cndmask_b32_e64 v32, v20, v32, s[16:17]
	s_and_b64 s[16:17], s[12:13], s[16:17]
	v_cndmask_b32_e64 v32, v20, v32, s[12:13]
	v_cndmask_b32_e64 v31, v19, v31, s[16:17]
	s_or_b64 s[56:57], s[18:19], s[14:15]
	v_cmp_lt_u64_e64 s[14:15], v[31:32], v[17:18]
	v_cmp_eq_u16_sdwa s[16:17], v77, v33 src0_sel:BYTE_0 src1_sel:DWORD
	v_cndmask_b32_e64 v31, v17, v31, s[14:15]
	v_cndmask_b32_e64 v32, v18, v32, s[14:15]
	;; [unrolled: 1-line block ×4, first 2 shown]
	v_cmp_lt_u64_e64 s[18:19], v[31:32], v[15:16]
	v_cmp_eq_u16_sdwa s[14:15], v76, v33 src0_sel:BYTE_0 src1_sel:DWORD
	v_cndmask_b32_e64 v32, v16, v32, s[18:19]
	s_and_b64 s[18:19], s[14:15], s[18:19]
	v_cndmask_b32_e64 v32, v16, v32, s[14:15]
	v_cndmask_b32_e64 v31, v15, v31, s[18:19]
	v_cmp_lt_u64_e64 s[18:19], v[31:32], v[13:14]
	v_cmp_ne_u16_sdwa s[22:23], v69, v33 src0_sel:BYTE_0 src1_sel:DWORD
	v_cndmask_b32_e64 v31, v13, v31, s[18:19]
	v_cndmask_b32_e64 v32, v14, v32, s[18:19]
	v_cmp_eq_u16_sdwa s[18:19], v75, v33 src0_sel:BYTE_0 src1_sel:DWORD
	v_cndmask_b32_e64 v32, v14, v32, s[18:19]
	v_cndmask_b32_e64 v31, v13, v31, s[18:19]
	s_or_b64 s[58:59], s[22:23], s[20:21]
	v_cmp_lt_u64_e64 s[22:23], v[31:32], v[9:10]
	v_cmp_eq_u16_sdwa s[20:21], v74, v33 src0_sel:BYTE_0 src1_sel:DWORD
	v_cndmask_b32_e64 v32, v10, v32, s[22:23]
	s_and_b64 s[22:23], s[20:21], s[22:23]
	v_cndmask_b32_e64 v32, v10, v32, s[20:21]
	v_cndmask_b32_e64 v31, v9, v31, s[22:23]
	v_cmp_lt_u64_e64 s[22:23], v[31:32], v[7:8]
	v_cmp_eq_u16_sdwa s[24:25], v72, v33 src0_sel:BYTE_0 src1_sel:DWORD
	v_cndmask_b32_e64 v31, v7, v31, s[22:23]
	v_cndmask_b32_e64 v32, v8, v32, s[22:23]
	v_cmp_eq_u16_sdwa s[22:23], v73, v33 src0_sel:BYTE_0 src1_sel:DWORD
	v_cndmask_b32_e64 v32, v8, v32, s[22:23]
	v_cndmask_b32_e64 v31, v7, v31, s[22:23]
	v_cmp_lt_u64_e64 s[26:27], v[31:32], v[1:2]
	v_cmp_ne_u16_sdwa s[60:61], v67, v33 src0_sel:BYTE_0 src1_sel:DWORD
	v_cndmask_b32_e64 v32, v2, v32, s[26:27]
	s_and_b64 s[26:27], s[24:25], s[26:27]
	v_cndmask_b32_e64 v32, v2, v32, s[24:25]
	v_cndmask_b32_e64 v31, v1, v31, s[26:27]
	v_cmp_lt_u64_e64 s[26:27], v[31:32], v[5:6]
	s_or_b64 s[60:61], s[60:61], s[28:29]
	v_cndmask_b32_e64 v31, v5, v31, s[26:27]
	v_cndmask_b32_e64 v32, v6, v32, s[26:27]
	v_cmp_eq_u16_sdwa s[26:27], v71, v33 src0_sel:BYTE_0 src1_sel:DWORD
	v_cndmask_b32_e64 v32, v6, v32, s[26:27]
	v_cndmask_b32_e64 v31, v5, v31, s[26:27]
	v_cmp_lt_u64_e64 s[36:37], v[31:32], v[11:12]
	v_mbcnt_hi_u32_b32 v42, -1, v64
	s_and_b64 s[28:29], s[30:31], s[36:37]
	v_cndmask_b32_e64 v32, v12, v32, s[28:29]
	v_cndmask_b32_e64 v31, v11, v31, s[28:29]
	v_cmp_ne_u16_sdwa s[28:29], v65, v33 src0_sel:BYTE_0 src1_sel:DWORD
	s_or_b64 s[28:29], s[28:29], s[60:61]
	s_or_b64 s[28:29], s[28:29], s[58:59]
	;; [unrolled: 1-line block ×4, first 2 shown]
	s_or_b64 vcc, s[28:29], vcc
	v_and_b32_e32 v36, 15, v42
	v_cndmask_b32_e64 v34, 0, 1, vcc
	v_cndmask_b32_e64 v35, 0, 1, vcc
	v_mov_b32_dpp v33, v31 row_shr:1 row_mask:0xf bank_mask:0xf
	v_mov_b32_dpp v37, v32 row_shr:1 row_mask:0xf bank_mask:0xf
	;; [unrolled: 1-line block ×3, first 2 shown]
	v_cmp_ne_u32_e64 s[28:29], 0, v36
	s_and_saveexec_b64 s[30:31], s[28:29]
	s_cbranch_execz .LBB115_105
; %bb.104:
	v_and_b32_e32 v34, 1, v38
	v_or_b32_e32 v35, v34, v35
	v_mov_b32_e32 v34, v37
	v_cmp_lt_u64_e64 s[28:29], v[33:34], v[31:32]
	v_cndmask_b32_e64 v34, v32, v37, s[28:29]
	v_cndmask_b32_e64 v33, v31, v33, s[28:29]
	v_cndmask_b32_e32 v32, v34, v32, vcc
	v_cndmask_b32_e32 v31, v33, v31, vcc
	v_and_b32_e32 v34, 0xffff, v35
.LBB115_105:
	s_or_b64 exec, exec, s[30:31]
	v_mov_b32_dpp v33, v31 row_shr:2 row_mask:0xf bank_mask:0xf
	v_mov_b32_dpp v37, v32 row_shr:2 row_mask:0xf bank_mask:0xf
	v_mov_b32_dpp v38, v34 row_shr:2 row_mask:0xf bank_mask:0xf
	v_cmp_lt_u32_e32 vcc, 1, v36
	s_and_saveexec_b64 s[30:31], vcc
	s_cbranch_execz .LBB115_107
; %bb.106:
	v_and_b32_e32 v34, 1, v35
	v_cmp_eq_u32_e32 vcc, 1, v34
	v_and_b32_e32 v34, 1, v38
	v_cmp_eq_u32_e64 s[28:29], 1, v34
	v_mov_b32_e32 v34, v37
	s_or_b64 s[36:37], vcc, s[28:29]
	v_cmp_lt_u64_e32 vcc, v[33:34], v[31:32]
	v_cmp_eq_u16_e64 s[28:29], 0, v35
	v_cndmask_b32_e64 v38, 0, 1, s[36:37]
	s_and_b64 vcc, s[28:29], vcc
	v_cndmask_b32_e32 v32, v32, v37, vcc
	v_cndmask_b32_e32 v31, v31, v33, vcc
	v_cndmask_b32_e64 v34, 0, 1, s[36:37]
	v_mov_b32_e32 v35, v38
.LBB115_107:
	s_or_b64 exec, exec, s[30:31]
	v_mov_b32_dpp v33, v31 row_shr:4 row_mask:0xf bank_mask:0xf
	v_mov_b32_dpp v37, v32 row_shr:4 row_mask:0xf bank_mask:0xf
	v_mov_b32_dpp v38, v34 row_shr:4 row_mask:0xf bank_mask:0xf
	v_cmp_lt_u32_e32 vcc, 3, v36
	s_and_saveexec_b64 s[30:31], vcc
	s_cbranch_execz .LBB115_109
; %bb.108:
	v_and_b32_e32 v34, 1, v35
	v_cmp_eq_u32_e32 vcc, 1, v34
	v_and_b32_e32 v34, 1, v38
	v_cmp_eq_u32_e64 s[28:29], 1, v34
	v_mov_b32_e32 v34, v37
	s_or_b64 s[36:37], vcc, s[28:29]
	v_cmp_lt_u64_e32 vcc, v[33:34], v[31:32]
	v_cmp_eq_u16_e64 s[28:29], 0, v35
	v_cndmask_b32_e64 v38, 0, 1, s[36:37]
	s_and_b64 vcc, s[28:29], vcc
	v_cndmask_b32_e32 v32, v32, v37, vcc
	v_cndmask_b32_e32 v31, v31, v33, vcc
	v_cndmask_b32_e64 v34, 0, 1, s[36:37]
	v_mov_b32_e32 v35, v38
.LBB115_109:
	;; [unrolled: 23-line block ×3, first 2 shown]
	s_or_b64 exec, exec, s[30:31]
	v_and_b32_e32 v38, 16, v42
	v_mov_b32_dpp v33, v31 row_bcast:15 row_mask:0xf bank_mask:0xf
	v_mov_b32_dpp v36, v32 row_bcast:15 row_mask:0xf bank_mask:0xf
	;; [unrolled: 1-line block ×3, first 2 shown]
	v_cmp_ne_u32_e32 vcc, 0, v38
	s_and_saveexec_b64 s[30:31], vcc
	s_cbranch_execz .LBB115_113
; %bb.112:
	v_and_b32_e32 v34, 1, v35
	v_cmp_eq_u32_e32 vcc, 1, v34
	v_and_b32_e32 v34, 1, v37
	v_cmp_eq_u32_e64 s[28:29], 1, v34
	v_mov_b32_e32 v34, v36
	s_or_b64 s[36:37], vcc, s[28:29]
	v_cmp_lt_u64_e32 vcc, v[33:34], v[31:32]
	v_cmp_eq_u16_e64 s[28:29], 0, v35
	v_cndmask_b32_e64 v37, 0, 1, s[36:37]
	s_and_b64 vcc, s[28:29], vcc
	v_cndmask_b32_e32 v32, v32, v36, vcc
	v_cndmask_b32_e32 v31, v31, v33, vcc
	v_cndmask_b32_e64 v34, 0, 1, s[36:37]
	v_mov_b32_e32 v35, v37
.LBB115_113:
	s_or_b64 exec, exec, s[30:31]
	v_mov_b32_dpp v33, v31 row_bcast:31 row_mask:0xf bank_mask:0xf
	v_mov_b32_dpp v36, v32 row_bcast:31 row_mask:0xf bank_mask:0xf
	;; [unrolled: 1-line block ×3, first 2 shown]
	v_cmp_lt_u32_e32 vcc, 31, v42
	s_and_saveexec_b64 s[30:31], vcc
	s_cbranch_execz .LBB115_115
; %bb.114:
	v_and_b32_e32 v37, 1, v35
	v_and_b32_e32 v34, 1, v34
	v_cmp_eq_u32_e32 vcc, 1, v37
	v_cmp_eq_u32_e64 s[28:29], 1, v34
	v_mov_b32_e32 v34, v36
	s_or_b64 s[28:29], vcc, s[28:29]
	v_cmp_lt_u64_e32 vcc, v[33:34], v[31:32]
	v_cndmask_b32_e64 v37, 0, 1, s[28:29]
	v_cmp_eq_u16_e64 s[28:29], 0, v35
	s_and_b64 vcc, s[28:29], vcc
	v_cndmask_b32_e32 v32, v32, v36, vcc
	v_cndmask_b32_e32 v31, v31, v33, vcc
	v_mov_b32_e32 v35, v37
.LBB115_115:
	s_or_b64 exec, exec, s[30:31]
	v_cmp_eq_u32_e32 vcc, 63, v0
	s_and_saveexec_b64 s[28:29], vcc
	s_cbranch_execz .LBB115_117
; %bb.116:
	v_mov_b32_e32 v33, 0
	ds_write_b64 v33, v[31:32]
	ds_write_b8 v33, v35 offset:8
.LBB115_117:
	s_or_b64 exec, exec, s[28:29]
	v_add_u32_e32 v33, -1, v42
	v_and_b32_e32 v34, 64, v42
	v_cmp_lt_i32_e32 vcc, v33, v34
	v_cndmask_b32_e32 v33, v33, v42, vcc
	v_lshlrev_b32_e32 v33, 2, v33
	ds_bpermute_b32 v44, v33, v32
	v_and_b32_e32 v32, 0xffff, v35
	ds_bpermute_b32 v31, v33, v31
	ds_bpermute_b32 v45, v33, v32
	v_cmp_gt_u32_e32 vcc, 64, v0
	s_waitcnt lgkmcnt(0)
	; wave barrier
	s_and_saveexec_b64 s[36:37], vcc
	s_cbranch_execz .LBB115_215
; %bb.118:
	v_mov_b32_e32 v36, 0
	ds_read_b64 v[32:33], v36
	ds_read_u8 v46, v36 offset:8
	s_mov_b32 s55, 0
	v_cmp_eq_u32_e64 s[28:29], 0, v42
	s_and_saveexec_b64 s[30:31], s[28:29]
	s_cbranch_execz .LBB115_120
; %bb.119:
	s_add_i32 s54, s6, 64
	s_lshl_b64 s[56:57], s[54:55], 4
	s_add_u32 s56, s40, s56
	s_addc_u32 s57, s41, s57
	v_mov_b32_e32 v34, 1
	v_mov_b32_e32 v35, s54
	s_waitcnt lgkmcnt(1)
	global_store_dwordx2 v36, v[32:33], s[56:57]
	s_waitcnt lgkmcnt(0)
	global_store_byte v36, v46, s[56:57] offset:8
	s_waitcnt vmcnt(0)
	buffer_wbinvl1_vol
	global_store_byte v35, v34, s[44:45]
.LBB115_120:
	s_or_b64 exec, exec, s[30:31]
	v_xad_u32 v34, v42, -1, s6
	v_add_u32_e32 v35, 64, v34
	global_load_ubyte v47, v35, s[44:45] glc
	s_waitcnt vmcnt(0)
	v_cmp_eq_u16_e32 vcc, 0, v47
	s_and_saveexec_b64 s[30:31], vcc
	s_cbranch_execz .LBB115_124
; %bb.121:
	v_mov_b32_e32 v38, s45
	v_add_co_u32_e32 v37, vcc, s44, v35
	v_addc_co_u32_e32 v38, vcc, 0, v38, vcc
	s_mov_b64 s[54:55], 0
.LBB115_122:                            ; =>This Inner Loop Header: Depth=1
	global_load_ubyte v47, v[37:38], off glc
	s_waitcnt vmcnt(0)
	v_cmp_ne_u16_e32 vcc, 0, v47
	s_or_b64 s[54:55], vcc, s[54:55]
	s_andn2_b64 exec, exec, s[54:55]
	s_cbranch_execnz .LBB115_122
; %bb.123:
	s_or_b64 exec, exec, s[54:55]
.LBB115_124:
	s_or_b64 exec, exec, s[30:31]
	v_mov_b32_e32 v37, s43
	v_mov_b32_e32 v38, s41
	v_cmp_eq_u16_e32 vcc, 1, v47
	v_cndmask_b32_e32 v37, v37, v38, vcc
	v_mov_b32_e32 v38, s42
	v_mov_b32_e32 v39, s40
	v_lshlrev_b64 v[35:36], 4, v[35:36]
	v_cndmask_b32_e32 v38, v38, v39, vcc
	v_add_co_u32_e32 v35, vcc, v38, v35
	v_addc_co_u32_e32 v36, vcc, v37, v36, vcc
	s_waitcnt lgkmcnt(0)
	buffer_wbinvl1_vol
	global_load_dwordx2 v[40:41], v[35:36], off
	global_load_ubyte v43, v[35:36], off offset:8
	v_and_b32_e32 v56, 63, v42
	v_lshlrev_b64 v[36:37], v42, -1
	v_cmp_ne_u32_e64 s[30:31], 63, v56
	v_cmp_eq_u16_e32 vcc, 2, v47
	v_addc_co_u32_e64 v35, s[30:31], 0, v42, s[30:31]
	v_and_b32_e32 v38, vcc_hi, v37
	v_lshlrev_b32_e32 v48, 2, v35
	v_or_b32_e32 v35, 0x80000000, v38
	v_and_b32_e32 v49, vcc_lo, v36
	v_ffbl_b32_e32 v35, v35
	v_add_u32_e32 v35, 32, v35
	v_ffbl_b32_e32 v49, v49
	v_min_u32_e32 v35, v49, v35
	v_add_u32_e32 v49, 1, v42
	v_cmp_le_u32_e32 vcc, v49, v35
	s_waitcnt vmcnt(1)
	ds_bpermute_b32 v38, v48, v40
	s_waitcnt vmcnt(0)
	v_and_b32_e32 v39, 1, v43
	ds_bpermute_b32 v51, v48, v41
	ds_bpermute_b32 v50, v48, v39
	s_and_saveexec_b64 s[30:31], vcc
	s_cbranch_execz .LBB115_126
; %bb.125:
	s_waitcnt lgkmcnt(1)
	v_mov_b32_e32 v39, v51
	v_mov_b32_e32 v52, 0
	v_cmp_lt_u64_e32 vcc, v[38:39], v[40:41]
	v_cmp_eq_u16_sdwa s[54:55], v43, v52 src0_sel:BYTE_0 src1_sel:DWORD
	s_and_b64 vcc, s[54:55], vcc
	v_cndmask_b32_e32 v40, v40, v38, vcc
	s_waitcnt lgkmcnt(0)
	v_and_b32_e32 v38, 1, v50
	v_or_b32_e32 v43, v38, v43
	v_cndmask_b32_e32 v41, v41, v51, vcc
	v_and_b32_e32 v39, 0xff, v43
.LBB115_126:
	s_or_b64 exec, exec, s[30:31]
	v_cmp_gt_u32_e32 vcc, 62, v56
	s_waitcnt lgkmcnt(2)
	v_cndmask_b32_e64 v38, 0, 2, vcc
	s_waitcnt lgkmcnt(0)
	v_add_lshl_u32 v50, v38, v42, 2
	ds_bpermute_b32 v38, v50, v40
	ds_bpermute_b32 v53, v50, v41
	ds_bpermute_b32 v52, v50, v39
	v_add_u32_e32 v51, 2, v42
	v_cmp_le_u32_e32 vcc, v51, v35
	s_and_saveexec_b64 s[54:55], vcc
	s_cbranch_execz .LBB115_128
; %bb.127:
	s_waitcnt lgkmcnt(1)
	v_mov_b32_e32 v39, v53
	v_mov_b32_e32 v54, 0
	v_cmp_lt_u64_e32 vcc, v[38:39], v[40:41]
	v_cmp_eq_u16_sdwa s[30:31], v43, v54 src0_sel:BYTE_0 src1_sel:DWORD
	s_and_b64 vcc, s[30:31], vcc
	v_cndmask_b32_e32 v40, v40, v38, vcc
	v_and_b32_e32 v38, 1, v43
	v_cndmask_b32_e32 v41, v41, v53, vcc
	v_cmp_eq_u32_e32 vcc, 1, v38
	s_waitcnt lgkmcnt(0)
	v_and_b32_e32 v38, 1, v52
	v_cmp_eq_u32_e64 s[30:31], 1, v38
	s_or_b64 s[30:31], vcc, s[30:31]
	v_cndmask_b32_e64 v43, 0, 1, s[30:31]
	v_cndmask_b32_e64 v39, 0, 1, s[30:31]
.LBB115_128:
	s_or_b64 exec, exec, s[54:55]
	v_cmp_gt_u32_e32 vcc, 60, v56
	s_waitcnt lgkmcnt(2)
	v_cndmask_b32_e64 v38, 0, 4, vcc
	s_waitcnt lgkmcnt(0)
	v_add_lshl_u32 v52, v38, v42, 2
	ds_bpermute_b32 v38, v52, v40
	ds_bpermute_b32 v55, v52, v41
	ds_bpermute_b32 v54, v52, v39
	v_add_u32_e32 v53, 4, v42
	v_cmp_le_u32_e32 vcc, v53, v35
	s_and_saveexec_b64 s[54:55], vcc
	s_cbranch_execz .LBB115_130
; %bb.129:
	s_waitcnt lgkmcnt(1)
	v_mov_b32_e32 v39, v55
	v_mov_b32_e32 v57, 0
	v_cmp_lt_u64_e32 vcc, v[38:39], v[40:41]
	v_cmp_eq_u16_sdwa s[30:31], v43, v57 src0_sel:BYTE_0 src1_sel:DWORD
	s_and_b64 vcc, s[30:31], vcc
	v_cndmask_b32_e32 v40, v40, v38, vcc
	v_and_b32_e32 v38, 1, v43
	v_cndmask_b32_e32 v41, v41, v55, vcc
	v_cmp_eq_u32_e32 vcc, 1, v38
	s_waitcnt lgkmcnt(0)
	v_and_b32_e32 v38, 1, v54
	v_cmp_eq_u32_e64 s[30:31], 1, v38
	s_or_b64 s[30:31], vcc, s[30:31]
	v_cndmask_b32_e64 v43, 0, 1, s[30:31]
	v_cndmask_b32_e64 v39, 0, 1, s[30:31]
.LBB115_130:
	;; [unrolled: 31-line block ×3, first 2 shown]
	s_or_b64 exec, exec, s[54:55]
	v_cmp_gt_u32_e32 vcc, 48, v56
	s_waitcnt lgkmcnt(2)
	v_cndmask_b32_e64 v38, 0, 16, vcc
	v_add_lshl_u32 v56, v38, v42, 2
	ds_bpermute_b32 v38, v56, v40
	ds_bpermute_b32 v59, v56, v41
	s_waitcnt lgkmcnt(3)
	ds_bpermute_b32 v58, v56, v39
	s_waitcnt lgkmcnt(3)
	v_add_u32_e32 v57, 16, v42
	v_cmp_le_u32_e32 vcc, v57, v35
	s_and_saveexec_b64 s[54:55], vcc
	s_cbranch_execz .LBB115_134
; %bb.133:
	s_waitcnt lgkmcnt(1)
	v_mov_b32_e32 v39, v59
	v_mov_b32_e32 v60, 0
	v_cmp_lt_u64_e32 vcc, v[38:39], v[40:41]
	v_cmp_eq_u16_sdwa s[30:31], v43, v60 src0_sel:BYTE_0 src1_sel:DWORD
	s_and_b64 vcc, s[30:31], vcc
	v_cndmask_b32_e32 v40, v40, v38, vcc
	v_and_b32_e32 v38, 1, v43
	v_cndmask_b32_e32 v41, v41, v59, vcc
	v_cmp_eq_u32_e32 vcc, 1, v38
	s_waitcnt lgkmcnt(0)
	v_and_b32_e32 v38, 1, v58
	v_cmp_eq_u32_e64 s[30:31], 1, v38
	s_or_b64 s[30:31], vcc, s[30:31]
	v_cndmask_b32_e64 v43, 0, 1, s[30:31]
	v_cndmask_b32_e64 v39, 0, 1, s[30:31]
.LBB115_134:
	s_or_b64 exec, exec, s[54:55]
	s_waitcnt lgkmcnt(2)
	v_mov_b32_e32 v38, 0x80
	s_waitcnt lgkmcnt(0)
	v_lshl_or_b32 v58, v42, 2, v38
	ds_bpermute_b32 v38, v58, v40
	ds_bpermute_b32 v61, v58, v41
	;; [unrolled: 1-line block ×3, first 2 shown]
	v_add_u32_e32 v60, 32, v42
	v_cmp_le_u32_e32 vcc, v60, v35
	s_and_saveexec_b64 s[54:55], vcc
	s_cbranch_execz .LBB115_136
; %bb.135:
	s_waitcnt lgkmcnt(1)
	v_mov_b32_e32 v39, v61
	v_mov_b32_e32 v35, 0
	v_cmp_lt_u64_e32 vcc, v[38:39], v[40:41]
	v_cmp_eq_u16_sdwa s[30:31], v43, v35 src0_sel:BYTE_0 src1_sel:DWORD
	v_cndmask_b32_e32 v39, v41, v61, vcc
	s_and_b64 vcc, s[30:31], vcc
	v_and_b32_e32 v35, 1, v43
	v_cndmask_b32_e32 v40, v40, v38, vcc
	v_cmp_eq_u32_e32 vcc, 1, v35
	s_waitcnt lgkmcnt(0)
	v_and_b32_e32 v35, 1, v59
	v_cndmask_b32_e64 v41, v41, v39, s[30:31]
	v_cmp_eq_u32_e64 s[30:31], 1, v35
	s_or_b64 s[30:31], vcc, s[30:31]
	v_cndmask_b32_e64 v43, 0, 1, s[30:31]
.LBB115_136:
	s_or_b64 exec, exec, s[54:55]
	v_mov_b32_e32 v35, 0
	s_waitcnt lgkmcnt(1)
	v_mov_b32_e32 v61, 2
	s_branch .LBB115_139
.LBB115_137:                            ;   in Loop: Header=BB115_139 Depth=1
	s_or_b64 exec, exec, s[56:57]
	v_cmp_lt_u64_e32 vcc, v[40:41], v[38:39]
	v_cmp_eq_u16_sdwa s[30:31], v59, v35 src0_sel:BYTE_0 src1_sel:DWORD
	v_cndmask_b32_e32 v41, v39, v41, vcc
	s_and_b64 vcc, s[30:31], vcc
	s_waitcnt lgkmcnt(2)
	v_and_b32_e32 v42, 1, v59
	v_cndmask_b32_e32 v40, v38, v40, vcc
	v_cmp_eq_u32_e32 vcc, 1, v42
	v_cndmask_b32_e64 v41, v39, v41, s[30:31]
	s_or_b64 s[30:31], vcc, s[54:55]
	v_subrev_u32_e32 v34, 64, v34
	v_cndmask_b32_e64 v43, 0, 1, s[30:31]
	s_mov_b64 s[30:31], 0
.LBB115_138:                            ;   in Loop: Header=BB115_139 Depth=1
	s_and_b64 vcc, exec, s[30:31]
	s_cbranch_vccnz .LBB115_211
.LBB115_139:                            ; =>This Loop Header: Depth=1
                                        ;     Child Loop BB115_142 Depth 2
	v_mov_b32_e32 v38, v40
	v_cmp_ne_u16_sdwa s[30:31], v47, v61 src0_sel:BYTE_0 src1_sel:DWORD
	s_waitcnt lgkmcnt(0)
	v_mov_b32_e32 v59, v43
	v_mov_b32_e32 v39, v41
	s_cmp_lg_u64 s[30:31], exec
	s_mov_b64 s[30:31], -1
                                        ; implicit-def: $vgpr43
                                        ; implicit-def: $vgpr40_vgpr41
                                        ; implicit-def: $vgpr47
	s_cbranch_scc1 .LBB115_138
; %bb.140:                              ;   in Loop: Header=BB115_139 Depth=1
	global_load_ubyte v47, v34, s[44:45] glc
	s_waitcnt vmcnt(0)
	v_cmp_eq_u16_e32 vcc, 0, v47
	s_and_saveexec_b64 s[30:31], vcc
	s_cbranch_execz .LBB115_144
; %bb.141:                              ;   in Loop: Header=BB115_139 Depth=1
	v_mov_b32_e32 v41, s45
	v_add_co_u32_e32 v40, vcc, s44, v34
	v_addc_co_u32_e32 v41, vcc, 0, v41, vcc
	s_mov_b64 s[54:55], 0
.LBB115_142:                            ;   Parent Loop BB115_139 Depth=1
                                        ; =>  This Inner Loop Header: Depth=2
	global_load_ubyte v47, v[40:41], off glc
	s_waitcnt vmcnt(0)
	v_cmp_ne_u16_e32 vcc, 0, v47
	s_or_b64 s[54:55], vcc, s[54:55]
	s_andn2_b64 exec, exec, s[54:55]
	s_cbranch_execnz .LBB115_142
; %bb.143:                              ;   in Loop: Header=BB115_139 Depth=1
	s_or_b64 exec, exec, s[54:55]
.LBB115_144:                            ;   in Loop: Header=BB115_139 Depth=1
	s_or_b64 exec, exec, s[30:31]
	v_mov_b32_e32 v40, s43
	v_mov_b32_e32 v41, s41
	v_cmp_eq_u16_e32 vcc, 1, v47
	v_cndmask_b32_e32 v43, v40, v41, vcc
	v_mov_b32_e32 v40, s42
	v_mov_b32_e32 v41, s40
	v_cndmask_b32_e32 v42, v40, v41, vcc
	v_lshlrev_b64 v[40:41], 4, v[34:35]
	buffer_wbinvl1_vol
	v_add_co_u32_e32 v42, vcc, v42, v40
	v_addc_co_u32_e32 v43, vcc, v43, v41, vcc
	global_load_dwordx2 v[40:41], v[42:43], off
	global_load_ubyte v62, v[42:43], off offset:8
	v_cmp_eq_u16_e32 vcc, 2, v47
	v_and_b32_e32 v42, vcc_hi, v37
	v_or_b32_e32 v42, 0x80000000, v42
	v_ffbl_b32_e32 v42, v42
	v_add_u32_e32 v92, 32, v42
	v_and_b32_e32 v89, vcc_lo, v36
	v_ffbl_b32_e32 v89, v89
	v_min_u32_e32 v89, v89, v92
	v_cmp_le_u32_e32 vcc, v49, v89
	s_waitcnt vmcnt(1)
	ds_bpermute_b32 v42, v48, v40
	s_waitcnt vmcnt(0)
	v_and_b32_e32 v43, 1, v62
	ds_bpermute_b32 v91, v48, v41
	ds_bpermute_b32 v90, v48, v43
	v_cmp_eq_u32_e64 s[54:55], 1, v43
	s_and_saveexec_b64 s[30:31], vcc
	s_cbranch_execz .LBB115_146
; %bb.145:                              ;   in Loop: Header=BB115_139 Depth=1
	s_waitcnt lgkmcnt(1)
	v_mov_b32_e32 v43, v91
	v_cmp_lt_u64_e32 vcc, v[42:43], v[40:41]
	v_cmp_eq_u16_sdwa s[56:57], v62, v35 src0_sel:BYTE_0 src1_sel:DWORD
	s_and_b64 vcc, s[56:57], vcc
	v_cndmask_b32_e32 v40, v40, v42, vcc
	s_waitcnt lgkmcnt(0)
	v_and_b32_e32 v42, 1, v90
	v_or_b32_e32 v62, v42, v62
	v_and_b32_e32 v42, 1, v62
	v_cndmask_b32_e32 v41, v41, v91, vcc
	v_cmp_eq_u32_e32 vcc, 1, v42
	s_andn2_b64 s[54:55], s[54:55], exec
	s_and_b64 s[56:57], vcc, exec
	v_and_b32_e32 v43, 0xff, v62
	s_or_b64 s[54:55], s[54:55], s[56:57]
.LBB115_146:                            ;   in Loop: Header=BB115_139 Depth=1
	s_or_b64 exec, exec, s[30:31]
	s_waitcnt lgkmcnt(2)
	ds_bpermute_b32 v42, v50, v40
	s_waitcnt lgkmcnt(2)
	ds_bpermute_b32 v91, v50, v41
	s_waitcnt lgkmcnt(2)
	ds_bpermute_b32 v90, v50, v43
	v_cmp_le_u32_e32 vcc, v51, v89
	s_and_saveexec_b64 s[56:57], vcc
	s_cbranch_execz .LBB115_148
; %bb.147:                              ;   in Loop: Header=BB115_139 Depth=1
	s_waitcnt lgkmcnt(1)
	v_mov_b32_e32 v43, v91
	v_cmp_lt_u64_e32 vcc, v[42:43], v[40:41]
	v_cmp_eq_u16_sdwa s[30:31], v62, v35 src0_sel:BYTE_0 src1_sel:DWORD
	s_and_b64 vcc, s[30:31], vcc
	v_cndmask_b32_e32 v40, v40, v42, vcc
	v_and_b32_e32 v42, 1, v62
	v_cndmask_b32_e32 v41, v41, v91, vcc
	v_cmp_eq_u32_e32 vcc, 1, v42
	s_waitcnt lgkmcnt(0)
	v_and_b32_e32 v42, 1, v90
	v_cmp_eq_u32_e64 s[30:31], 1, v42
	s_or_b64 s[30:31], vcc, s[30:31]
	v_cndmask_b32_e64 v62, 0, 1, s[30:31]
	v_cndmask_b32_e64 v43, 0, 1, s[30:31]
	s_andn2_b64 s[54:55], s[54:55], exec
	s_and_b64 s[30:31], s[30:31], exec
	s_or_b64 s[54:55], s[54:55], s[30:31]
.LBB115_148:                            ;   in Loop: Header=BB115_139 Depth=1
	s_or_b64 exec, exec, s[56:57]
	s_waitcnt lgkmcnt(2)
	ds_bpermute_b32 v42, v52, v40
	s_waitcnt lgkmcnt(2)
	ds_bpermute_b32 v91, v52, v41
	s_waitcnt lgkmcnt(2)
	ds_bpermute_b32 v90, v52, v43
	v_cmp_le_u32_e32 vcc, v53, v89
	s_and_saveexec_b64 s[56:57], vcc
	s_cbranch_execz .LBB115_150
; %bb.149:                              ;   in Loop: Header=BB115_139 Depth=1
	s_waitcnt lgkmcnt(1)
	v_mov_b32_e32 v43, v91
	v_cmp_lt_u64_e32 vcc, v[42:43], v[40:41]
	v_cmp_eq_u16_sdwa s[30:31], v62, v35 src0_sel:BYTE_0 src1_sel:DWORD
	s_and_b64 vcc, s[30:31], vcc
	v_cndmask_b32_e32 v40, v40, v42, vcc
	v_and_b32_e32 v42, 1, v62
	v_cndmask_b32_e32 v41, v41, v91, vcc
	v_cmp_eq_u32_e32 vcc, 1, v42
	s_waitcnt lgkmcnt(0)
	v_and_b32_e32 v42, 1, v90
	v_cmp_eq_u32_e64 s[30:31], 1, v42
	s_or_b64 s[30:31], vcc, s[30:31]
	v_cndmask_b32_e64 v62, 0, 1, s[30:31]
	v_cndmask_b32_e64 v43, 0, 1, s[30:31]
	s_andn2_b64 s[54:55], s[54:55], exec
	s_and_b64 s[30:31], s[30:31], exec
	s_or_b64 s[54:55], s[54:55], s[30:31]
.LBB115_150:                            ;   in Loop: Header=BB115_139 Depth=1
	;; [unrolled: 30-line block ×4, first 2 shown]
	s_or_b64 exec, exec, s[56:57]
	s_waitcnt lgkmcnt(2)
	ds_bpermute_b32 v42, v58, v40
	s_waitcnt lgkmcnt(2)
	ds_bpermute_b32 v91, v58, v41
	;; [unrolled: 2-line block ×3, first 2 shown]
	v_cmp_le_u32_e32 vcc, v60, v89
	s_and_saveexec_b64 s[56:57], vcc
	s_cbranch_execz .LBB115_137
; %bb.155:                              ;   in Loop: Header=BB115_139 Depth=1
	s_waitcnt lgkmcnt(1)
	v_mov_b32_e32 v43, v91
	v_cmp_lt_u64_e32 vcc, v[42:43], v[40:41]
	v_cmp_eq_u16_sdwa s[30:31], v62, v35 src0_sel:BYTE_0 src1_sel:DWORD
	v_cndmask_b32_e32 v43, v41, v91, vcc
	s_and_b64 vcc, s[30:31], vcc
	v_cndmask_b32_e32 v40, v40, v42, vcc
	v_and_b32_e32 v42, 1, v62
	v_cmp_eq_u32_e32 vcc, 1, v42
	s_waitcnt lgkmcnt(0)
	v_and_b32_e32 v42, 1, v90
	v_cndmask_b32_e64 v41, v41, v43, s[30:31]
	v_cmp_eq_u32_e64 s[30:31], 1, v42
	s_or_b64 s[30:31], vcc, s[30:31]
	s_andn2_b64 s[54:55], s[54:55], exec
	s_and_b64 s[30:31], s[30:31], exec
	s_or_b64 s[54:55], s[54:55], s[30:31]
	s_branch .LBB115_137
.LBB115_156:
                                        ; implicit-def: $vgpr31_vgpr32
                                        ; implicit-def: $vgpr59_vgpr60
                                        ; implicit-def: $vgpr57_vgpr58
                                        ; implicit-def: $vgpr53_vgpr54
                                        ; implicit-def: $vgpr49_vgpr50
                                        ; implicit-def: $vgpr45_vgpr46
                                        ; implicit-def: $vgpr41_vgpr42
                                        ; implicit-def: $vgpr37_vgpr38
                                        ; implicit-def: $vgpr55_vgpr56
                                        ; implicit-def: $vgpr51_vgpr52
                                        ; implicit-def: $vgpr47_vgpr48
                                        ; implicit-def: $vgpr43_vgpr44
                                        ; implicit-def: $vgpr39_vgpr40
                                        ; implicit-def: $vgpr35_vgpr36
                                        ; implicit-def: $vgpr33_vgpr34
	s_cbranch_execnz .LBB115_216
.LBB115_157:
	s_add_u32 s2, s48, s38
	s_addc_u32 s3, s49, s39
	s_and_b64 vcc, exec, s[0:1]
	s_cbranch_vccz .LBB115_235
.LBB115_158:
	s_add_i32 s33, s33, s46
	v_mul_u32_u24_e32 v1, 15, v0
	v_cmp_gt_u32_e32 vcc, s33, v1
	s_and_saveexec_b64 s[0:1], vcc
	s_cbranch_execz .LBB115_182
; %bb.159:
	v_add_u32_e32 v2, 1, v1
	v_cmp_gt_u32_e32 vcc, s33, v2
	s_and_saveexec_b64 s[4:5], vcc
	s_cbranch_execz .LBB115_181
; %bb.160:
	v_add_u32_e32 v2, 2, v1
	;; [unrolled: 5-line block ×11, first 2 shown]
	v_cmp_gt_u32_e32 vcc, s33, v2
	s_and_saveexec_b64 s[24:25], vcc
; %bb.170:
	v_add_u32_e32 v2, 12, v1
	v_cmp_gt_u32_e32 vcc, s33, v2
	s_and_saveexec_b64 s[26:27], vcc
	s_or_b64 exec, exec, s[26:27]
; %bb.171:
	s_or_b64 exec, exec, s[24:25]
.LBB115_172:
	s_or_b64 exec, exec, s[22:23]
.LBB115_173:
	s_or_b64 exec, exec, s[20:21]
.LBB115_174:
	s_or_b64 exec, exec, s[18:19]
.LBB115_175:
	s_or_b64 exec, exec, s[16:17]
.LBB115_176:
	s_or_b64 exec, exec, s[14:15]
.LBB115_177:
	s_or_b64 exec, exec, s[12:13]
.LBB115_178:
	s_or_b64 exec, exec, s[10:11]
.LBB115_179:
	s_or_b64 exec, exec, s[8:9]
.LBB115_180:
	s_or_b64 exec, exec, s[6:7]
.LBB115_181:
	s_or_b64 exec, exec, s[4:5]
.LBB115_182:
	s_or_b64 exec, exec, s[0:1]
	v_lshlrev_b32_e32 v61, 3, v1
	s_movk_i32 s0, 0xff90
	v_mad_i32_i24 v1, v0, s0, v61
	; wave barrier
	ds_write2_b64 v61, v[31:32], v[33:34] offset1:1
	ds_write2_b64 v61, v[35:36], v[37:38] offset0:2 offset1:3
	ds_write2_b64 v61, v[39:40], v[41:42] offset0:4 offset1:5
	;; [unrolled: 1-line block ×6, first 2 shown]
	ds_write_b64 v61, v[59:60] offset:112
	s_waitcnt lgkmcnt(0)
	; wave barrier
	ds_read2st64_b64 v[25:28], v1 offset0:1 offset1:2
	ds_read2st64_b64 v[21:24], v1 offset0:3 offset1:4
	;; [unrolled: 1-line block ×7, first 2 shown]
	v_lshlrev_b32_e32 v29, 3, v0
	v_mov_b32_e32 v30, s3
	v_add_co_u32_e32 v29, vcc, s2, v29
	v_addc_co_u32_e32 v30, vcc, 0, v30, vcc
	v_cmp_gt_u32_e32 vcc, s33, v0
	s_and_saveexec_b64 s[0:1], vcc
	s_cbranch_execz .LBB115_184
; %bb.183:
	v_mul_i32_i24_e32 v62, 0xffffff90, v0
	v_add_u32_e32 v61, v61, v62
	ds_read_b64 v[61:62], v61
	s_waitcnt lgkmcnt(0)
	global_store_dwordx2 v[29:30], v[61:62], off
.LBB115_184:
	s_or_b64 exec, exec, s[0:1]
	v_or_b32_e32 v61, 64, v0
	v_cmp_gt_u32_e32 vcc, s33, v61
	s_and_saveexec_b64 s[0:1], vcc
	s_cbranch_execz .LBB115_186
; %bb.185:
	s_waitcnt lgkmcnt(6)
	global_store_dwordx2 v[29:30], v[25:26], off offset:512
.LBB115_186:
	s_or_b64 exec, exec, s[0:1]
	s_waitcnt lgkmcnt(6)
	v_or_b32_e32 v25, 0x80, v0
	v_cmp_gt_u32_e32 vcc, s33, v25
	s_and_saveexec_b64 s[0:1], vcc
	s_cbranch_execz .LBB115_188
; %bb.187:
	global_store_dwordx2 v[29:30], v[27:28], off offset:1024
.LBB115_188:
	s_or_b64 exec, exec, s[0:1]
	v_or_b32_e32 v25, 0xc0, v0
	v_cmp_gt_u32_e32 vcc, s33, v25
	s_and_saveexec_b64 s[0:1], vcc
	s_cbranch_execz .LBB115_190
; %bb.189:
	s_waitcnt lgkmcnt(5)
	global_store_dwordx2 v[29:30], v[21:22], off offset:1536
.LBB115_190:
	s_or_b64 exec, exec, s[0:1]
	s_waitcnt lgkmcnt(5)
	v_or_b32_e32 v21, 0x100, v0
	v_cmp_gt_u32_e32 vcc, s33, v21
	s_and_saveexec_b64 s[0:1], vcc
	s_cbranch_execz .LBB115_192
; %bb.191:
	global_store_dwordx2 v[29:30], v[23:24], off offset:2048
.LBB115_192:
	;; [unrolled: 18-line block ×3, first 2 shown]
	s_or_b64 exec, exec, s[0:1]
	v_or_b32_e32 v17, 0x1c0, v0
	v_cmp_gt_u32_e32 vcc, s33, v17
	s_and_saveexec_b64 s[0:1], vcc
	s_cbranch_execz .LBB115_198
; %bb.197:
	s_waitcnt lgkmcnt(3)
	global_store_dwordx2 v[29:30], v[13:14], off offset:3584
.LBB115_198:
	s_or_b64 exec, exec, s[0:1]
	s_waitcnt lgkmcnt(3)
	v_or_b32_e32 v13, 0x200, v0
	v_cmp_gt_u32_e32 vcc, s33, v13
	s_and_saveexec_b64 s[0:1], vcc
	s_cbranch_execz .LBB115_200
; %bb.199:
	v_add_co_u32_e32 v13, vcc, 0x1000, v29
	v_addc_co_u32_e32 v14, vcc, 0, v30, vcc
	global_store_dwordx2 v[13:14], v[15:16], off
.LBB115_200:
	s_or_b64 exec, exec, s[0:1]
	v_or_b32_e32 v13, 0x240, v0
	v_cmp_gt_u32_e32 vcc, s33, v13
	s_and_saveexec_b64 s[0:1], vcc
	s_cbranch_execz .LBB115_202
; %bb.201:
	v_add_co_u32_e32 v13, vcc, 0x1000, v29
	v_addc_co_u32_e32 v14, vcc, 0, v30, vcc
	s_waitcnt lgkmcnt(2)
	global_store_dwordx2 v[13:14], v[9:10], off offset:512
.LBB115_202:
	s_or_b64 exec, exec, s[0:1]
	s_waitcnt lgkmcnt(2)
	v_or_b32_e32 v9, 0x280, v0
	v_cmp_gt_u32_e32 vcc, s33, v9
	s_and_saveexec_b64 s[0:1], vcc
	s_cbranch_execz .LBB115_204
; %bb.203:
	v_add_co_u32_e32 v9, vcc, 0x1000, v29
	v_addc_co_u32_e32 v10, vcc, 0, v30, vcc
	global_store_dwordx2 v[9:10], v[11:12], off offset:1024
.LBB115_204:
	s_or_b64 exec, exec, s[0:1]
	v_or_b32_e32 v9, 0x2c0, v0
	v_cmp_gt_u32_e32 vcc, s33, v9
	s_and_saveexec_b64 s[0:1], vcc
	s_cbranch_execz .LBB115_206
; %bb.205:
	v_add_co_u32_e32 v9, vcc, 0x1000, v29
	v_addc_co_u32_e32 v10, vcc, 0, v30, vcc
	s_waitcnt lgkmcnt(1)
	global_store_dwordx2 v[9:10], v[5:6], off offset:1536
.LBB115_206:
	s_or_b64 exec, exec, s[0:1]
	s_waitcnt lgkmcnt(1)
	v_or_b32_e32 v5, 0x300, v0
	v_cmp_gt_u32_e32 vcc, s33, v5
	s_and_saveexec_b64 s[0:1], vcc
	s_cbranch_execz .LBB115_208
; %bb.207:
	v_add_co_u32_e32 v5, vcc, 0x1000, v29
	v_addc_co_u32_e32 v6, vcc, 0, v30, vcc
	global_store_dwordx2 v[5:6], v[7:8], off offset:2048
.LBB115_208:
	s_or_b64 exec, exec, s[0:1]
	v_or_b32_e32 v5, 0x340, v0
	v_cmp_gt_u32_e32 vcc, s33, v5
	s_and_saveexec_b64 s[0:1], vcc
	s_cbranch_execz .LBB115_210
; %bb.209:
	v_add_co_u32_e32 v5, vcc, 0x1000, v29
	v_addc_co_u32_e32 v6, vcc, 0, v30, vcc
	s_waitcnt lgkmcnt(0)
	global_store_dwordx2 v[5:6], v[1:2], off offset:2560
.LBB115_210:
	s_or_b64 exec, exec, s[0:1]
	s_waitcnt lgkmcnt(0)
	v_or_b32_e32 v1, 0x380, v0
	v_cmp_gt_u32_e64 s[0:1], s33, v1
	s_branch .LBB115_237
.LBB115_211:
	s_and_saveexec_b64 s[30:31], s[28:29]
	s_cbranch_execz .LBB115_213
; %bb.212:
	v_mov_b32_e32 v34, 0
	v_cmp_lt_u64_e32 vcc, v[38:39], v[32:33]
	s_mov_b32 s7, 0
	v_cmp_eq_u32_sdwa s[28:29], v46, v34 src0_sel:BYTE_0 src1_sel:DWORD
	s_add_i32 s6, s6, 64
	s_and_b64 vcc, s[28:29], vcc
	s_lshl_b64 s[28:29], s[6:7], 4
	s_add_u32 s28, s42, s28
	v_cndmask_b32_e32 v33, v33, v39, vcc
	v_cndmask_b32_e32 v32, v32, v38, vcc
	v_or_b32_e32 v35, v46, v59
	s_addc_u32 s29, s43, s29
	v_and_b32_e32 v35, 1, v35
	global_store_dwordx2 v34, v[32:33], s[28:29]
	global_store_byte v34, v35, s[28:29] offset:8
	v_mov_b32_e32 v32, 2
	v_mov_b32_e32 v33, s6
	s_waitcnt vmcnt(0) lgkmcnt(0)
	buffer_wbinvl1_vol
	global_store_byte v33, v32, s[44:45]
.LBB115_213:
	s_or_b64 exec, exec, s[30:31]
	v_cmp_eq_u32_e32 vcc, 0, v0
	s_and_b64 exec, exec, vcc
	s_cbranch_execz .LBB115_215
; %bb.214:
	v_mov_b32_e32 v32, 0
	ds_write_b64 v32, v[38:39]
	ds_write_b8 v32, v59 offset:8
.LBB115_215:
	s_or_b64 exec, exec, s[36:37]
	v_mov_b32_e32 v35, 0
	s_waitcnt lgkmcnt(0)
	; wave barrier
	ds_read_b64 v[33:34], v35
	v_mov_b32_e32 v32, v44
	v_cmp_eq_u32_sdwa s[28:29], v45, v35 src0_sel:BYTE_0 src1_sel:DWORD
	v_cmp_eq_u32_e32 vcc, 0, v0
	s_waitcnt lgkmcnt(0)
	v_cmp_lt_u64_e64 s[6:7], v[33:34], v[31:32]
	s_and_b64 s[6:7], s[28:29], s[6:7]
	s_or_b64 vcc, vcc, s[6:7]
	v_cndmask_b32_e32 v32, v44, v34, vcc
	v_cndmask_b32_e32 v31, v31, v33, vcc
	v_cmp_lt_u64_e32 vcc, v[31:32], v[29:30]
	v_cndmask_b32_e32 v33, v29, v31, vcc
	v_cndmask_b32_e32 v34, v30, v32, vcc
	v_cmp_eq_u16_sdwa vcc, v82, v35 src0_sel:BYTE_0 src1_sel:DWORD
	v_cndmask_b32_e32 v34, v30, v34, vcc
	v_cndmask_b32_e32 v33, v29, v33, vcc
	v_cmp_lt_u64_e32 vcc, v[33:34], v[3:4]
	v_cndmask_b32_e32 v35, v4, v34, vcc
	s_and_b64 vcc, s[2:3], vcc
	v_cndmask_b32_e64 v36, v4, v35, s[2:3]
	v_cndmask_b32_e32 v35, v3, v33, vcc
	v_cmp_lt_u64_e32 vcc, v[35:36], v[27:28]
	v_cndmask_b32_e32 v37, v27, v35, vcc
	v_cndmask_b32_e32 v38, v28, v36, vcc
	v_cndmask_b32_e64 v38, v28, v38, s[4:5]
	v_cndmask_b32_e64 v37, v27, v37, s[4:5]
	v_cmp_lt_u64_e32 vcc, v[37:38], v[25:26]
	v_cndmask_b32_e32 v39, v26, v38, vcc
	s_and_b64 vcc, s[34:35], vcc
	v_cndmask_b32_e64 v40, v26, v39, s[34:35]
	v_cndmask_b32_e32 v39, v25, v37, vcc
	v_cmp_lt_u64_e32 vcc, v[39:40], v[23:24]
	v_cndmask_b32_e32 v41, v23, v39, vcc
	v_cndmask_b32_e32 v42, v24, v40, vcc
	v_cndmask_b32_e64 v42, v24, v42, s[8:9]
	v_cndmask_b32_e64 v41, v23, v41, s[8:9]
	;; [unrolled: 10-line block ×6, first 2 shown]
	v_cmp_lt_u64_e32 vcc, v[57:58], v[5:6]
	v_cndmask_b32_e32 v59, v6, v58, vcc
	s_and_b64 vcc, s[26:27], vcc
	v_cndmask_b32_e64 v60, v6, v59, s[26:27]
	v_cndmask_b32_e32 v59, v5, v57, vcc
	s_branch .LBB115_157
.LBB115_216:
	v_mov_b32_e32 v62, s51
	s_cmp_eq_u64 s[52:53], 0
	v_mov_b32_e32 v61, s50
	s_cbranch_scc1 .LBB115_218
; %bb.217:
	v_mov_b32_e32 v31, 0
	global_load_dwordx2 v[61:62], v31, s[52:53]
.LBB115_218:
	v_mov_b32_e32 v33, 0
	v_cmp_lt_u64_e64 s[2:3], v[29:30], v[3:4]
	v_cmp_eq_u16_sdwa vcc, v85, v33 src0_sel:BYTE_0 src1_sel:DWORD
	v_cndmask_b32_e64 v31, v4, v30, s[2:3]
	s_and_b64 s[2:3], vcc, s[2:3]
	v_cndmask_b32_e32 v32, v4, v31, vcc
	v_cndmask_b32_e64 v31, v3, v29, s[2:3]
	v_cmp_lt_u64_e64 s[4:5], v[31:32], v[27:28]
	v_cmp_eq_u16_sdwa s[2:3], v84, v33 src0_sel:BYTE_0 src1_sel:DWORD
	v_cndmask_b32_e64 v32, v28, v32, s[4:5]
	s_and_b64 s[4:5], s[2:3], s[4:5]
	v_cndmask_b32_e64 v32, v28, v32, s[2:3]
	v_cndmask_b32_e64 v31, v27, v31, s[4:5]
	v_cmp_lt_u64_e64 s[4:5], v[31:32], v[25:26]
	v_cmp_ne_u16_sdwa s[8:9], v87, v33 src0_sel:BYTE_0 src1_sel:DWORD
	v_cndmask_b32_e64 v31, v25, v31, s[4:5]
	v_cndmask_b32_e64 v32, v26, v32, s[4:5]
	v_cmp_eq_u16_sdwa s[4:5], v83, v33 src0_sel:BYTE_0 src1_sel:DWORD
	v_cndmask_b32_e64 v32, v26, v32, s[4:5]
	v_cndmask_b32_e64 v31, v25, v31, s[4:5]
	v_cmp_eq_u32_e64 s[6:7], 1, v86
	s_or_b64 s[34:35], s[8:9], s[6:7]
	v_cmp_lt_u64_e64 s[8:9], v[31:32], v[23:24]
	v_cmp_eq_u16_sdwa s[6:7], v81, v33 src0_sel:BYTE_0 src1_sel:DWORD
	v_cndmask_b32_e64 v32, v24, v32, s[8:9]
	s_and_b64 s[8:9], s[6:7], s[8:9]
	v_cndmask_b32_e64 v32, v24, v32, s[6:7]
	v_cndmask_b32_e64 v31, v23, v31, s[8:9]
	v_cmp_lt_u64_e64 s[8:9], v[31:32], v[21:22]
	v_cmp_eq_u16_sdwa s[10:11], v78, v33 src0_sel:BYTE_0 src1_sel:DWORD
	v_cndmask_b32_e64 v31, v21, v31, s[8:9]
	v_cndmask_b32_e64 v32, v22, v32, s[8:9]
	v_cmp_eq_u16_sdwa s[8:9], v79, v33 src0_sel:BYTE_0 src1_sel:DWORD
	v_cndmask_b32_e64 v32, v22, v32, s[8:9]
	v_cndmask_b32_e64 v31, v21, v31, s[8:9]
	v_cmp_lt_u64_e64 s[12:13], v[31:32], v[19:20]
	v_cmp_ne_u16_sdwa s[14:15], v80, v33 src0_sel:BYTE_0 src1_sel:DWORD
	v_cndmask_b32_e64 v32, v20, v32, s[12:13]
	s_and_b64 s[12:13], s[10:11], s[12:13]
	v_cndmask_b32_e64 v32, v20, v32, s[10:11]
	v_cndmask_b32_e64 v31, v19, v31, s[12:13]
	v_cmp_eq_u32_e64 s[12:13], 1, v70
	s_or_b64 s[36:37], s[14:15], s[12:13]
	v_cmp_lt_u64_e64 s[12:13], v[31:32], v[17:18]
	v_cmp_eq_u16_sdwa s[14:15], v76, v33 src0_sel:BYTE_0 src1_sel:DWORD
	v_cndmask_b32_e64 v31, v17, v31, s[12:13]
	v_cndmask_b32_e64 v32, v18, v32, s[12:13]
	v_cmp_eq_u16_sdwa s[12:13], v77, v33 src0_sel:BYTE_0 src1_sel:DWORD
	v_cndmask_b32_e64 v32, v18, v32, s[12:13]
	v_cndmask_b32_e64 v31, v17, v31, s[12:13]
	v_cmp_lt_u64_e64 s[16:17], v[31:32], v[15:16]
	v_cmp_ne_u16_sdwa s[20:21], v69, v33 src0_sel:BYTE_0 src1_sel:DWORD
	v_cndmask_b32_e64 v32, v16, v32, s[16:17]
	s_and_b64 s[16:17], s[14:15], s[16:17]
	v_cndmask_b32_e64 v32, v16, v32, s[14:15]
	v_cndmask_b32_e64 v31, v15, v31, s[16:17]
	v_cmp_lt_u64_e64 s[16:17], v[31:32], v[13:14]
	v_cmp_eq_u32_e64 s[18:19], 1, v68
	v_cndmask_b32_e64 v31, v13, v31, s[16:17]
	v_cndmask_b32_e64 v32, v14, v32, s[16:17]
	v_cmp_eq_u16_sdwa s[16:17], v75, v33 src0_sel:BYTE_0 src1_sel:DWORD
	v_cndmask_b32_e64 v32, v14, v32, s[16:17]
	v_cndmask_b32_e64 v31, v13, v31, s[16:17]
	s_or_b64 s[40:41], s[20:21], s[18:19]
	v_cmp_lt_u64_e64 s[20:21], v[31:32], v[9:10]
	v_cmp_eq_u16_sdwa s[18:19], v74, v33 src0_sel:BYTE_0 src1_sel:DWORD
	v_cndmask_b32_e64 v32, v10, v32, s[20:21]
	s_and_b64 s[20:21], s[18:19], s[20:21]
	v_cndmask_b32_e64 v32, v10, v32, s[18:19]
	v_cndmask_b32_e64 v31, v9, v31, s[20:21]
	v_cmp_lt_u64_e64 s[20:21], v[31:32], v[7:8]
	v_cmp_eq_u16_sdwa s[22:23], v72, v33 src0_sel:BYTE_0 src1_sel:DWORD
	v_cndmask_b32_e64 v31, v7, v31, s[20:21]
	v_cndmask_b32_e64 v32, v8, v32, s[20:21]
	v_cmp_eq_u16_sdwa s[20:21], v73, v33 src0_sel:BYTE_0 src1_sel:DWORD
	v_cndmask_b32_e64 v32, v8, v32, s[20:21]
	v_cndmask_b32_e64 v31, v7, v31, s[20:21]
	v_cmp_lt_u64_e64 s[24:25], v[31:32], v[1:2]
	v_cmp_ne_u16_sdwa s[28:29], v67, v33 src0_sel:BYTE_0 src1_sel:DWORD
	v_cndmask_b32_e64 v32, v2, v32, s[24:25]
	s_and_b64 s[24:25], s[22:23], s[24:25]
	v_cndmask_b32_e64 v32, v2, v32, s[22:23]
	v_cndmask_b32_e64 v31, v1, v31, s[24:25]
	v_cmp_eq_u32_e64 s[24:25], 1, v66
	s_or_b64 s[50:51], s[28:29], s[24:25]
	v_cmp_lt_u64_e64 s[24:25], v[31:32], v[5:6]
	v_cmp_eq_u16_e64 s[30:31], 0, v63
	v_cndmask_b32_e64 v31, v5, v31, s[24:25]
	v_cndmask_b32_e64 v32, v6, v32, s[24:25]
	v_cmp_eq_u16_sdwa s[24:25], v71, v33 src0_sel:BYTE_0 src1_sel:DWORD
	v_cndmask_b32_e64 v32, v6, v32, s[24:25]
	v_cndmask_b32_e64 v31, v5, v31, s[24:25]
	v_cmp_lt_u64_e64 s[28:29], v[31:32], v[11:12]
	v_cmp_eq_u32_e64 s[26:27], 1, v88
	s_and_b64 s[28:29], s[30:31], s[28:29]
	v_cndmask_b32_e64 v12, v12, v32, s[28:29]
	v_cndmask_b32_e64 v11, v11, v31, s[28:29]
	v_cmp_ne_u16_sdwa s[28:29], v65, v33 src0_sel:BYTE_0 src1_sel:DWORD
	s_or_b64 s[28:29], s[28:29], s[50:51]
	s_or_b64 s[28:29], s[28:29], s[40:41]
	;; [unrolled: 1-line block ×5, first 2 shown]
	v_mbcnt_hi_u32_b32 v33, -1, v64
	v_and_b32_e32 v35, 15, v33
	v_cndmask_b32_e64 v32, 0, 1, s[26:27]
	v_cndmask_b32_e64 v34, 0, 1, s[26:27]
	v_mov_b32_dpp v31, v11 row_shr:1 row_mask:0xf bank_mask:0xf
	v_mov_b32_dpp v36, v12 row_shr:1 row_mask:0xf bank_mask:0xf
	;; [unrolled: 1-line block ×3, first 2 shown]
	v_cmp_ne_u32_e64 s[28:29], 0, v35
	s_and_saveexec_b64 s[30:31], s[28:29]
	s_cbranch_execz .LBB115_220
; %bb.219:
	v_and_b32_e32 v32, 1, v37
	v_or_b32_e32 v34, v32, v34
	v_mov_b32_e32 v32, v36
	v_cmp_lt_u64_e64 s[28:29], v[31:32], v[11:12]
	v_cndmask_b32_e64 v32, v12, v36, s[28:29]
	v_cndmask_b32_e64 v31, v11, v31, s[28:29]
	;; [unrolled: 1-line block ×4, first 2 shown]
	v_and_b32_e32 v32, 0xffff, v34
.LBB115_220:
	s_or_b64 exec, exec, s[30:31]
	v_mov_b32_dpp v31, v11 row_shr:2 row_mask:0xf bank_mask:0xf
	v_mov_b32_dpp v36, v12 row_shr:2 row_mask:0xf bank_mask:0xf
	v_mov_b32_dpp v37, v32 row_shr:2 row_mask:0xf bank_mask:0xf
	v_cmp_lt_u32_e64 s[26:27], 1, v35
	s_and_saveexec_b64 s[30:31], s[26:27]
	s_cbranch_execz .LBB115_222
; %bb.221:
	v_and_b32_e32 v32, 1, v34
	v_cmp_eq_u32_e64 s[26:27], 1, v32
	v_and_b32_e32 v32, 1, v37
	v_cmp_eq_u32_e64 s[28:29], 1, v32
	v_mov_b32_e32 v32, v36
	s_or_b64 s[34:35], s[26:27], s[28:29]
	v_cmp_lt_u64_e64 s[26:27], v[31:32], v[11:12]
	v_cmp_eq_u16_e64 s[28:29], 0, v34
	v_cndmask_b32_e64 v37, 0, 1, s[34:35]
	s_and_b64 s[26:27], s[28:29], s[26:27]
	v_cndmask_b32_e64 v12, v12, v36, s[26:27]
	v_cndmask_b32_e64 v11, v11, v31, s[26:27]
	v_cndmask_b32_e64 v32, 0, 1, s[34:35]
	v_mov_b32_e32 v34, v37
.LBB115_222:
	s_or_b64 exec, exec, s[30:31]
	v_mov_b32_dpp v31, v11 row_shr:4 row_mask:0xf bank_mask:0xf
	v_mov_b32_dpp v36, v12 row_shr:4 row_mask:0xf bank_mask:0xf
	v_mov_b32_dpp v37, v32 row_shr:4 row_mask:0xf bank_mask:0xf
	v_cmp_lt_u32_e64 s[26:27], 3, v35
	s_and_saveexec_b64 s[30:31], s[26:27]
	s_cbranch_execz .LBB115_224
; %bb.223:
	v_and_b32_e32 v32, 1, v34
	v_cmp_eq_u32_e64 s[26:27], 1, v32
	v_and_b32_e32 v32, 1, v37
	v_cmp_eq_u32_e64 s[28:29], 1, v32
	v_mov_b32_e32 v32, v36
	s_or_b64 s[34:35], s[26:27], s[28:29]
	v_cmp_lt_u64_e64 s[26:27], v[31:32], v[11:12]
	v_cmp_eq_u16_e64 s[28:29], 0, v34
	v_cndmask_b32_e64 v37, 0, 1, s[34:35]
	s_and_b64 s[26:27], s[28:29], s[26:27]
	v_cndmask_b32_e64 v12, v12, v36, s[26:27]
	v_cndmask_b32_e64 v11, v11, v31, s[26:27]
	v_cndmask_b32_e64 v32, 0, 1, s[34:35]
	v_mov_b32_e32 v34, v37
.LBB115_224:
	;; [unrolled: 23-line block ×3, first 2 shown]
	s_or_b64 exec, exec, s[30:31]
	v_and_b32_e32 v37, 16, v33
	v_mov_b32_dpp v31, v11 row_bcast:15 row_mask:0xf bank_mask:0xf
	v_mov_b32_dpp v35, v12 row_bcast:15 row_mask:0xf bank_mask:0xf
	v_mov_b32_dpp v36, v32 row_bcast:15 row_mask:0xf bank_mask:0xf
	v_cmp_ne_u32_e64 s[26:27], 0, v37
	s_and_saveexec_b64 s[30:31], s[26:27]
	s_cbranch_execz .LBB115_228
; %bb.227:
	v_and_b32_e32 v32, 1, v34
	v_cmp_eq_u32_e64 s[26:27], 1, v32
	v_and_b32_e32 v32, 1, v36
	v_cmp_eq_u32_e64 s[28:29], 1, v32
	v_mov_b32_e32 v32, v35
	s_or_b64 s[34:35], s[26:27], s[28:29]
	v_cmp_lt_u64_e64 s[26:27], v[31:32], v[11:12]
	v_cmp_eq_u16_e64 s[28:29], 0, v34
	v_cndmask_b32_e64 v36, 0, 1, s[34:35]
	s_and_b64 s[26:27], s[28:29], s[26:27]
	v_cndmask_b32_e64 v12, v12, v35, s[26:27]
	v_cndmask_b32_e64 v11, v11, v31, s[26:27]
	;; [unrolled: 1-line block ×3, first 2 shown]
	v_mov_b32_e32 v34, v36
.LBB115_228:
	s_or_b64 exec, exec, s[30:31]
	v_mov_b32_dpp v31, v11 row_bcast:31 row_mask:0xf bank_mask:0xf
	v_mov_b32_dpp v35, v12 row_bcast:31 row_mask:0xf bank_mask:0xf
	;; [unrolled: 1-line block ×3, first 2 shown]
	v_cmp_lt_u32_e64 s[26:27], 31, v33
	s_and_saveexec_b64 s[30:31], s[26:27]
	s_cbranch_execz .LBB115_230
; %bb.229:
	v_and_b32_e32 v36, 1, v34
	v_and_b32_e32 v32, 1, v32
	v_cmp_eq_u32_e64 s[26:27], 1, v36
	v_cmp_eq_u32_e64 s[28:29], 1, v32
	s_or_b64 s[26:27], s[26:27], s[28:29]
	v_mov_b32_e32 v32, v35
	v_cndmask_b32_e64 v36, 0, 1, s[26:27]
	v_cmp_lt_u64_e64 s[26:27], v[31:32], v[11:12]
	v_cmp_eq_u16_e64 s[28:29], 0, v34
	s_and_b64 s[26:27], s[28:29], s[26:27]
	v_cndmask_b32_e64 v12, v12, v35, s[26:27]
	v_cndmask_b32_e64 v11, v11, v31, s[26:27]
	v_mov_b32_e32 v34, v36
.LBB115_230:
	s_or_b64 exec, exec, s[30:31]
	v_cmp_eq_u32_e64 s[26:27], 63, v0
	s_and_saveexec_b64 s[28:29], s[26:27]
	s_cbranch_execz .LBB115_232
; %bb.231:
	v_mov_b32_e32 v31, 0
	ds_write_b64 v31, v[11:12]
	ds_write_b8 v31, v34 offset:8
.LBB115_232:
	s_or_b64 exec, exec, s[28:29]
	s_waitcnt vmcnt(0)
	v_cmp_lt_u64_e64 s[26:27], v[61:62], v[11:12]
	v_cmp_eq_u16_e64 s[28:29], 0, v34
	s_and_b64 s[26:27], s[28:29], s[26:27]
	v_subrev_co_u32_e64 v31, s[28:29], 1, v33
	v_and_b32_e32 v32, 64, v33
	v_cndmask_b32_e64 v12, v12, v62, s[26:27]
	v_cndmask_b32_e64 v11, v11, v61, s[26:27]
	v_cmp_lt_i32_e64 s[26:27], v31, v32
	v_cndmask_b32_e64 v31, v31, v33, s[26:27]
	v_lshlrev_b32_e32 v31, 2, v31
	ds_bpermute_b32 v11, v31, v11
	ds_bpermute_b32 v12, v31, v12
	v_cmp_eq_u32_e64 s[26:27], 0, v0
	s_or_b64 s[28:29], s[26:27], s[28:29]
	s_waitcnt lgkmcnt(0)
	v_cndmask_b32_e64 v31, v11, v61, s[28:29]
	v_cndmask_b32_e64 v32, v12, v62, s[28:29]
	v_mov_b32_e32 v11, 0
	v_cmp_lt_u64_e64 s[28:29], v[31:32], v[29:30]
	v_cmp_eq_u16_sdwa s[30:31], v82, v11 src0_sel:BYTE_0 src1_sel:DWORD
	v_cndmask_b32_e64 v12, v30, v32, s[28:29]
	s_and_b64 s[28:29], s[30:31], s[28:29]
	v_cndmask_b32_e64 v34, v30, v12, s[30:31]
	v_cndmask_b32_e64 v33, v29, v31, s[28:29]
	v_cmp_lt_u64_e64 s[28:29], v[33:34], v[3:4]
	; wave barrier
	v_cndmask_b32_e64 v12, v3, v33, s[28:29]
	v_cndmask_b32_e64 v29, v4, v34, s[28:29]
	v_cndmask_b32_e32 v36, v4, v29, vcc
	v_cndmask_b32_e32 v35, v3, v12, vcc
	v_cmp_lt_u64_e32 vcc, v[35:36], v[27:28]
	v_cndmask_b32_e32 v3, v28, v36, vcc
	s_and_b64 vcc, s[2:3], vcc
	v_cndmask_b32_e64 v38, v28, v3, s[2:3]
	v_cndmask_b32_e32 v37, v27, v35, vcc
	v_cmp_lt_u64_e32 vcc, v[37:38], v[25:26]
	v_cndmask_b32_e32 v3, v25, v37, vcc
	v_cndmask_b32_e32 v4, v26, v38, vcc
	v_cndmask_b32_e64 v40, v26, v4, s[4:5]
	v_cndmask_b32_e64 v39, v25, v3, s[4:5]
	v_cmp_lt_u64_e32 vcc, v[39:40], v[23:24]
	v_cndmask_b32_e32 v3, v24, v40, vcc
	s_and_b64 vcc, s[6:7], vcc
	v_cndmask_b32_e64 v42, v24, v3, s[6:7]
	v_cndmask_b32_e32 v41, v23, v39, vcc
	v_cmp_lt_u64_e32 vcc, v[41:42], v[21:22]
	v_cndmask_b32_e32 v3, v21, v41, vcc
	v_cndmask_b32_e32 v4, v22, v42, vcc
	v_cndmask_b32_e64 v44, v22, v4, s[8:9]
	v_cndmask_b32_e64 v43, v21, v3, s[8:9]
	;; [unrolled: 10-line block ×5, first 2 shown]
	v_cmp_lt_u64_e32 vcc, v[55:56], v[1:2]
	v_cndmask_b32_e32 v3, v2, v56, vcc
	s_and_b64 vcc, s[22:23], vcc
	v_cndmask_b32_e64 v58, v2, v3, s[22:23]
	v_cndmask_b32_e32 v57, v1, v55, vcc
	v_cmp_lt_u64_e32 vcc, v[57:58], v[5:6]
	v_cndmask_b32_e32 v1, v6, v58, vcc
	s_and_b64 vcc, s[24:25], vcc
	v_cndmask_b32_e64 v60, v6, v1, s[24:25]
	v_cndmask_b32_e32 v59, v5, v57, vcc
	s_and_saveexec_b64 s[2:3], s[26:27]
	s_cbranch_execz .LBB115_234
; %bb.233:
	ds_read_u8 v3, v11 offset:8
	ds_read_b64 v[1:2], v11
	v_mov_b32_e32 v31, v61
	v_mov_b32_e32 v32, v62
	s_waitcnt lgkmcnt(1)
	v_cmp_eq_u32_sdwa s[4:5], v3, v11 src0_sel:WORD_0 src1_sel:DWORD
	s_waitcnt lgkmcnt(0)
	v_cmp_lt_u64_e32 vcc, v[61:62], v[1:2]
	global_store_byte v11, v3, s[42:43] offset:1032
	s_and_b64 vcc, s[4:5], vcc
	v_cndmask_b32_e32 v2, v2, v62, vcc
	v_cndmask_b32_e32 v1, v1, v61, vcc
	global_store_dwordx2 v11, v[1:2], s[42:43] offset:1024
	v_mov_b32_e32 v1, 2
	s_waitcnt vmcnt(0)
	buffer_wbinvl1_vol
	global_store_byte v11, v1, s[44:45] offset:64
.LBB115_234:
	s_or_b64 exec, exec, s[2:3]
	s_add_u32 s2, s48, s38
	s_addc_u32 s3, s49, s39
	s_and_b64 vcc, exec, s[0:1]
	s_cbranch_vccnz .LBB115_158
.LBB115_235:
	s_mov_b64 s[0:1], 0
                                        ; implicit-def: $vgpr3_vgpr4
	s_cbranch_execz .LBB115_237
; %bb.236:
	v_mul_u32_u24_e32 v1, 0x78, v0
	; wave barrier
	s_movk_i32 s4, 0x78
	ds_write2_b64 v1, v[31:32], v[33:34] offset1:1
	ds_write2_b64 v1, v[35:36], v[37:38] offset0:2 offset1:3
	ds_write2_b64 v1, v[39:40], v[41:42] offset0:4 offset1:5
	;; [unrolled: 1-line block ×6, first 2 shown]
	ds_write_b64 v1, v[59:60] offset:112
	v_mul_i32_i24_e32 v1, 0xffffff90, v0
	v_mad_u32_u24 v1, v0, s4, v1
	s_waitcnt lgkmcnt(0)
	; wave barrier
	ds_read2st64_b64 v[5:8], v1 offset1:1
	ds_read2st64_b64 v[9:12], v1 offset0:2 offset1:3
	ds_read2st64_b64 v[13:16], v1 offset0:4 offset1:5
	;; [unrolled: 1-line block ×6, first 2 shown]
	ds_read_b64 v[3:4], v1 offset:7168
	v_lshlrev_b32_e32 v1, 3, v0
	v_mov_b32_e32 v2, s3
	v_add_co_u32_e32 v33, vcc, s2, v1
	v_addc_co_u32_e32 v2, vcc, 0, v2, vcc
	s_waitcnt lgkmcnt(7)
	global_store_dwordx2 v1, v[5:6], s[2:3]
	global_store_dwordx2 v1, v[7:8], s[2:3] offset:512
	s_waitcnt lgkmcnt(6)
	global_store_dwordx2 v1, v[9:10], s[2:3] offset:1024
	global_store_dwordx2 v1, v[11:12], s[2:3] offset:1536
	s_waitcnt lgkmcnt(5)
	global_store_dwordx2 v1, v[13:14], s[2:3] offset:2048
	;; [unrolled: 3-line block ×3, first 2 shown]
	global_store_dwordx2 v1, v[19:20], s[2:3] offset:3584
	v_add_co_u32_e32 v1, vcc, 0x1000, v33
	v_addc_co_u32_e32 v2, vcc, 0, v2, vcc
	s_or_b64 s[0:1], s[0:1], exec
	s_waitcnt lgkmcnt(3)
	global_store_dwordx2 v[1:2], v[21:22], off
	global_store_dwordx2 v[1:2], v[23:24], off offset:512
	s_waitcnt lgkmcnt(2)
	global_store_dwordx2 v[1:2], v[25:26], off offset:1024
	global_store_dwordx2 v[1:2], v[27:28], off offset:1536
	s_waitcnt lgkmcnt(1)
	global_store_dwordx2 v[1:2], v[29:30], off offset:2048
	global_store_dwordx2 v[1:2], v[31:32], off offset:2560
.LBB115_237:
	s_and_saveexec_b64 s[4:5], s[0:1]
	s_cbranch_execz .LBB115_239
; %bb.238:
	v_lshlrev_b32_e32 v0, 3, v0
	v_mov_b32_e32 v1, s3
	v_add_co_u32_e32 v0, vcc, s2, v0
	v_addc_co_u32_e32 v1, vcc, 0, v1, vcc
	v_add_co_u32_e32 v0, vcc, 0x1000, v0
	v_addc_co_u32_e32 v1, vcc, 0, v1, vcc
	s_waitcnt lgkmcnt(0)
	global_store_dwordx2 v[0:1], v[3:4], off offset:3072
	s_endpgm
.LBB115_239:
	s_endpgm
	.section	.rodata,"a",@progbits
	.p2align	6, 0x0
	.amdhsa_kernel _ZN7rocprim6detail25device_scan_by_key_kernelILNS0_25lookback_scan_determinismE0ELb1ENS0_26wrapped_scan_by_key_configINS_14default_configEiyEEPiN6hipcub22TransformInputIteratorIyNS7_6CastOpIyEEPylEESB_yNS7_8EqualityENS7_3MinENS0_19lookback_scan_stateINS_5tupleIJybEEELb0ELb0EEEyEEvT2_T3_T4_T5_T6_T7_T8_mmmPKNSG_IJT9_bEEE
		.amdhsa_group_segment_fixed_size 7680
		.amdhsa_private_segment_fixed_size 0
		.amdhsa_kernarg_size 104
		.amdhsa_user_sgpr_count 6
		.amdhsa_user_sgpr_private_segment_buffer 1
		.amdhsa_user_sgpr_dispatch_ptr 0
		.amdhsa_user_sgpr_queue_ptr 0
		.amdhsa_user_sgpr_kernarg_segment_ptr 1
		.amdhsa_user_sgpr_dispatch_id 0
		.amdhsa_user_sgpr_flat_scratch_init 0
		.amdhsa_user_sgpr_private_segment_size 0
		.amdhsa_uses_dynamic_stack 0
		.amdhsa_system_sgpr_private_segment_wavefront_offset 0
		.amdhsa_system_sgpr_workgroup_id_x 1
		.amdhsa_system_sgpr_workgroup_id_y 0
		.amdhsa_system_sgpr_workgroup_id_z 0
		.amdhsa_system_sgpr_workgroup_info 0
		.amdhsa_system_vgpr_workitem_id 0
		.amdhsa_next_free_vgpr 104
		.amdhsa_next_free_sgpr 98
		.amdhsa_reserve_vcc 1
		.amdhsa_reserve_flat_scratch 0
		.amdhsa_float_round_mode_32 0
		.amdhsa_float_round_mode_16_64 0
		.amdhsa_float_denorm_mode_32 3
		.amdhsa_float_denorm_mode_16_64 3
		.amdhsa_dx10_clamp 1
		.amdhsa_ieee_mode 1
		.amdhsa_fp16_overflow 0
		.amdhsa_exception_fp_ieee_invalid_op 0
		.amdhsa_exception_fp_denorm_src 0
		.amdhsa_exception_fp_ieee_div_zero 0
		.amdhsa_exception_fp_ieee_overflow 0
		.amdhsa_exception_fp_ieee_underflow 0
		.amdhsa_exception_fp_ieee_inexact 0
		.amdhsa_exception_int_div_zero 0
	.end_amdhsa_kernel
	.section	.text._ZN7rocprim6detail25device_scan_by_key_kernelILNS0_25lookback_scan_determinismE0ELb1ENS0_26wrapped_scan_by_key_configINS_14default_configEiyEEPiN6hipcub22TransformInputIteratorIyNS7_6CastOpIyEEPylEESB_yNS7_8EqualityENS7_3MinENS0_19lookback_scan_stateINS_5tupleIJybEEELb0ELb0EEEyEEvT2_T3_T4_T5_T6_T7_T8_mmmPKNSG_IJT9_bEEE,"axG",@progbits,_ZN7rocprim6detail25device_scan_by_key_kernelILNS0_25lookback_scan_determinismE0ELb1ENS0_26wrapped_scan_by_key_configINS_14default_configEiyEEPiN6hipcub22TransformInputIteratorIyNS7_6CastOpIyEEPylEESB_yNS7_8EqualityENS7_3MinENS0_19lookback_scan_stateINS_5tupleIJybEEELb0ELb0EEEyEEvT2_T3_T4_T5_T6_T7_T8_mmmPKNSG_IJT9_bEEE,comdat
.Lfunc_end115:
	.size	_ZN7rocprim6detail25device_scan_by_key_kernelILNS0_25lookback_scan_determinismE0ELb1ENS0_26wrapped_scan_by_key_configINS_14default_configEiyEEPiN6hipcub22TransformInputIteratorIyNS7_6CastOpIyEEPylEESB_yNS7_8EqualityENS7_3MinENS0_19lookback_scan_stateINS_5tupleIJybEEELb0ELb0EEEyEEvT2_T3_T4_T5_T6_T7_T8_mmmPKNSG_IJT9_bEEE, .Lfunc_end115-_ZN7rocprim6detail25device_scan_by_key_kernelILNS0_25lookback_scan_determinismE0ELb1ENS0_26wrapped_scan_by_key_configINS_14default_configEiyEEPiN6hipcub22TransformInputIteratorIyNS7_6CastOpIyEEPylEESB_yNS7_8EqualityENS7_3MinENS0_19lookback_scan_stateINS_5tupleIJybEEELb0ELb0EEEyEEvT2_T3_T4_T5_T6_T7_T8_mmmPKNSG_IJT9_bEEE
                                        ; -- End function
	.set _ZN7rocprim6detail25device_scan_by_key_kernelILNS0_25lookback_scan_determinismE0ELb1ENS0_26wrapped_scan_by_key_configINS_14default_configEiyEEPiN6hipcub22TransformInputIteratorIyNS7_6CastOpIyEEPylEESB_yNS7_8EqualityENS7_3MinENS0_19lookback_scan_stateINS_5tupleIJybEEELb0ELb0EEEyEEvT2_T3_T4_T5_T6_T7_T8_mmmPKNSG_IJT9_bEEE.num_vgpr, 104
	.set _ZN7rocprim6detail25device_scan_by_key_kernelILNS0_25lookback_scan_determinismE0ELb1ENS0_26wrapped_scan_by_key_configINS_14default_configEiyEEPiN6hipcub22TransformInputIteratorIyNS7_6CastOpIyEEPylEESB_yNS7_8EqualityENS7_3MinENS0_19lookback_scan_stateINS_5tupleIJybEEELb0ELb0EEEyEEvT2_T3_T4_T5_T6_T7_T8_mmmPKNSG_IJT9_bEEE.num_agpr, 0
	.set _ZN7rocprim6detail25device_scan_by_key_kernelILNS0_25lookback_scan_determinismE0ELb1ENS0_26wrapped_scan_by_key_configINS_14default_configEiyEEPiN6hipcub22TransformInputIteratorIyNS7_6CastOpIyEEPylEESB_yNS7_8EqualityENS7_3MinENS0_19lookback_scan_stateINS_5tupleIJybEEELb0ELb0EEEyEEvT2_T3_T4_T5_T6_T7_T8_mmmPKNSG_IJT9_bEEE.numbered_sgpr, 90
	.set _ZN7rocprim6detail25device_scan_by_key_kernelILNS0_25lookback_scan_determinismE0ELb1ENS0_26wrapped_scan_by_key_configINS_14default_configEiyEEPiN6hipcub22TransformInputIteratorIyNS7_6CastOpIyEEPylEESB_yNS7_8EqualityENS7_3MinENS0_19lookback_scan_stateINS_5tupleIJybEEELb0ELb0EEEyEEvT2_T3_T4_T5_T6_T7_T8_mmmPKNSG_IJT9_bEEE.num_named_barrier, 0
	.set _ZN7rocprim6detail25device_scan_by_key_kernelILNS0_25lookback_scan_determinismE0ELb1ENS0_26wrapped_scan_by_key_configINS_14default_configEiyEEPiN6hipcub22TransformInputIteratorIyNS7_6CastOpIyEEPylEESB_yNS7_8EqualityENS7_3MinENS0_19lookback_scan_stateINS_5tupleIJybEEELb0ELb0EEEyEEvT2_T3_T4_T5_T6_T7_T8_mmmPKNSG_IJT9_bEEE.private_seg_size, 0
	.set _ZN7rocprim6detail25device_scan_by_key_kernelILNS0_25lookback_scan_determinismE0ELb1ENS0_26wrapped_scan_by_key_configINS_14default_configEiyEEPiN6hipcub22TransformInputIteratorIyNS7_6CastOpIyEEPylEESB_yNS7_8EqualityENS7_3MinENS0_19lookback_scan_stateINS_5tupleIJybEEELb0ELb0EEEyEEvT2_T3_T4_T5_T6_T7_T8_mmmPKNSG_IJT9_bEEE.uses_vcc, 1
	.set _ZN7rocprim6detail25device_scan_by_key_kernelILNS0_25lookback_scan_determinismE0ELb1ENS0_26wrapped_scan_by_key_configINS_14default_configEiyEEPiN6hipcub22TransformInputIteratorIyNS7_6CastOpIyEEPylEESB_yNS7_8EqualityENS7_3MinENS0_19lookback_scan_stateINS_5tupleIJybEEELb0ELb0EEEyEEvT2_T3_T4_T5_T6_T7_T8_mmmPKNSG_IJT9_bEEE.uses_flat_scratch, 0
	.set _ZN7rocprim6detail25device_scan_by_key_kernelILNS0_25lookback_scan_determinismE0ELb1ENS0_26wrapped_scan_by_key_configINS_14default_configEiyEEPiN6hipcub22TransformInputIteratorIyNS7_6CastOpIyEEPylEESB_yNS7_8EqualityENS7_3MinENS0_19lookback_scan_stateINS_5tupleIJybEEELb0ELb0EEEyEEvT2_T3_T4_T5_T6_T7_T8_mmmPKNSG_IJT9_bEEE.has_dyn_sized_stack, 0
	.set _ZN7rocprim6detail25device_scan_by_key_kernelILNS0_25lookback_scan_determinismE0ELb1ENS0_26wrapped_scan_by_key_configINS_14default_configEiyEEPiN6hipcub22TransformInputIteratorIyNS7_6CastOpIyEEPylEESB_yNS7_8EqualityENS7_3MinENS0_19lookback_scan_stateINS_5tupleIJybEEELb0ELb0EEEyEEvT2_T3_T4_T5_T6_T7_T8_mmmPKNSG_IJT9_bEEE.has_recursion, 0
	.set _ZN7rocprim6detail25device_scan_by_key_kernelILNS0_25lookback_scan_determinismE0ELb1ENS0_26wrapped_scan_by_key_configINS_14default_configEiyEEPiN6hipcub22TransformInputIteratorIyNS7_6CastOpIyEEPylEESB_yNS7_8EqualityENS7_3MinENS0_19lookback_scan_stateINS_5tupleIJybEEELb0ELb0EEEyEEvT2_T3_T4_T5_T6_T7_T8_mmmPKNSG_IJT9_bEEE.has_indirect_call, 0
	.section	.AMDGPU.csdata,"",@progbits
; Kernel info:
; codeLenInByte = 15304
; TotalNumSgprs: 94
; NumVgprs: 104
; ScratchSize: 0
; MemoryBound: 0
; FloatMode: 240
; IeeeMode: 1
; LDSByteSize: 7680 bytes/workgroup (compile time only)
; SGPRBlocks: 12
; VGPRBlocks: 25
; NumSGPRsForWavesPerEU: 102
; NumVGPRsForWavesPerEU: 104
; Occupancy: 2
; WaveLimiterHint : 1
; COMPUTE_PGM_RSRC2:SCRATCH_EN: 0
; COMPUTE_PGM_RSRC2:USER_SGPR: 6
; COMPUTE_PGM_RSRC2:TRAP_HANDLER: 0
; COMPUTE_PGM_RSRC2:TGID_X_EN: 1
; COMPUTE_PGM_RSRC2:TGID_Y_EN: 0
; COMPUTE_PGM_RSRC2:TGID_Z_EN: 0
; COMPUTE_PGM_RSRC2:TIDIG_COMP_CNT: 0
	.section	.text._ZN7rocprim6detail31init_lookback_scan_state_kernelINS0_19lookback_scan_stateIjLb1ELb1EEEEEvT_jjPNS4_10value_typeE,"axG",@progbits,_ZN7rocprim6detail31init_lookback_scan_state_kernelINS0_19lookback_scan_stateIjLb1ELb1EEEEEvT_jjPNS4_10value_typeE,comdat
	.protected	_ZN7rocprim6detail31init_lookback_scan_state_kernelINS0_19lookback_scan_stateIjLb1ELb1EEEEEvT_jjPNS4_10value_typeE ; -- Begin function _ZN7rocprim6detail31init_lookback_scan_state_kernelINS0_19lookback_scan_stateIjLb1ELb1EEEEEvT_jjPNS4_10value_typeE
	.globl	_ZN7rocprim6detail31init_lookback_scan_state_kernelINS0_19lookback_scan_stateIjLb1ELb1EEEEEvT_jjPNS4_10value_typeE
	.p2align	8
	.type	_ZN7rocprim6detail31init_lookback_scan_state_kernelINS0_19lookback_scan_stateIjLb1ELb1EEEEEvT_jjPNS4_10value_typeE,@function
_ZN7rocprim6detail31init_lookback_scan_state_kernelINS0_19lookback_scan_stateIjLb1ELb1EEEEEvT_jjPNS4_10value_typeE: ; @_ZN7rocprim6detail31init_lookback_scan_state_kernelINS0_19lookback_scan_stateIjLb1ELb1EEEEEvT_jjPNS4_10value_typeE
; %bb.0:
	s_load_dword s7, s[4:5], 0x24
	s_load_dwordx2 s[8:9], s[4:5], 0x10
	s_load_dwordx4 s[0:3], s[4:5], 0x0
	s_waitcnt lgkmcnt(0)
	s_and_b32 s4, s7, 0xffff
	s_mul_i32 s6, s6, s4
	s_cmp_eq_u64 s[8:9], 0
	v_add_u32_e32 v0, s6, v0
	s_cbranch_scc1 .LBB116_9
; %bb.1:
	s_cmp_lt_u32 s3, s2
	s_cselect_b32 s4, s3, 0
	s_mov_b32 s7, 0
	v_cmp_eq_u32_e32 vcc, s4, v0
	s_and_saveexec_b64 s[4:5], vcc
	s_cbranch_execz .LBB116_8
; %bb.2:
	s_add_i32 s6, s3, 64
	s_lshl_b64 s[6:7], s[6:7], 3
	s_add_u32 s6, s0, s6
	s_addc_u32 s7, s1, s7
	v_mov_b32_e32 v1, 0
	global_load_dwordx2 v[3:4], v1, s[6:7] glc
	s_waitcnt vmcnt(0)
	v_and_b32_e32 v2, 0xff, v4
	v_cmp_ne_u64_e32 vcc, 0, v[1:2]
	s_cbranch_vccnz .LBB116_7
; %bb.3:
	s_mov_b32 s3, 1
.LBB116_4:                              ; =>This Loop Header: Depth=1
                                        ;     Child Loop BB116_5 Depth 2
	s_mov_b32 s10, s3
.LBB116_5:                              ;   Parent Loop BB116_4 Depth=1
                                        ; =>  This Inner Loop Header: Depth=2
	s_add_i32 s10, s10, -1
	s_cmp_eq_u32 s10, 0
	s_sleep 1
	s_cbranch_scc0 .LBB116_5
; %bb.6:                                ;   in Loop: Header=BB116_4 Depth=1
	global_load_dwordx2 v[3:4], v1, s[6:7] glc
	s_cmp_lt_u32 s3, 32
	s_cselect_b64 s[10:11], -1, 0
	s_cmp_lg_u64 s[10:11], 0
	s_addc_u32 s3, s3, 0
	s_waitcnt vmcnt(0)
	v_and_b32_e32 v2, 0xff, v4
	v_cmp_ne_u64_e32 vcc, 0, v[1:2]
	s_cbranch_vccz .LBB116_4
.LBB116_7:
	v_mov_b32_e32 v1, 0
	global_store_dword v1, v3, s[8:9]
.LBB116_8:
	s_or_b64 exec, exec, s[4:5]
.LBB116_9:
	v_cmp_gt_u32_e32 vcc, s2, v0
	s_and_saveexec_b64 s[2:3], vcc
	s_cbranch_execnz .LBB116_12
; %bb.10:
	s_or_b64 exec, exec, s[2:3]
	v_cmp_gt_u32_e32 vcc, 64, v0
	s_and_saveexec_b64 s[2:3], vcc
	s_cbranch_execnz .LBB116_13
.LBB116_11:
	s_endpgm
.LBB116_12:
	v_add_u32_e32 v1, 64, v0
	v_mov_b32_e32 v2, 0
	v_lshlrev_b64 v[3:4], 3, v[1:2]
	v_mov_b32_e32 v1, s1
	v_add_co_u32_e32 v3, vcc, s0, v3
	v_addc_co_u32_e32 v4, vcc, v1, v4, vcc
	v_mov_b32_e32 v1, v2
	global_store_dwordx2 v[3:4], v[1:2], off
	s_or_b64 exec, exec, s[2:3]
	v_cmp_gt_u32_e32 vcc, 64, v0
	s_and_saveexec_b64 s[2:3], vcc
	s_cbranch_execz .LBB116_11
.LBB116_13:
	v_mov_b32_e32 v1, 0
	v_lshlrev_b64 v[2:3], 3, v[0:1]
	v_mov_b32_e32 v0, s1
	v_add_co_u32_e32 v2, vcc, s0, v2
	v_addc_co_u32_e32 v3, vcc, v0, v3, vcc
	v_mov_b32_e32 v5, 0xff
	v_mov_b32_e32 v4, v1
	global_store_dwordx2 v[2:3], v[4:5], off
	s_endpgm
	.section	.rodata,"a",@progbits
	.p2align	6, 0x0
	.amdhsa_kernel _ZN7rocprim6detail31init_lookback_scan_state_kernelINS0_19lookback_scan_stateIjLb1ELb1EEEEEvT_jjPNS4_10value_typeE
		.amdhsa_group_segment_fixed_size 0
		.amdhsa_private_segment_fixed_size 0
		.amdhsa_kernarg_size 280
		.amdhsa_user_sgpr_count 6
		.amdhsa_user_sgpr_private_segment_buffer 1
		.amdhsa_user_sgpr_dispatch_ptr 0
		.amdhsa_user_sgpr_queue_ptr 0
		.amdhsa_user_sgpr_kernarg_segment_ptr 1
		.amdhsa_user_sgpr_dispatch_id 0
		.amdhsa_user_sgpr_flat_scratch_init 0
		.amdhsa_user_sgpr_private_segment_size 0
		.amdhsa_uses_dynamic_stack 0
		.amdhsa_system_sgpr_private_segment_wavefront_offset 0
		.amdhsa_system_sgpr_workgroup_id_x 1
		.amdhsa_system_sgpr_workgroup_id_y 0
		.amdhsa_system_sgpr_workgroup_id_z 0
		.amdhsa_system_sgpr_workgroup_info 0
		.amdhsa_system_vgpr_workitem_id 0
		.amdhsa_next_free_vgpr 6
		.amdhsa_next_free_sgpr 12
		.amdhsa_reserve_vcc 1
		.amdhsa_reserve_flat_scratch 0
		.amdhsa_float_round_mode_32 0
		.amdhsa_float_round_mode_16_64 0
		.amdhsa_float_denorm_mode_32 3
		.amdhsa_float_denorm_mode_16_64 3
		.amdhsa_dx10_clamp 1
		.amdhsa_ieee_mode 1
		.amdhsa_fp16_overflow 0
		.amdhsa_exception_fp_ieee_invalid_op 0
		.amdhsa_exception_fp_denorm_src 0
		.amdhsa_exception_fp_ieee_div_zero 0
		.amdhsa_exception_fp_ieee_overflow 0
		.amdhsa_exception_fp_ieee_underflow 0
		.amdhsa_exception_fp_ieee_inexact 0
		.amdhsa_exception_int_div_zero 0
	.end_amdhsa_kernel
	.section	.text._ZN7rocprim6detail31init_lookback_scan_state_kernelINS0_19lookback_scan_stateIjLb1ELb1EEEEEvT_jjPNS4_10value_typeE,"axG",@progbits,_ZN7rocprim6detail31init_lookback_scan_state_kernelINS0_19lookback_scan_stateIjLb1ELb1EEEEEvT_jjPNS4_10value_typeE,comdat
.Lfunc_end116:
	.size	_ZN7rocprim6detail31init_lookback_scan_state_kernelINS0_19lookback_scan_stateIjLb1ELb1EEEEEvT_jjPNS4_10value_typeE, .Lfunc_end116-_ZN7rocprim6detail31init_lookback_scan_state_kernelINS0_19lookback_scan_stateIjLb1ELb1EEEEEvT_jjPNS4_10value_typeE
                                        ; -- End function
	.set _ZN7rocprim6detail31init_lookback_scan_state_kernelINS0_19lookback_scan_stateIjLb1ELb1EEEEEvT_jjPNS4_10value_typeE.num_vgpr, 6
	.set _ZN7rocprim6detail31init_lookback_scan_state_kernelINS0_19lookback_scan_stateIjLb1ELb1EEEEEvT_jjPNS4_10value_typeE.num_agpr, 0
	.set _ZN7rocprim6detail31init_lookback_scan_state_kernelINS0_19lookback_scan_stateIjLb1ELb1EEEEEvT_jjPNS4_10value_typeE.numbered_sgpr, 12
	.set _ZN7rocprim6detail31init_lookback_scan_state_kernelINS0_19lookback_scan_stateIjLb1ELb1EEEEEvT_jjPNS4_10value_typeE.num_named_barrier, 0
	.set _ZN7rocprim6detail31init_lookback_scan_state_kernelINS0_19lookback_scan_stateIjLb1ELb1EEEEEvT_jjPNS4_10value_typeE.private_seg_size, 0
	.set _ZN7rocprim6detail31init_lookback_scan_state_kernelINS0_19lookback_scan_stateIjLb1ELb1EEEEEvT_jjPNS4_10value_typeE.uses_vcc, 1
	.set _ZN7rocprim6detail31init_lookback_scan_state_kernelINS0_19lookback_scan_stateIjLb1ELb1EEEEEvT_jjPNS4_10value_typeE.uses_flat_scratch, 0
	.set _ZN7rocprim6detail31init_lookback_scan_state_kernelINS0_19lookback_scan_stateIjLb1ELb1EEEEEvT_jjPNS4_10value_typeE.has_dyn_sized_stack, 0
	.set _ZN7rocprim6detail31init_lookback_scan_state_kernelINS0_19lookback_scan_stateIjLb1ELb1EEEEEvT_jjPNS4_10value_typeE.has_recursion, 0
	.set _ZN7rocprim6detail31init_lookback_scan_state_kernelINS0_19lookback_scan_stateIjLb1ELb1EEEEEvT_jjPNS4_10value_typeE.has_indirect_call, 0
	.section	.AMDGPU.csdata,"",@progbits
; Kernel info:
; codeLenInByte = 344
; TotalNumSgprs: 16
; NumVgprs: 6
; ScratchSize: 0
; MemoryBound: 0
; FloatMode: 240
; IeeeMode: 1
; LDSByteSize: 0 bytes/workgroup (compile time only)
; SGPRBlocks: 1
; VGPRBlocks: 1
; NumSGPRsForWavesPerEU: 16
; NumVGPRsForWavesPerEU: 6
; Occupancy: 10
; WaveLimiterHint : 0
; COMPUTE_PGM_RSRC2:SCRATCH_EN: 0
; COMPUTE_PGM_RSRC2:USER_SGPR: 6
; COMPUTE_PGM_RSRC2:TRAP_HANDLER: 0
; COMPUTE_PGM_RSRC2:TGID_X_EN: 1
; COMPUTE_PGM_RSRC2:TGID_Y_EN: 0
; COMPUTE_PGM_RSRC2:TGID_Z_EN: 0
; COMPUTE_PGM_RSRC2:TIDIG_COMP_CNT: 0
	.section	.text._ZN7rocprim6detail31init_lookback_scan_state_kernelINS0_19lookback_scan_stateIjLb0ELb1EEEEEvT_jjPNS4_10value_typeE,"axG",@progbits,_ZN7rocprim6detail31init_lookback_scan_state_kernelINS0_19lookback_scan_stateIjLb0ELb1EEEEEvT_jjPNS4_10value_typeE,comdat
	.protected	_ZN7rocprim6detail31init_lookback_scan_state_kernelINS0_19lookback_scan_stateIjLb0ELb1EEEEEvT_jjPNS4_10value_typeE ; -- Begin function _ZN7rocprim6detail31init_lookback_scan_state_kernelINS0_19lookback_scan_stateIjLb0ELb1EEEEEvT_jjPNS4_10value_typeE
	.globl	_ZN7rocprim6detail31init_lookback_scan_state_kernelINS0_19lookback_scan_stateIjLb0ELb1EEEEEvT_jjPNS4_10value_typeE
	.p2align	8
	.type	_ZN7rocprim6detail31init_lookback_scan_state_kernelINS0_19lookback_scan_stateIjLb0ELb1EEEEEvT_jjPNS4_10value_typeE,@function
_ZN7rocprim6detail31init_lookback_scan_state_kernelINS0_19lookback_scan_stateIjLb0ELb1EEEEEvT_jjPNS4_10value_typeE: ; @_ZN7rocprim6detail31init_lookback_scan_state_kernelINS0_19lookback_scan_stateIjLb0ELb1EEEEEvT_jjPNS4_10value_typeE
; %bb.0:
	s_load_dword s7, s[4:5], 0x24
	s_load_dwordx2 s[8:9], s[4:5], 0x10
	s_load_dwordx4 s[0:3], s[4:5], 0x0
	s_waitcnt lgkmcnt(0)
	s_and_b32 s4, s7, 0xffff
	s_mul_i32 s6, s6, s4
	s_cmp_eq_u64 s[8:9], 0
	v_add_u32_e32 v0, s6, v0
	s_cbranch_scc1 .LBB117_6
; %bb.1:
	s_cmp_lt_u32 s3, s2
	s_cselect_b32 s4, s3, 0
	s_mov_b32 s7, 0
	v_cmp_eq_u32_e32 vcc, s4, v0
	s_and_saveexec_b64 s[4:5], vcc
	s_cbranch_execz .LBB117_5
; %bb.2:
	s_add_i32 s6, s3, 64
	s_lshl_b64 s[6:7], s[6:7], 3
	s_add_u32 s6, s0, s6
	s_addc_u32 s7, s1, s7
	v_mov_b32_e32 v3, 0
	global_load_dwordx2 v[1:2], v3, s[6:7] glc
	s_waitcnt vmcnt(0)
	v_and_b32_e32 v4, 0xff, v2
	v_cmp_ne_u64_e32 vcc, 0, v[3:4]
	s_cbranch_vccnz .LBB117_4
.LBB117_3:                              ; =>This Inner Loop Header: Depth=1
	global_load_dwordx2 v[1:2], v3, s[6:7] glc
	s_waitcnt vmcnt(0)
	v_and_b32_e32 v4, 0xff, v2
	v_cmp_eq_u64_e32 vcc, 0, v[3:4]
	s_cbranch_vccnz .LBB117_3
.LBB117_4:
	v_mov_b32_e32 v2, 0
	global_store_dword v2, v1, s[8:9]
.LBB117_5:
	s_or_b64 exec, exec, s[4:5]
.LBB117_6:
	v_cmp_gt_u32_e32 vcc, s2, v0
	s_and_saveexec_b64 s[2:3], vcc
	s_cbranch_execnz .LBB117_9
; %bb.7:
	s_or_b64 exec, exec, s[2:3]
	v_cmp_gt_u32_e32 vcc, 64, v0
	s_and_saveexec_b64 s[2:3], vcc
	s_cbranch_execnz .LBB117_10
.LBB117_8:
	s_endpgm
.LBB117_9:
	v_add_u32_e32 v1, 64, v0
	v_mov_b32_e32 v2, 0
	v_lshlrev_b64 v[3:4], 3, v[1:2]
	v_mov_b32_e32 v1, s1
	v_add_co_u32_e32 v3, vcc, s0, v3
	v_addc_co_u32_e32 v4, vcc, v1, v4, vcc
	v_mov_b32_e32 v1, v2
	global_store_dwordx2 v[3:4], v[1:2], off
	s_or_b64 exec, exec, s[2:3]
	v_cmp_gt_u32_e32 vcc, 64, v0
	s_and_saveexec_b64 s[2:3], vcc
	s_cbranch_execz .LBB117_8
.LBB117_10:
	v_mov_b32_e32 v1, 0
	v_lshlrev_b64 v[2:3], 3, v[0:1]
	v_mov_b32_e32 v0, s1
	v_add_co_u32_e32 v2, vcc, s0, v2
	v_addc_co_u32_e32 v3, vcc, v0, v3, vcc
	v_mov_b32_e32 v5, 0xff
	v_mov_b32_e32 v4, v1
	global_store_dwordx2 v[2:3], v[4:5], off
	s_endpgm
	.section	.rodata,"a",@progbits
	.p2align	6, 0x0
	.amdhsa_kernel _ZN7rocprim6detail31init_lookback_scan_state_kernelINS0_19lookback_scan_stateIjLb0ELb1EEEEEvT_jjPNS4_10value_typeE
		.amdhsa_group_segment_fixed_size 0
		.amdhsa_private_segment_fixed_size 0
		.amdhsa_kernarg_size 280
		.amdhsa_user_sgpr_count 6
		.amdhsa_user_sgpr_private_segment_buffer 1
		.amdhsa_user_sgpr_dispatch_ptr 0
		.amdhsa_user_sgpr_queue_ptr 0
		.amdhsa_user_sgpr_kernarg_segment_ptr 1
		.amdhsa_user_sgpr_dispatch_id 0
		.amdhsa_user_sgpr_flat_scratch_init 0
		.amdhsa_user_sgpr_private_segment_size 0
		.amdhsa_uses_dynamic_stack 0
		.amdhsa_system_sgpr_private_segment_wavefront_offset 0
		.amdhsa_system_sgpr_workgroup_id_x 1
		.amdhsa_system_sgpr_workgroup_id_y 0
		.amdhsa_system_sgpr_workgroup_id_z 0
		.amdhsa_system_sgpr_workgroup_info 0
		.amdhsa_system_vgpr_workitem_id 0
		.amdhsa_next_free_vgpr 6
		.amdhsa_next_free_sgpr 10
		.amdhsa_reserve_vcc 1
		.amdhsa_reserve_flat_scratch 0
		.amdhsa_float_round_mode_32 0
		.amdhsa_float_round_mode_16_64 0
		.amdhsa_float_denorm_mode_32 3
		.amdhsa_float_denorm_mode_16_64 3
		.amdhsa_dx10_clamp 1
		.amdhsa_ieee_mode 1
		.amdhsa_fp16_overflow 0
		.amdhsa_exception_fp_ieee_invalid_op 0
		.amdhsa_exception_fp_denorm_src 0
		.amdhsa_exception_fp_ieee_div_zero 0
		.amdhsa_exception_fp_ieee_overflow 0
		.amdhsa_exception_fp_ieee_underflow 0
		.amdhsa_exception_fp_ieee_inexact 0
		.amdhsa_exception_int_div_zero 0
	.end_amdhsa_kernel
	.section	.text._ZN7rocprim6detail31init_lookback_scan_state_kernelINS0_19lookback_scan_stateIjLb0ELb1EEEEEvT_jjPNS4_10value_typeE,"axG",@progbits,_ZN7rocprim6detail31init_lookback_scan_state_kernelINS0_19lookback_scan_stateIjLb0ELb1EEEEEvT_jjPNS4_10value_typeE,comdat
.Lfunc_end117:
	.size	_ZN7rocprim6detail31init_lookback_scan_state_kernelINS0_19lookback_scan_stateIjLb0ELb1EEEEEvT_jjPNS4_10value_typeE, .Lfunc_end117-_ZN7rocprim6detail31init_lookback_scan_state_kernelINS0_19lookback_scan_stateIjLb0ELb1EEEEEvT_jjPNS4_10value_typeE
                                        ; -- End function
	.set _ZN7rocprim6detail31init_lookback_scan_state_kernelINS0_19lookback_scan_stateIjLb0ELb1EEEEEvT_jjPNS4_10value_typeE.num_vgpr, 6
	.set _ZN7rocprim6detail31init_lookback_scan_state_kernelINS0_19lookback_scan_stateIjLb0ELb1EEEEEvT_jjPNS4_10value_typeE.num_agpr, 0
	.set _ZN7rocprim6detail31init_lookback_scan_state_kernelINS0_19lookback_scan_stateIjLb0ELb1EEEEEvT_jjPNS4_10value_typeE.numbered_sgpr, 10
	.set _ZN7rocprim6detail31init_lookback_scan_state_kernelINS0_19lookback_scan_stateIjLb0ELb1EEEEEvT_jjPNS4_10value_typeE.num_named_barrier, 0
	.set _ZN7rocprim6detail31init_lookback_scan_state_kernelINS0_19lookback_scan_stateIjLb0ELb1EEEEEvT_jjPNS4_10value_typeE.private_seg_size, 0
	.set _ZN7rocprim6detail31init_lookback_scan_state_kernelINS0_19lookback_scan_stateIjLb0ELb1EEEEEvT_jjPNS4_10value_typeE.uses_vcc, 1
	.set _ZN7rocprim6detail31init_lookback_scan_state_kernelINS0_19lookback_scan_stateIjLb0ELb1EEEEEvT_jjPNS4_10value_typeE.uses_flat_scratch, 0
	.set _ZN7rocprim6detail31init_lookback_scan_state_kernelINS0_19lookback_scan_stateIjLb0ELb1EEEEEvT_jjPNS4_10value_typeE.has_dyn_sized_stack, 0
	.set _ZN7rocprim6detail31init_lookback_scan_state_kernelINS0_19lookback_scan_stateIjLb0ELb1EEEEEvT_jjPNS4_10value_typeE.has_recursion, 0
	.set _ZN7rocprim6detail31init_lookback_scan_state_kernelINS0_19lookback_scan_stateIjLb0ELb1EEEEEvT_jjPNS4_10value_typeE.has_indirect_call, 0
	.section	.AMDGPU.csdata,"",@progbits
; Kernel info:
; codeLenInByte = 304
; TotalNumSgprs: 14
; NumVgprs: 6
; ScratchSize: 0
; MemoryBound: 0
; FloatMode: 240
; IeeeMode: 1
; LDSByteSize: 0 bytes/workgroup (compile time only)
; SGPRBlocks: 1
; VGPRBlocks: 1
; NumSGPRsForWavesPerEU: 14
; NumVGPRsForWavesPerEU: 6
; Occupancy: 10
; WaveLimiterHint : 0
; COMPUTE_PGM_RSRC2:SCRATCH_EN: 0
; COMPUTE_PGM_RSRC2:USER_SGPR: 6
; COMPUTE_PGM_RSRC2:TRAP_HANDLER: 0
; COMPUTE_PGM_RSRC2:TGID_X_EN: 1
; COMPUTE_PGM_RSRC2:TGID_Y_EN: 0
; COMPUTE_PGM_RSRC2:TGID_Z_EN: 0
; COMPUTE_PGM_RSRC2:TIDIG_COMP_CNT: 0
	.section	.text._ZN7rocprim6detail20lookback_scan_kernelILNS0_25lookback_scan_determinismE0ELb0ENS0_19wrapped_scan_configINS_14default_configEjEEN6hipcub21CountingInputIteratorIjlEEN10test_utils21single_index_iteratorIjEENS6_3SumEjjNS0_19lookback_scan_stateIjLb1ELb1EEEEEvT2_T3_mT5_T4_T7_jPT6_SL_bb,"axG",@progbits,_ZN7rocprim6detail20lookback_scan_kernelILNS0_25lookback_scan_determinismE0ELb0ENS0_19wrapped_scan_configINS_14default_configEjEEN6hipcub21CountingInputIteratorIjlEEN10test_utils21single_index_iteratorIjEENS6_3SumEjjNS0_19lookback_scan_stateIjLb1ELb1EEEEEvT2_T3_mT5_T4_T7_jPT6_SL_bb,comdat
	.protected	_ZN7rocprim6detail20lookback_scan_kernelILNS0_25lookback_scan_determinismE0ELb0ENS0_19wrapped_scan_configINS_14default_configEjEEN6hipcub21CountingInputIteratorIjlEEN10test_utils21single_index_iteratorIjEENS6_3SumEjjNS0_19lookback_scan_stateIjLb1ELb1EEEEEvT2_T3_mT5_T4_T7_jPT6_SL_bb ; -- Begin function _ZN7rocprim6detail20lookback_scan_kernelILNS0_25lookback_scan_determinismE0ELb0ENS0_19wrapped_scan_configINS_14default_configEjEEN6hipcub21CountingInputIteratorIjlEEN10test_utils21single_index_iteratorIjEENS6_3SumEjjNS0_19lookback_scan_stateIjLb1ELb1EEEEEvT2_T3_mT5_T4_T7_jPT6_SL_bb
	.globl	_ZN7rocprim6detail20lookback_scan_kernelILNS0_25lookback_scan_determinismE0ELb0ENS0_19wrapped_scan_configINS_14default_configEjEEN6hipcub21CountingInputIteratorIjlEEN10test_utils21single_index_iteratorIjEENS6_3SumEjjNS0_19lookback_scan_stateIjLb1ELb1EEEEEvT2_T3_mT5_T4_T7_jPT6_SL_bb
	.p2align	8
	.type	_ZN7rocprim6detail20lookback_scan_kernelILNS0_25lookback_scan_determinismE0ELb0ENS0_19wrapped_scan_configINS_14default_configEjEEN6hipcub21CountingInputIteratorIjlEEN10test_utils21single_index_iteratorIjEENS6_3SumEjjNS0_19lookback_scan_stateIjLb1ELb1EEEEEvT2_T3_mT5_T4_T7_jPT6_SL_bb,@function
_ZN7rocprim6detail20lookback_scan_kernelILNS0_25lookback_scan_determinismE0ELb0ENS0_19wrapped_scan_configINS_14default_configEjEEN6hipcub21CountingInputIteratorIjlEEN10test_utils21single_index_iteratorIjEENS6_3SumEjjNS0_19lookback_scan_stateIjLb1ELb1EEEEEvT2_T3_mT5_T4_T7_jPT6_SL_bb: ; @_ZN7rocprim6detail20lookback_scan_kernelILNS0_25lookback_scan_determinismE0ELb0ENS0_19wrapped_scan_configINS_14default_configEjEEN6hipcub21CountingInputIteratorIjlEEN10test_utils21single_index_iteratorIjEENS6_3SumEjjNS0_19lookback_scan_stateIjLb1ELb1EEEEEvT2_T3_mT5_T4_T7_jPT6_SL_bb
; %bb.0:
	s_endpgm
	.section	.rodata,"a",@progbits
	.p2align	6, 0x0
	.amdhsa_kernel _ZN7rocprim6detail20lookback_scan_kernelILNS0_25lookback_scan_determinismE0ELb0ENS0_19wrapped_scan_configINS_14default_configEjEEN6hipcub21CountingInputIteratorIjlEEN10test_utils21single_index_iteratorIjEENS6_3SumEjjNS0_19lookback_scan_stateIjLb1ELb1EEEEEvT2_T3_mT5_T4_T7_jPT6_SL_bb
		.amdhsa_group_segment_fixed_size 0
		.amdhsa_private_segment_fixed_size 0
		.amdhsa_kernarg_size 84
		.amdhsa_user_sgpr_count 6
		.amdhsa_user_sgpr_private_segment_buffer 1
		.amdhsa_user_sgpr_dispatch_ptr 0
		.amdhsa_user_sgpr_queue_ptr 0
		.amdhsa_user_sgpr_kernarg_segment_ptr 1
		.amdhsa_user_sgpr_dispatch_id 0
		.amdhsa_user_sgpr_flat_scratch_init 0
		.amdhsa_user_sgpr_private_segment_size 0
		.amdhsa_uses_dynamic_stack 0
		.amdhsa_system_sgpr_private_segment_wavefront_offset 0
		.amdhsa_system_sgpr_workgroup_id_x 1
		.amdhsa_system_sgpr_workgroup_id_y 0
		.amdhsa_system_sgpr_workgroup_id_z 0
		.amdhsa_system_sgpr_workgroup_info 0
		.amdhsa_system_vgpr_workitem_id 0
		.amdhsa_next_free_vgpr 1
		.amdhsa_next_free_sgpr 0
		.amdhsa_reserve_vcc 0
		.amdhsa_reserve_flat_scratch 0
		.amdhsa_float_round_mode_32 0
		.amdhsa_float_round_mode_16_64 0
		.amdhsa_float_denorm_mode_32 3
		.amdhsa_float_denorm_mode_16_64 3
		.amdhsa_dx10_clamp 1
		.amdhsa_ieee_mode 1
		.amdhsa_fp16_overflow 0
		.amdhsa_exception_fp_ieee_invalid_op 0
		.amdhsa_exception_fp_denorm_src 0
		.amdhsa_exception_fp_ieee_div_zero 0
		.amdhsa_exception_fp_ieee_overflow 0
		.amdhsa_exception_fp_ieee_underflow 0
		.amdhsa_exception_fp_ieee_inexact 0
		.amdhsa_exception_int_div_zero 0
	.end_amdhsa_kernel
	.section	.text._ZN7rocprim6detail20lookback_scan_kernelILNS0_25lookback_scan_determinismE0ELb0ENS0_19wrapped_scan_configINS_14default_configEjEEN6hipcub21CountingInputIteratorIjlEEN10test_utils21single_index_iteratorIjEENS6_3SumEjjNS0_19lookback_scan_stateIjLb1ELb1EEEEEvT2_T3_mT5_T4_T7_jPT6_SL_bb,"axG",@progbits,_ZN7rocprim6detail20lookback_scan_kernelILNS0_25lookback_scan_determinismE0ELb0ENS0_19wrapped_scan_configINS_14default_configEjEEN6hipcub21CountingInputIteratorIjlEEN10test_utils21single_index_iteratorIjEENS6_3SumEjjNS0_19lookback_scan_stateIjLb1ELb1EEEEEvT2_T3_mT5_T4_T7_jPT6_SL_bb,comdat
.Lfunc_end118:
	.size	_ZN7rocprim6detail20lookback_scan_kernelILNS0_25lookback_scan_determinismE0ELb0ENS0_19wrapped_scan_configINS_14default_configEjEEN6hipcub21CountingInputIteratorIjlEEN10test_utils21single_index_iteratorIjEENS6_3SumEjjNS0_19lookback_scan_stateIjLb1ELb1EEEEEvT2_T3_mT5_T4_T7_jPT6_SL_bb, .Lfunc_end118-_ZN7rocprim6detail20lookback_scan_kernelILNS0_25lookback_scan_determinismE0ELb0ENS0_19wrapped_scan_configINS_14default_configEjEEN6hipcub21CountingInputIteratorIjlEEN10test_utils21single_index_iteratorIjEENS6_3SumEjjNS0_19lookback_scan_stateIjLb1ELb1EEEEEvT2_T3_mT5_T4_T7_jPT6_SL_bb
                                        ; -- End function
	.set _ZN7rocprim6detail20lookback_scan_kernelILNS0_25lookback_scan_determinismE0ELb0ENS0_19wrapped_scan_configINS_14default_configEjEEN6hipcub21CountingInputIteratorIjlEEN10test_utils21single_index_iteratorIjEENS6_3SumEjjNS0_19lookback_scan_stateIjLb1ELb1EEEEEvT2_T3_mT5_T4_T7_jPT6_SL_bb.num_vgpr, 0
	.set _ZN7rocprim6detail20lookback_scan_kernelILNS0_25lookback_scan_determinismE0ELb0ENS0_19wrapped_scan_configINS_14default_configEjEEN6hipcub21CountingInputIteratorIjlEEN10test_utils21single_index_iteratorIjEENS6_3SumEjjNS0_19lookback_scan_stateIjLb1ELb1EEEEEvT2_T3_mT5_T4_T7_jPT6_SL_bb.num_agpr, 0
	.set _ZN7rocprim6detail20lookback_scan_kernelILNS0_25lookback_scan_determinismE0ELb0ENS0_19wrapped_scan_configINS_14default_configEjEEN6hipcub21CountingInputIteratorIjlEEN10test_utils21single_index_iteratorIjEENS6_3SumEjjNS0_19lookback_scan_stateIjLb1ELb1EEEEEvT2_T3_mT5_T4_T7_jPT6_SL_bb.numbered_sgpr, 0
	.set _ZN7rocprim6detail20lookback_scan_kernelILNS0_25lookback_scan_determinismE0ELb0ENS0_19wrapped_scan_configINS_14default_configEjEEN6hipcub21CountingInputIteratorIjlEEN10test_utils21single_index_iteratorIjEENS6_3SumEjjNS0_19lookback_scan_stateIjLb1ELb1EEEEEvT2_T3_mT5_T4_T7_jPT6_SL_bb.num_named_barrier, 0
	.set _ZN7rocprim6detail20lookback_scan_kernelILNS0_25lookback_scan_determinismE0ELb0ENS0_19wrapped_scan_configINS_14default_configEjEEN6hipcub21CountingInputIteratorIjlEEN10test_utils21single_index_iteratorIjEENS6_3SumEjjNS0_19lookback_scan_stateIjLb1ELb1EEEEEvT2_T3_mT5_T4_T7_jPT6_SL_bb.private_seg_size, 0
	.set _ZN7rocprim6detail20lookback_scan_kernelILNS0_25lookback_scan_determinismE0ELb0ENS0_19wrapped_scan_configINS_14default_configEjEEN6hipcub21CountingInputIteratorIjlEEN10test_utils21single_index_iteratorIjEENS6_3SumEjjNS0_19lookback_scan_stateIjLb1ELb1EEEEEvT2_T3_mT5_T4_T7_jPT6_SL_bb.uses_vcc, 0
	.set _ZN7rocprim6detail20lookback_scan_kernelILNS0_25lookback_scan_determinismE0ELb0ENS0_19wrapped_scan_configINS_14default_configEjEEN6hipcub21CountingInputIteratorIjlEEN10test_utils21single_index_iteratorIjEENS6_3SumEjjNS0_19lookback_scan_stateIjLb1ELb1EEEEEvT2_T3_mT5_T4_T7_jPT6_SL_bb.uses_flat_scratch, 0
	.set _ZN7rocprim6detail20lookback_scan_kernelILNS0_25lookback_scan_determinismE0ELb0ENS0_19wrapped_scan_configINS_14default_configEjEEN6hipcub21CountingInputIteratorIjlEEN10test_utils21single_index_iteratorIjEENS6_3SumEjjNS0_19lookback_scan_stateIjLb1ELb1EEEEEvT2_T3_mT5_T4_T7_jPT6_SL_bb.has_dyn_sized_stack, 0
	.set _ZN7rocprim6detail20lookback_scan_kernelILNS0_25lookback_scan_determinismE0ELb0ENS0_19wrapped_scan_configINS_14default_configEjEEN6hipcub21CountingInputIteratorIjlEEN10test_utils21single_index_iteratorIjEENS6_3SumEjjNS0_19lookback_scan_stateIjLb1ELb1EEEEEvT2_T3_mT5_T4_T7_jPT6_SL_bb.has_recursion, 0
	.set _ZN7rocprim6detail20lookback_scan_kernelILNS0_25lookback_scan_determinismE0ELb0ENS0_19wrapped_scan_configINS_14default_configEjEEN6hipcub21CountingInputIteratorIjlEEN10test_utils21single_index_iteratorIjEENS6_3SumEjjNS0_19lookback_scan_stateIjLb1ELb1EEEEEvT2_T3_mT5_T4_T7_jPT6_SL_bb.has_indirect_call, 0
	.section	.AMDGPU.csdata,"",@progbits
; Kernel info:
; codeLenInByte = 4
; TotalNumSgprs: 4
; NumVgprs: 0
; ScratchSize: 0
; MemoryBound: 0
; FloatMode: 240
; IeeeMode: 1
; LDSByteSize: 0 bytes/workgroup (compile time only)
; SGPRBlocks: 0
; VGPRBlocks: 0
; NumSGPRsForWavesPerEU: 4
; NumVGPRsForWavesPerEU: 1
; Occupancy: 10
; WaveLimiterHint : 0
; COMPUTE_PGM_RSRC2:SCRATCH_EN: 0
; COMPUTE_PGM_RSRC2:USER_SGPR: 6
; COMPUTE_PGM_RSRC2:TRAP_HANDLER: 0
; COMPUTE_PGM_RSRC2:TGID_X_EN: 1
; COMPUTE_PGM_RSRC2:TGID_Y_EN: 0
; COMPUTE_PGM_RSRC2:TGID_Z_EN: 0
; COMPUTE_PGM_RSRC2:TIDIG_COMP_CNT: 0
	.section	.text._ZN7rocprim6detail20lookback_scan_kernelILNS0_25lookback_scan_determinismE0ELb0ENS0_19wrapped_scan_configINS_14default_configEjEEN6hipcub21CountingInputIteratorIjlEEN10test_utils21single_index_iteratorIjEENS6_3SumEjjNS0_19lookback_scan_stateIjLb0ELb1EEEEEvT2_T3_mT5_T4_T7_jPT6_SL_bb,"axG",@progbits,_ZN7rocprim6detail20lookback_scan_kernelILNS0_25lookback_scan_determinismE0ELb0ENS0_19wrapped_scan_configINS_14default_configEjEEN6hipcub21CountingInputIteratorIjlEEN10test_utils21single_index_iteratorIjEENS6_3SumEjjNS0_19lookback_scan_stateIjLb0ELb1EEEEEvT2_T3_mT5_T4_T7_jPT6_SL_bb,comdat
	.protected	_ZN7rocprim6detail20lookback_scan_kernelILNS0_25lookback_scan_determinismE0ELb0ENS0_19wrapped_scan_configINS_14default_configEjEEN6hipcub21CountingInputIteratorIjlEEN10test_utils21single_index_iteratorIjEENS6_3SumEjjNS0_19lookback_scan_stateIjLb0ELb1EEEEEvT2_T3_mT5_T4_T7_jPT6_SL_bb ; -- Begin function _ZN7rocprim6detail20lookback_scan_kernelILNS0_25lookback_scan_determinismE0ELb0ENS0_19wrapped_scan_configINS_14default_configEjEEN6hipcub21CountingInputIteratorIjlEEN10test_utils21single_index_iteratorIjEENS6_3SumEjjNS0_19lookback_scan_stateIjLb0ELb1EEEEEvT2_T3_mT5_T4_T7_jPT6_SL_bb
	.globl	_ZN7rocprim6detail20lookback_scan_kernelILNS0_25lookback_scan_determinismE0ELb0ENS0_19wrapped_scan_configINS_14default_configEjEEN6hipcub21CountingInputIteratorIjlEEN10test_utils21single_index_iteratorIjEENS6_3SumEjjNS0_19lookback_scan_stateIjLb0ELb1EEEEEvT2_T3_mT5_T4_T7_jPT6_SL_bb
	.p2align	8
	.type	_ZN7rocprim6detail20lookback_scan_kernelILNS0_25lookback_scan_determinismE0ELb0ENS0_19wrapped_scan_configINS_14default_configEjEEN6hipcub21CountingInputIteratorIjlEEN10test_utils21single_index_iteratorIjEENS6_3SumEjjNS0_19lookback_scan_stateIjLb0ELb1EEEEEvT2_T3_mT5_T4_T7_jPT6_SL_bb,@function
_ZN7rocprim6detail20lookback_scan_kernelILNS0_25lookback_scan_determinismE0ELb0ENS0_19wrapped_scan_configINS_14default_configEjEEN6hipcub21CountingInputIteratorIjlEEN10test_utils21single_index_iteratorIjEENS6_3SumEjjNS0_19lookback_scan_stateIjLb0ELb1EEEEEvT2_T3_mT5_T4_T7_jPT6_SL_bb: ; @_ZN7rocprim6detail20lookback_scan_kernelILNS0_25lookback_scan_determinismE0ELb0ENS0_19wrapped_scan_configINS_14default_configEjEEN6hipcub21CountingInputIteratorIjlEEN10test_utils21single_index_iteratorIjEENS6_3SumEjjNS0_19lookback_scan_stateIjLb0ELb1EEEEEvT2_T3_mT5_T4_T7_jPT6_SL_bb
; %bb.0:
	s_load_dword s0, s[4:5], 0x38
	s_load_dwordx8 s[36:43], s[4:5], 0x8
	s_load_dword s2, s[4:5], 0x0
	s_mul_i32 s35, s6, 0xf00
	v_lshlrev_b32_e32 v31, 2, v0
	s_waitcnt lgkmcnt(0)
	s_add_i32 s0, s0, -1
	s_mul_i32 s1, s0, 0xf00
	s_sub_u32 s33, s42, s1
	s_subb_u32 s34, s43, 0
	s_cmp_lg_u32 s6, s0
	s_cselect_b64 s[8:9], -1, 0
	s_add_i32 s2, s2, s35
	s_mov_b64 s[0:1], -1
	s_and_b64 vcc, exec, s[8:9]
	v_add_u32_e32 v1, s2, v0
	s_cbranch_vccz .LBB119_2
; %bb.1:
	v_add_u32_e32 v2, 0x100, v1
	v_add_u32_e32 v3, 0x200, v1
	;; [unrolled: 1-line block ×14, first 2 shown]
	ds_write2st64_b32 v31, v1, v2 offset1:4
	ds_write2st64_b32 v31, v3, v4 offset0:8 offset1:12
	ds_write2st64_b32 v31, v5, v6 offset0:16 offset1:20
	;; [unrolled: 1-line block ×6, first 2 shown]
	ds_write_b32 v31, v15 offset:14336
	s_waitcnt lgkmcnt(0)
	s_barrier
	s_mov_b64 s[0:1], 0
.LBB119_2:
	s_andn2_b64 vcc, exec, s[0:1]
	v_cmp_gt_u32_e64 s[0:1], s33, v0
	s_cbranch_vccnz .LBB119_4
; %bb.3:
	v_or_b32_e32 v4, 0x100, v0
	v_mov_b32_e32 v2, s2
	v_add_u32_e32 v5, 0x100, v1
	v_cmp_gt_u32_e32 vcc, s33, v4
	v_cndmask_b32_e32 v4, v2, v5, vcc
	v_or_b32_e32 v5, 0x200, v0
	v_add_u32_e32 v6, 0x200, v1
	v_cmp_gt_u32_e32 vcc, s33, v5
	v_cndmask_b32_e32 v5, v2, v6, vcc
	v_or_b32_e32 v6, 0x300, v0
	;; [unrolled: 4-line block ×13, first 2 shown]
	v_cndmask_b32_e64 v3, v2, v1, s[0:1]
	v_add_u32_e32 v1, 0xe00, v1
	v_cmp_gt_u32_e32 vcc, s33, v17
	v_cndmask_b32_e32 v1, v2, v1, vcc
	ds_write2st64_b32 v31, v3, v4 offset1:4
	ds_write2st64_b32 v31, v5, v6 offset0:8 offset1:12
	ds_write2st64_b32 v31, v7, v8 offset0:16 offset1:20
	;; [unrolled: 1-line block ×6, first 2 shown]
	ds_write_b32 v31, v1 offset:14336
	s_waitcnt lgkmcnt(0)
	s_barrier
.LBB119_4:
	v_mul_u32_u24_e32 v32, 60, v0
	ds_read2_b32 v[1:2], v32 offset1:1
	ds_read2_b32 v[29:30], v32 offset0:2 offset1:3
	ds_read2_b32 v[27:28], v32 offset0:4 offset1:5
	ds_read2_b32 v[25:26], v32 offset0:6 offset1:7
	ds_read2_b32 v[23:24], v32 offset0:8 offset1:9
	ds_read2_b32 v[21:22], v32 offset0:10 offset1:11
	ds_read2_b32 v[19:20], v32 offset0:12 offset1:13
	ds_read_b32 v33, v32 offset:56
	s_load_dwordx2 s[10:11], s[4:5], 0x30
	s_cmp_lg_u32 s6, 0
	v_lshrrev_b32_e32 v34, 3, v0
	v_cmp_gt_u32_e32 vcc, 64, v0
	s_waitcnt lgkmcnt(0)
	s_barrier
	s_cbranch_scc0 .LBB119_24
; %bb.5:
	v_add3_u32 v3, v2, v1, v29
	v_add3_u32 v3, v3, v30, v27
	;; [unrolled: 1-line block ×6, first 2 shown]
	v_and_b32_e32 v4, 28, v34
	v_add3_u32 v3, v3, v20, v33
	v_lshl_add_u32 v4, v0, 2, v4
	ds_write_b32 v4, v3
	s_waitcnt lgkmcnt(0)
	s_barrier
	s_and_saveexec_b64 s[2:3], vcc
	s_cbranch_execz .LBB119_7
; %bb.6:
	v_lshrrev_b32_e32 v4, 1, v0
	v_and_b32_e32 v4, 0x7c, v4
	v_lshl_add_u32 v8, v0, 4, v4
	ds_read2_b32 v[4:5], v8 offset1:1
	ds_read2_b32 v[6:7], v8 offset0:2 offset1:3
	v_mbcnt_lo_u32_b32 v9, -1, 0
	v_mbcnt_hi_u32_b32 v9, -1, v9
	v_and_b32_e32 v10, 15, v9
	s_waitcnt lgkmcnt(1)
	v_add_u32_e32 v11, v5, v4
	s_waitcnt lgkmcnt(0)
	v_add3_u32 v11, v11, v6, v7
	v_cmp_ne_u32_e64 s[0:1], 0, v10
	s_nop 0
	v_mov_b32_dpp v12, v11 row_shr:1 row_mask:0xf bank_mask:0xf
	v_cndmask_b32_e64 v12, 0, v12, s[0:1]
	v_add_u32_e32 v11, v12, v11
	v_cmp_lt_u32_e64 s[0:1], 1, v10
	s_nop 0
	v_mov_b32_dpp v12, v11 row_shr:2 row_mask:0xf bank_mask:0xf
	v_cndmask_b32_e64 v12, 0, v12, s[0:1]
	v_add_u32_e32 v11, v11, v12
	v_cmp_lt_u32_e64 s[0:1], 3, v10
	;; [unrolled: 5-line block ×3, first 2 shown]
	s_nop 0
	v_mov_b32_dpp v12, v11 row_shr:8 row_mask:0xf bank_mask:0xf
	v_cndmask_b32_e64 v10, 0, v12, s[0:1]
	v_add_u32_e32 v10, v11, v10
	v_bfe_i32 v12, v9, 4, 1
	v_cmp_lt_u32_e64 s[0:1], 31, v9
	v_mov_b32_dpp v11, v10 row_bcast:15 row_mask:0xf bank_mask:0xf
	v_and_b32_e32 v11, v12, v11
	v_add_u32_e32 v10, v10, v11
	v_and_b32_e32 v12, 64, v9
	s_nop 0
	v_mov_b32_dpp v11, v10 row_bcast:31 row_mask:0xf bank_mask:0xf
	v_cndmask_b32_e64 v11, 0, v11, s[0:1]
	v_add_u32_e32 v10, v10, v11
	v_add_u32_e32 v11, -1, v9
	v_cmp_lt_i32_e64 s[0:1], v11, v12
	v_cndmask_b32_e64 v9, v11, v9, s[0:1]
	v_lshlrev_b32_e32 v9, 2, v9
	ds_bpermute_b32 v9, v9, v10
	v_cmp_eq_u32_e64 s[0:1], 0, v0
	s_waitcnt lgkmcnt(0)
	v_add_u32_e32 v4, v9, v4
	v_cndmask_b32_e64 v3, v4, v3, s[0:1]
	v_add_u32_e32 v4, v3, v5
	ds_write2_b32 v8, v3, v4 offset1:1
	v_add_u32_e32 v3, v4, v6
	v_add_u32_e32 v4, v3, v7
	ds_write2_b32 v8, v3, v4 offset0:2 offset1:3
.LBB119_7:
	s_or_b64 exec, exec, s[2:3]
	v_mov_b32_e32 v12, 0
	v_cmp_eq_u32_e64 s[0:1], 0, v0
	v_cmp_ne_u32_e64 s[2:3], 0, v0
	s_waitcnt lgkmcnt(0)
	s_barrier
	s_and_saveexec_b64 s[12:13], s[2:3]
; %bb.8:
	v_add_u32_e32 v3, -1, v0
	v_lshrrev_b32_e32 v4, 3, v3
	v_and_b32_e32 v4, 0x1ffffffc, v4
	v_lshl_add_u32 v3, v3, 2, v4
	ds_read_b32 v12, v3
; %bb.9:
	s_or_b64 exec, exec, s[12:13]
	s_and_saveexec_b64 s[12:13], vcc
	s_cbranch_execz .LBB119_29
; %bb.10:
	v_mov_b32_e32 v8, 0
	ds_read_b32 v3, v8 offset:1048
	v_mbcnt_lo_u32_b32 v4, -1, 0
	v_mbcnt_hi_u32_b32 v5, -1, v4
	s_mov_b32 s17, 0
	v_cmp_eq_u32_e64 s[2:3], 0, v5
	s_and_saveexec_b64 s[14:15], s[2:3]
	s_cbranch_execz .LBB119_12
; %bb.11:
	s_add_i32 s16, s6, 64
	s_lshl_b64 s[16:17], s[16:17], 3
	s_add_u32 s16, s10, s16
	v_mov_b32_e32 v4, 1
	s_addc_u32 s17, s11, s17
	s_waitcnt lgkmcnt(0)
	global_store_dwordx2 v8, v[3:4], s[16:17]
.LBB119_12:
	s_or_b64 exec, exec, s[14:15]
	v_xad_u32 v4, v5, -1, s6
	v_add_u32_e32 v7, 64, v4
	v_lshlrev_b64 v[6:7], 3, v[7:8]
	v_mov_b32_e32 v10, s11
	v_add_co_u32_e32 v9, vcc, s10, v6
	v_addc_co_u32_e32 v10, vcc, v10, v7, vcc
	global_load_dwordx2 v[6:7], v[9:10], off glc
	s_waitcnt vmcnt(0)
	v_cmp_eq_u16_sdwa s[16:17], v7, v8 src0_sel:BYTE_0 src1_sel:DWORD
	s_and_saveexec_b64 s[14:15], s[16:17]
	s_cbranch_execz .LBB119_16
; %bb.13:
	s_mov_b64 s[16:17], 0
	v_mov_b32_e32 v8, 0
.LBB119_14:                             ; =>This Inner Loop Header: Depth=1
	global_load_dwordx2 v[6:7], v[9:10], off glc
	s_waitcnt vmcnt(0)
	v_cmp_ne_u16_sdwa s[18:19], v7, v8 src0_sel:BYTE_0 src1_sel:DWORD
	s_or_b64 s[16:17], s[18:19], s[16:17]
	s_andn2_b64 exec, exec, s[16:17]
	s_cbranch_execnz .LBB119_14
; %bb.15:
	s_or_b64 exec, exec, s[16:17]
.LBB119_16:
	s_or_b64 exec, exec, s[14:15]
	v_and_b32_e32 v36, 63, v5
	v_mov_b32_e32 v13, 2
	v_lshlrev_b64 v[8:9], v5, -1
	v_cmp_ne_u32_e32 vcc, 63, v36
	v_cmp_eq_u16_sdwa s[14:15], v7, v13 src0_sel:BYTE_0 src1_sel:DWORD
	v_addc_co_u32_e32 v14, vcc, 0, v5, vcc
	v_and_b32_e32 v10, s15, v9
	v_lshlrev_b32_e32 v14, 2, v14
	v_or_b32_e32 v10, 0x80000000, v10
	ds_bpermute_b32 v16, v14, v6
	v_and_b32_e32 v11, s14, v8
	v_ffbl_b32_e32 v10, v10
	v_add_u32_e32 v10, 32, v10
	v_ffbl_b32_e32 v11, v11
	v_min_u32_e32 v10, v11, v10
	v_add_u32_e32 v15, 1, v5
	v_cmp_le_u32_e32 vcc, v15, v10
	s_waitcnt lgkmcnt(0)
	v_cndmask_b32_e32 v11, 0, v16, vcc
	v_cmp_gt_u32_e32 vcc, 62, v36
	v_add_u32_e32 v6, v11, v6
	v_cndmask_b32_e64 v11, 0, 2, vcc
	v_add_lshl_u32 v16, v11, v5, 2
	ds_bpermute_b32 v11, v16, v6
	v_add_u32_e32 v17, 2, v5
	v_cmp_le_u32_e32 vcc, v17, v10
	v_add_u32_e32 v35, 4, v5
	v_add_u32_e32 v38, 8, v5
	s_waitcnt lgkmcnt(0)
	v_cndmask_b32_e32 v11, 0, v11, vcc
	v_cmp_gt_u32_e32 vcc, 60, v36
	v_add_u32_e32 v6, v6, v11
	v_cndmask_b32_e64 v11, 0, 4, vcc
	v_add_lshl_u32 v18, v11, v5, 2
	ds_bpermute_b32 v11, v18, v6
	v_cmp_le_u32_e32 vcc, v35, v10
	v_add_u32_e32 v40, 16, v5
	v_add_u32_e32 v42, 32, v5
	s_waitcnt lgkmcnt(0)
	v_cndmask_b32_e32 v11, 0, v11, vcc
	v_cmp_gt_u32_e32 vcc, 56, v36
	v_add_u32_e32 v6, v6, v11
	v_cndmask_b32_e64 v11, 0, 8, vcc
	v_add_lshl_u32 v37, v11, v5, 2
	ds_bpermute_b32 v11, v37, v6
	v_cmp_le_u32_e32 vcc, v38, v10
	s_waitcnt lgkmcnt(0)
	v_cndmask_b32_e32 v11, 0, v11, vcc
	v_cmp_gt_u32_e32 vcc, 48, v36
	v_add_u32_e32 v6, v6, v11
	v_cndmask_b32_e64 v11, 0, 16, vcc
	v_add_lshl_u32 v39, v11, v5, 2
	ds_bpermute_b32 v11, v39, v6
	v_cmp_le_u32_e32 vcc, v40, v10
	s_waitcnt lgkmcnt(0)
	v_cndmask_b32_e32 v11, 0, v11, vcc
	v_add_u32_e32 v6, v6, v11
	v_mov_b32_e32 v11, 0x80
	v_lshl_or_b32 v41, v5, 2, v11
	ds_bpermute_b32 v11, v41, v6
	v_cmp_le_u32_e32 vcc, v42, v10
	s_waitcnt lgkmcnt(0)
	v_cndmask_b32_e32 v5, 0, v11, vcc
	v_add_u32_e32 v6, v6, v5
	v_mov_b32_e32 v5, 0
	s_branch .LBB119_20
.LBB119_17:                             ;   in Loop: Header=BB119_20 Depth=1
	s_or_b64 exec, exec, s[16:17]
.LBB119_18:                             ;   in Loop: Header=BB119_20 Depth=1
	s_or_b64 exec, exec, s[14:15]
	v_cmp_eq_u16_sdwa s[14:15], v7, v13 src0_sel:BYTE_0 src1_sel:DWORD
	v_and_b32_e32 v10, s15, v9
	v_or_b32_e32 v10, 0x80000000, v10
	ds_bpermute_b32 v43, v14, v6
	v_and_b32_e32 v11, s14, v8
	v_ffbl_b32_e32 v10, v10
	v_add_u32_e32 v10, 32, v10
	v_ffbl_b32_e32 v11, v11
	v_min_u32_e32 v10, v11, v10
	v_cmp_le_u32_e32 vcc, v15, v10
	s_waitcnt lgkmcnt(0)
	v_cndmask_b32_e32 v11, 0, v43, vcc
	v_add_u32_e32 v6, v11, v6
	ds_bpermute_b32 v11, v16, v6
	v_cmp_le_u32_e32 vcc, v17, v10
	v_subrev_u32_e32 v4, 64, v4
	s_mov_b64 s[14:15], 0
	s_waitcnt lgkmcnt(0)
	v_cndmask_b32_e32 v11, 0, v11, vcc
	v_add_u32_e32 v6, v6, v11
	ds_bpermute_b32 v11, v18, v6
	v_cmp_le_u32_e32 vcc, v35, v10
	s_waitcnt lgkmcnt(0)
	v_cndmask_b32_e32 v11, 0, v11, vcc
	v_add_u32_e32 v6, v6, v11
	ds_bpermute_b32 v11, v37, v6
	v_cmp_le_u32_e32 vcc, v38, v10
	;; [unrolled: 5-line block ×4, first 2 shown]
	s_waitcnt lgkmcnt(0)
	v_cndmask_b32_e32 v10, 0, v11, vcc
	v_add3_u32 v6, v10, v36, v6
.LBB119_19:                             ;   in Loop: Header=BB119_20 Depth=1
	s_and_b64 vcc, exec, s[14:15]
	s_cbranch_vccnz .LBB119_25
.LBB119_20:                             ; =>This Loop Header: Depth=1
                                        ;     Child Loop BB119_23 Depth 2
	v_cmp_ne_u16_sdwa s[14:15], v7, v13 src0_sel:BYTE_0 src1_sel:DWORD
	v_mov_b32_e32 v36, v6
	s_cmp_lg_u64 s[14:15], exec
	s_mov_b64 s[14:15], -1
                                        ; implicit-def: $vgpr6
                                        ; implicit-def: $vgpr7
	s_cbranch_scc1 .LBB119_19
; %bb.21:                               ;   in Loop: Header=BB119_20 Depth=1
	v_lshlrev_b64 v[6:7], 3, v[4:5]
	v_mov_b32_e32 v11, s11
	v_add_co_u32_e32 v10, vcc, s10, v6
	v_addc_co_u32_e32 v11, vcc, v11, v7, vcc
	global_load_dwordx2 v[6:7], v[10:11], off glc
	s_waitcnt vmcnt(0)
	v_cmp_eq_u16_sdwa s[16:17], v7, v5 src0_sel:BYTE_0 src1_sel:DWORD
	s_and_saveexec_b64 s[14:15], s[16:17]
	s_cbranch_execz .LBB119_18
; %bb.22:                               ;   in Loop: Header=BB119_20 Depth=1
	s_mov_b64 s[16:17], 0
.LBB119_23:                             ;   Parent Loop BB119_20 Depth=1
                                        ; =>  This Inner Loop Header: Depth=2
	global_load_dwordx2 v[6:7], v[10:11], off glc
	s_waitcnt vmcnt(0)
	v_cmp_ne_u16_sdwa s[18:19], v7, v5 src0_sel:BYTE_0 src1_sel:DWORD
	s_or_b64 s[16:17], s[18:19], s[16:17]
	s_andn2_b64 exec, exec, s[16:17]
	s_cbranch_execnz .LBB119_23
	s_branch .LBB119_17
.LBB119_24:
                                        ; implicit-def: $vgpr3_vgpr4_vgpr5_vgpr6_vgpr7_vgpr8_vgpr9_vgpr10_vgpr11_vgpr12_vgpr13_vgpr14_vgpr15_vgpr16_vgpr17_vgpr18
	s_load_dwordx4 s[28:31], s[4:5], 0x40
	s_cbranch_execnz .LBB119_30
	s_branch .LBB119_39
.LBB119_25:
	s_and_saveexec_b64 s[14:15], s[2:3]
	s_cbranch_execz .LBB119_27
; %bb.26:
	s_add_i32 s2, s6, 64
	s_mov_b32 s3, 0
	s_lshl_b64 s[2:3], s[2:3], 3
	s_add_u32 s2, s10, s2
	v_add_u32_e32 v3, v36, v3
	v_mov_b32_e32 v4, 2
	s_addc_u32 s3, s11, s3
	v_mov_b32_e32 v5, 0
	global_store_dwordx2 v5, v[3:4], s[2:3]
.LBB119_27:
	s_or_b64 exec, exec, s[14:15]
	s_and_b64 exec, exec, s[0:1]
; %bb.28:
	v_mov_b32_e32 v3, 0
	ds_write_b32 v3, v36
.LBB119_29:
	s_or_b64 exec, exec, s[12:13]
	v_mov_b32_e32 v3, 0
	s_waitcnt vmcnt(0) lgkmcnt(0)
	s_barrier
	ds_read_b32 v3, v3
	s_waitcnt lgkmcnt(0)
	v_add3_u32 v3, v12, v1, v3
	v_add_u32_e32 v4, v3, v2
	v_add_u32_e32 v5, v4, v29
	;; [unrolled: 1-line block ×14, first 2 shown]
	s_load_dwordx4 s[28:31], s[4:5], 0x40
	s_branch .LBB119_39
.LBB119_30:
	s_load_dword s2, s[4:5], 0x50
	v_cmp_eq_u32_e32 vcc, 0, v0
	v_cmp_ne_u32_e64 s[0:1], 0, v0
	s_waitcnt lgkmcnt(0)
	s_bitcmp1_b32 s2, 0
	s_cselect_b64 s[2:3], -1, 0
	s_and_b64 s[6:7], vcc, s[2:3]
	s_and_saveexec_b64 s[2:3], s[6:7]
	s_cbranch_execz .LBB119_32
; %bb.31:
	v_mov_b32_e32 v3, 0
	global_load_dword v3, v3, s[28:29]
	s_waitcnt vmcnt(0)
	v_add_u32_e32 v1, v3, v1
.LBB119_32:
	s_or_b64 exec, exec, s[2:3]
	v_add_u32_e32 v16, v2, v1
	v_add_u32_e32 v3, v16, v29
	;; [unrolled: 1-line block ×13, first 2 shown]
	v_and_b32_e32 v17, 28, v34
	v_add_u32_e32 v15, v14, v33
	v_lshl_add_u32 v17, v0, 2, v17
	v_cmp_gt_u32_e64 s[2:3], 64, v0
	ds_write_b32 v17, v15
	s_waitcnt lgkmcnt(0)
	s_barrier
	s_and_saveexec_b64 s[6:7], s[2:3]
	s_cbranch_execz .LBB119_34
; %bb.33:
	v_lshrrev_b32_e32 v17, 1, v0
	v_and_b32_e32 v17, 0x7c, v17
	v_lshl_add_u32 v36, v0, 4, v17
	ds_read2_b32 v[17:18], v36 offset1:1
	ds_read2_b32 v[34:35], v36 offset0:2 offset1:3
	v_mbcnt_lo_u32_b32 v37, -1, 0
	v_mbcnt_hi_u32_b32 v37, -1, v37
	v_and_b32_e32 v38, 15, v37
	s_waitcnt lgkmcnt(1)
	v_add_u32_e32 v39, v18, v17
	s_waitcnt lgkmcnt(0)
	v_add3_u32 v39, v39, v34, v35
	v_cmp_ne_u32_e64 s[2:3], 0, v38
	s_nop 0
	v_mov_b32_dpp v40, v39 row_shr:1 row_mask:0xf bank_mask:0xf
	v_cndmask_b32_e64 v40, 0, v40, s[2:3]
	v_add_u32_e32 v39, v40, v39
	v_cmp_lt_u32_e64 s[2:3], 1, v38
	s_nop 0
	v_mov_b32_dpp v40, v39 row_shr:2 row_mask:0xf bank_mask:0xf
	v_cndmask_b32_e64 v40, 0, v40, s[2:3]
	v_add_u32_e32 v39, v39, v40
	v_cmp_lt_u32_e64 s[2:3], 3, v38
	;; [unrolled: 5-line block ×3, first 2 shown]
	s_nop 0
	v_mov_b32_dpp v40, v39 row_shr:8 row_mask:0xf bank_mask:0xf
	v_cndmask_b32_e64 v38, 0, v40, s[2:3]
	v_add_u32_e32 v38, v39, v38
	v_bfe_i32 v40, v37, 4, 1
	v_cmp_lt_u32_e64 s[2:3], 31, v37
	v_mov_b32_dpp v39, v38 row_bcast:15 row_mask:0xf bank_mask:0xf
	v_and_b32_e32 v39, v40, v39
	v_add_u32_e32 v38, v38, v39
	v_and_b32_e32 v40, 64, v37
	s_nop 0
	v_mov_b32_dpp v39, v38 row_bcast:31 row_mask:0xf bank_mask:0xf
	v_cndmask_b32_e64 v39, 0, v39, s[2:3]
	v_add_u32_e32 v38, v38, v39
	v_add_u32_e32 v39, -1, v37
	v_cmp_lt_i32_e64 s[2:3], v39, v40
	v_cndmask_b32_e64 v37, v39, v37, s[2:3]
	v_lshlrev_b32_e32 v37, 2, v37
	ds_bpermute_b32 v37, v37, v38
	s_waitcnt lgkmcnt(0)
	v_add_u32_e32 v17, v37, v17
	v_cndmask_b32_e32 v17, v17, v15, vcc
	v_add_u32_e32 v18, v17, v18
	ds_write2_b32 v36, v17, v18 offset1:1
	v_add_u32_e32 v17, v18, v34
	v_add_u32_e32 v18, v17, v35
	ds_write2_b32 v36, v17, v18 offset0:2 offset1:3
.LBB119_34:
	s_or_b64 exec, exec, s[6:7]
	s_waitcnt lgkmcnt(0)
	s_barrier
	s_and_saveexec_b64 s[2:3], s[0:1]
	s_cbranch_execz .LBB119_36
; %bb.35:
	v_add_u32_e32 v3, -1, v0
	v_lshrrev_b32_e32 v4, 3, v3
	v_and_b32_e32 v4, 0x1ffffffc, v4
	v_lshl_add_u32 v3, v3, 2, v4
	ds_read_b32 v3, v3
	s_waitcnt lgkmcnt(0)
	v_add_u32_e32 v1, v3, v1
	v_add_u32_e32 v16, v1, v2
	v_add_u32_e32 v3, v16, v29
	v_add_u32_e32 v4, v3, v30
	v_add_u32_e32 v5, v4, v27
	v_add_u32_e32 v6, v5, v28
	v_add_u32_e32 v7, v6, v25
	v_add_u32_e32 v8, v7, v26
	v_add_u32_e32 v9, v8, v23
	v_add_u32_e32 v10, v9, v24
	v_add_u32_e32 v11, v10, v21
	v_add_u32_e32 v12, v11, v22
	v_add_u32_e32 v13, v12, v19
	v_add_u32_e32 v14, v13, v20
	v_add_u32_e32 v15, v14, v33
.LBB119_36:
	s_or_b64 exec, exec, s[2:3]
	s_and_saveexec_b64 s[0:1], vcc
	s_cbranch_execz .LBB119_38
; %bb.37:
	v_mov_b32_e32 v2, 0
	ds_read_b32 v17, v2 offset:1048
	v_mov_b32_e32 v18, 2
	s_waitcnt lgkmcnt(0)
	global_store_dwordx2 v2, v[17:18], s[10:11] offset:512
.LBB119_38:
	s_or_b64 exec, exec, s[0:1]
	v_mov_b32_e32 v2, v16
	v_mov_b32_e32 v18, v16
	;; [unrolled: 1-line block ×17, first 2 shown]
.LBB119_39:
	s_mov_b64 s[0:1], -1
	s_and_b64 vcc, exec, s[8:9]
	s_waitcnt vmcnt(0) lgkmcnt(0)
	s_barrier
	s_cbranch_vccz .LBB119_43
; %bb.40:
	s_add_u32 s0, s40, s35
	s_addc_u32 s1, s41, 0
	v_mov_b32_e32 v2, s1
	v_add_co_u32_e32 v18, vcc, s0, v0
	s_movk_i32 s0, 0x100
	v_addc_co_u32_e32 v19, vcc, 0, v2, vcc
	v_add_co_u32_e64 v20, s[0:1], s0, v18
	v_addc_co_u32_e64 v21, s[0:1], 0, v19, s[0:1]
	s_movk_i32 s2, 0x200
	v_cmp_eq_u64_e64 s[0:1], s[38:39], v[20:21]
	v_add_co_u32_e64 v20, s[2:3], s2, v18
	v_cmp_eq_u64_e32 vcc, s[38:39], v[18:19]
	v_addc_co_u32_e64 v21, s[2:3], 0, v19, s[2:3]
	v_cmp_eq_u64_e64 s[2:3], s[38:39], v[20:21]
	s_or_b64 s[6:7], vcc, s[0:1]
	s_or_b64 s[10:11], s[2:3], s[6:7]
	s_movk_i32 s6, 0x300
	v_add_co_u32_e32 v20, vcc, s6, v18
	v_addc_co_u32_e32 v21, vcc, 0, v19, vcc
	s_movk_i32 s8, 0x400
	v_cmp_eq_u64_e64 s[6:7], s[38:39], v[20:21]
	v_add_co_u32_e32 v20, vcc, s8, v18
	v_addc_co_u32_e32 v21, vcc, 0, v19, vcc
	v_cmp_eq_u64_e64 s[8:9], s[38:39], v[20:21]
	s_or_b64 s[10:11], s[6:7], s[10:11]
	s_or_b64 s[14:15], s[8:9], s[10:11]
	s_movk_i32 s10, 0x500
	v_add_co_u32_e32 v20, vcc, s10, v18
	v_addc_co_u32_e32 v21, vcc, 0, v19, vcc
	s_movk_i32 s12, 0x600
	v_cmp_eq_u64_e64 s[10:11], s[38:39], v[20:21]
	v_add_co_u32_e32 v20, vcc, s12, v18
	v_addc_co_u32_e32 v21, vcc, 0, v19, vcc
	v_cmp_eq_u64_e64 s[12:13], s[38:39], v[20:21]
	s_or_b64 s[14:15], s[10:11], s[14:15]
	;; [unrolled: 10-line block ×5, first 2 shown]
	s_or_b64 s[28:29], s[24:25], s[26:27]
	s_movk_i32 s26, 0xd00
	v_add_co_u32_e32 v20, vcc, s26, v18
	v_addc_co_u32_e32 v21, vcc, 0, v19, vcc
	v_add_co_u32_e32 v18, vcc, 0xe00, v18
	v_cmp_eq_u64_e64 s[26:27], s[38:39], v[20:21]
	v_addc_co_u32_e32 v19, vcc, 0, v19, vcc
	v_cmp_eq_u64_e32 vcc, s[38:39], v[18:19]
	s_or_b64 s[28:29], s[26:27], s[28:29]
	v_mov_b32_e32 v1, 0
	s_or_b64 s[42:43], vcc, s[28:29]
	ds_write2_b32 v32, v3, v4 offset1:1
	ds_write2_b32 v32, v5, v6 offset0:2 offset1:3
	ds_write2_b32 v32, v7, v8 offset0:4 offset1:5
	;; [unrolled: 1-line block ×6, first 2 shown]
	ds_write_b32 v32, v17 offset:56
	s_waitcnt lgkmcnt(0)
	s_barrier
	s_and_saveexec_b64 s[28:29], s[42:43]
	s_cbranch_execz .LBB119_42
; %bb.41:
	ds_read_b32 v2, v31 offset:14336
	ds_read2st64_b32 v[18:19], v31 offset0:48 offset1:52
	ds_read2st64_b32 v[20:21], v31 offset0:40 offset1:44
	ds_read2st64_b32 v[22:23], v31 offset1:4
	ds_read2st64_b32 v[24:25], v31 offset0:8 offset1:12
	ds_read2st64_b32 v[26:27], v31 offset0:32 offset1:36
	ds_read2st64_b32 v[28:29], v31 offset0:16 offset1:20
	ds_read2st64_b32 v[33:34], v31 offset0:24 offset1:28
	s_waitcnt lgkmcnt(4)
	v_cndmask_b32_e64 v22, v22, v23, s[0:1]
	s_waitcnt lgkmcnt(3)
	v_cndmask_b32_e64 v22, v22, v24, s[2:3]
	v_cndmask_b32_e64 v22, v22, v25, s[6:7]
	s_waitcnt lgkmcnt(1)
	v_cndmask_b32_e64 v22, v22, v28, s[8:9]
	;; [unrolled: 3-line block ×3, first 2 shown]
	v_cndmask_b32_e64 v22, v22, v34, s[14:15]
	v_cndmask_b32_e64 v22, v22, v26, s[16:17]
	;; [unrolled: 1-line block ×7, first 2 shown]
	v_cndmask_b32_e32 v2, v18, v2, vcc
	global_store_dword v1, v2, s[36:37]
.LBB119_42:
	s_or_b64 exec, exec, s[28:29]
	s_mov_b64 s[0:1], 0
.LBB119_43:
	s_andn2_b64 vcc, exec, s[0:1]
	s_cbranch_vccnz .LBB119_101
; %bb.44:
	ds_write2_b32 v32, v3, v4 offset1:1
	ds_write2_b32 v32, v5, v6 offset0:2 offset1:3
	ds_write2_b32 v32, v7, v8 offset0:4 offset1:5
	;; [unrolled: 1-line block ×6, first 2 shown]
	ds_write_b32 v32, v17 offset:56
	v_add_co_u32_e32 v17, vcc, s35, v0
	v_addc_co_u32_e64 v18, s[0:1], 0, 0, vcc
	v_mov_b32_e32 v19, s41
	v_add_co_u32_e32 v17, vcc, s40, v17
	v_addc_co_u32_e32 v18, vcc, v18, v19, vcc
	v_cmp_eq_u64_e32 vcc, s[38:39], v[17:18]
	v_cmp_gt_u32_e64 s[0:1], s33, v0
	s_and_b64 s[2:3], s[0:1], vcc
	s_movk_i32 s0, 0x100
	v_add_co_u32_e32 v19, vcc, s0, v17
	v_addc_co_u32_e32 v20, vcc, 0, v18, vcc
	v_or_b32_e32 v21, 0x100, v0
	v_cmp_eq_u64_e32 vcc, s[38:39], v[19:20]
	v_cmp_gt_u32_e64 s[0:1], s33, v21
	s_and_b64 s[0:1], s[0:1], vcc
	s_or_b64 s[6:7], s[2:3], s[0:1]
	s_movk_i32 s2, 0x200
	v_add_co_u32_e32 v19, vcc, s2, v17
	v_addc_co_u32_e32 v20, vcc, 0, v18, vcc
	v_or_b32_e32 v21, 0x200, v0
	v_cmp_eq_u64_e32 vcc, s[38:39], v[19:20]
	v_cmp_gt_u32_e64 s[2:3], s33, v21
	s_and_b64 s[2:3], s[2:3], vcc
	s_or_b64 s[8:9], s[2:3], s[6:7]
	;; [unrolled: 8-line block ×11, first 2 shown]
	s_movk_i32 s24, 0xc00
	v_add_co_u32_e32 v19, vcc, s24, v17
	v_addc_co_u32_e32 v20, vcc, 0, v18, vcc
	v_or_b32_e32 v21, 0xc00, v0
	v_cmp_eq_u64_e32 vcc, s[38:39], v[19:20]
	v_cmp_gt_u32_e64 s[24:25], s33, v21
	s_and_b64 s[24:25], s[24:25], vcc
	s_waitcnt vmcnt(0) lgkmcnt(0)
	s_barrier
	ds_read2st64_b32 v[4:5], v31 offset1:4
	ds_read2st64_b32 v[8:9], v31 offset0:8 offset1:12
	ds_read2st64_b32 v[6:7], v31 offset0:16 offset1:20
	;; [unrolled: 1-line block ×6, first 2 shown]
	ds_read_b32 v16, v31 offset:14336
	s_or_b64 s[28:29], s[24:25], s[26:27]
	s_movk_i32 s26, 0xd00
	v_add_co_u32_e32 v19, vcc, s26, v17
	v_addc_co_u32_e32 v20, vcc, 0, v18, vcc
	v_or_b32_e32 v21, 0xd00, v0
	v_cmp_eq_u64_e32 vcc, s[38:39], v[19:20]
	v_cmp_gt_u32_e64 s[26:27], s33, v21
	s_and_b64 s[26:27], s[26:27], vcc
	v_add_co_u32_e32 v17, vcc, 0xe00, v17
	v_addc_co_u32_e32 v18, vcc, 0, v18, vcc
	v_or_b32_e32 v19, 0xe00, v0
	v_cmp_eq_u64_e32 vcc, s[38:39], v[17:18]
	s_or_b64 s[40:41], s[26:27], s[28:29]
	v_cmp_gt_u32_e64 s[28:29], s33, v19
	s_and_b64 vcc, s[28:29], vcc
	v_mov_b32_e32 v1, 0
	s_or_b64 s[38:39], vcc, s[40:41]
	s_and_saveexec_b64 s[28:29], s[38:39]
	s_cbranch_execz .LBB119_46
; %bb.45:
	s_waitcnt lgkmcnt(7)
	v_cndmask_b32_e64 v17, v4, v5, s[0:1]
	s_waitcnt lgkmcnt(6)
	v_cndmask_b32_e64 v17, v17, v8, s[2:3]
	v_cndmask_b32_e64 v17, v17, v9, s[6:7]
	s_waitcnt lgkmcnt(5)
	v_cndmask_b32_e64 v17, v17, v6, s[8:9]
	;; [unrolled: 3-line block ×6, first 2 shown]
	v_cndmask_b32_e64 v17, v17, v13, s[26:27]
	s_waitcnt lgkmcnt(0)
	v_cndmask_b32_e32 v17, v17, v16, vcc
	global_store_dword v1, v17, s[36:37]
.LBB119_46:
	s_or_b64 exec, exec, s[28:29]
	s_load_dword s0, s[4:5], 0x50
	s_waitcnt lgkmcnt(0)
	s_bfe_u32 s0, s0, 0x10008
	s_cmp_eq_u32 s0, 0
	s_cbranch_scc1 .LBB119_101
; %bb.47:
	s_add_u32 s0, s33, -1
	s_addc_u32 s1, s34, -1
	s_mul_i32 s5, s1, 0x88888889
	s_mul_hi_u32 s6, s0, 0x88888889
	s_mul_hi_u32 s4, s1, 0x88888889
	s_add_u32 s5, s5, s6
	s_mul_i32 s3, s0, 0x88888888
	s_addc_u32 s4, s4, 0
	s_mul_hi_u32 s2, s0, 0x88888888
	s_add_u32 s3, s3, s5
	s_addc_u32 s2, s2, 0
	s_add_u32 s2, s4, s2
	s_addc_u32 s3, 0, 0
	s_mul_i32 s5, s1, 0x88888888
	s_mul_hi_u32 s4, s1, 0x88888888
	s_add_u32 s2, s5, s2
	s_addc_u32 s3, s4, s3
	s_lshr_b64 s[2:3], s[2:3], 3
	v_cmp_eq_u64_e32 vcc, s[2:3], v[0:1]
	s_and_saveexec_b64 s[2:3], vcc
	s_cbranch_execz .LBB119_101
; %bb.48:
	v_mul_hi_u32_u24_e32 v1, 15, v0
	v_mul_u32_u24_e32 v0, 15, v0
	v_mov_b32_e32 v17, s1
	v_sub_co_u32_e32 v0, vcc, s0, v0
	v_subb_co_u32_e32 v1, vcc, v17, v1, vcc
	v_cmp_lt_i64_e32 vcc, 7, v[0:1]
	s_and_saveexec_b64 s[0:1], vcc
	s_xor_b64 s[0:1], exec, s[0:1]
	s_cbranch_execz .LBB119_74
; %bb.49:
	v_cmp_lt_i64_e32 vcc, 10, v[0:1]
	s_and_saveexec_b64 s[2:3], vcc
	s_xor_b64 s[2:3], exec, s[2:3]
	s_cbranch_execz .LBB119_63
; %bb.50:
	;; [unrolled: 5-line block ×4, first 2 shown]
	v_mov_b32_e32 v0, 0
	global_store_dword v0, v16, s[30:31]
                                        ; implicit-def: $vgpr12_vgpr13
.LBB119_53:
	s_andn2_saveexec_b64 s[6:7], s[6:7]
	s_cbranch_execz .LBB119_55
; %bb.54:
	v_mov_b32_e32 v0, 0
	global_store_dword v0, v13, s[30:31]
.LBB119_55:
	s_or_b64 exec, exec, s[6:7]
                                        ; implicit-def: $vgpr2_vgpr3
                                        ; implicit-def: $vgpr0_vgpr1
                                        ; implicit-def: $vgpr12_vgpr13
.LBB119_56:
	s_andn2_saveexec_b64 s[4:5], s[4:5]
	s_cbranch_execz .LBB119_62
; %bb.57:
	v_cmp_lt_i64_e32 vcc, 11, v[0:1]
	s_and_saveexec_b64 s[6:7], vcc
	s_xor_b64 s[6:7], exec, s[6:7]
	s_cbranch_execz .LBB119_59
; %bb.58:
	v_mov_b32_e32 v0, 0
	global_store_dword v0, v12, s[30:31]
                                        ; implicit-def: $vgpr2_vgpr3
.LBB119_59:
	s_andn2_saveexec_b64 s[6:7], s[6:7]
	s_cbranch_execz .LBB119_61
; %bb.60:
	v_mov_b32_e32 v0, 0
	global_store_dword v0, v3, s[30:31]
.LBB119_61:
	s_or_b64 exec, exec, s[6:7]
.LBB119_62:
	s_or_b64 exec, exec, s[4:5]
                                        ; implicit-def: $vgpr10_vgpr11
                                        ; implicit-def: $vgpr0_vgpr1
                                        ; implicit-def: $vgpr2_vgpr3
.LBB119_63:
	s_andn2_saveexec_b64 s[2:3], s[2:3]
	s_cbranch_execz .LBB119_73
; %bb.64:
	v_cmp_lt_i64_e32 vcc, 8, v[0:1]
	s_and_saveexec_b64 s[4:5], vcc
	s_xor_b64 s[4:5], exec, s[4:5]
	s_cbranch_execz .LBB119_70
; %bb.65:
	v_cmp_lt_i64_e32 vcc, 9, v[0:1]
	s_and_saveexec_b64 s[6:7], vcc
	s_xor_b64 s[6:7], exec, s[6:7]
	s_cbranch_execz .LBB119_67
; %bb.66:
	v_mov_b32_e32 v0, 0
	global_store_dword v0, v2, s[30:31]
                                        ; implicit-def: $vgpr10_vgpr11
.LBB119_67:
	s_andn2_saveexec_b64 s[6:7], s[6:7]
	s_cbranch_execz .LBB119_69
; %bb.68:
	v_mov_b32_e32 v0, 0
	global_store_dword v0, v11, s[30:31]
.LBB119_69:
	s_or_b64 exec, exec, s[6:7]
                                        ; implicit-def: $vgpr10_vgpr11
.LBB119_70:
	s_andn2_saveexec_b64 s[4:5], s[4:5]
	s_cbranch_execz .LBB119_72
; %bb.71:
	v_mov_b32_e32 v0, 0
	global_store_dword v0, v10, s[30:31]
.LBB119_72:
	s_or_b64 exec, exec, s[4:5]
.LBB119_73:
	s_or_b64 exec, exec, s[2:3]
                                        ; implicit-def: $vgpr0_vgpr1
                                        ; implicit-def: $vgpr4_vgpr5
                                        ; implicit-def: $vgpr6_vgpr7
                                        ; implicit-def: $vgpr8_vgpr9
                                        ; implicit-def: $vgpr14_vgpr15
.LBB119_74:
	s_andn2_saveexec_b64 s[0:1], s[0:1]
	s_cbranch_execz .LBB119_101
; %bb.75:
	v_cmp_lt_i64_e32 vcc, 3, v[0:1]
	s_and_saveexec_b64 s[0:1], vcc
	s_xor_b64 s[0:1], exec, s[0:1]
	s_cbranch_execz .LBB119_89
; %bb.76:
	v_cmp_lt_i64_e32 vcc, 5, v[0:1]
	s_and_saveexec_b64 s[2:3], vcc
	s_xor_b64 s[2:3], exec, s[2:3]
	;; [unrolled: 5-line block ×3, first 2 shown]
	s_cbranch_execz .LBB119_79
; %bb.78:
	v_mov_b32_e32 v0, 0
	global_store_dword v0, v15, s[30:31]
                                        ; implicit-def: $vgpr14_vgpr15
.LBB119_79:
	s_andn2_saveexec_b64 s[4:5], s[4:5]
	s_cbranch_execz .LBB119_81
; %bb.80:
	v_mov_b32_e32 v0, 0
	global_store_dword v0, v14, s[30:31]
.LBB119_81:
	s_or_b64 exec, exec, s[4:5]
                                        ; implicit-def: $vgpr6_vgpr7
                                        ; implicit-def: $vgpr0_vgpr1
.LBB119_82:
	s_andn2_saveexec_b64 s[2:3], s[2:3]
	s_cbranch_execz .LBB119_88
; %bb.83:
	v_cmp_lt_i64_e32 vcc, 4, v[0:1]
	s_and_saveexec_b64 s[4:5], vcc
	s_xor_b64 s[4:5], exec, s[4:5]
	s_cbranch_execz .LBB119_85
; %bb.84:
	v_mov_b32_e32 v0, 0
	global_store_dword v0, v7, s[30:31]
                                        ; implicit-def: $vgpr6_vgpr7
.LBB119_85:
	s_andn2_saveexec_b64 s[4:5], s[4:5]
	s_cbranch_execz .LBB119_87
; %bb.86:
	v_mov_b32_e32 v0, 0
	global_store_dword v0, v6, s[30:31]
.LBB119_87:
	s_or_b64 exec, exec, s[4:5]
.LBB119_88:
	s_or_b64 exec, exec, s[2:3]
                                        ; implicit-def: $vgpr0_vgpr1
                                        ; implicit-def: $vgpr4_vgpr5
                                        ; implicit-def: $vgpr8_vgpr9
.LBB119_89:
	s_andn2_saveexec_b64 s[0:1], s[0:1]
	s_cbranch_execz .LBB119_101
; %bb.90:
	v_cmp_lt_i64_e32 vcc, 1, v[0:1]
	s_and_saveexec_b64 s[0:1], vcc
	s_xor_b64 s[0:1], exec, s[0:1]
	s_cbranch_execz .LBB119_96
; %bb.91:
	v_cmp_lt_i64_e32 vcc, 2, v[0:1]
	s_and_saveexec_b64 s[2:3], vcc
	s_xor_b64 s[2:3], exec, s[2:3]
	s_cbranch_execz .LBB119_93
; %bb.92:
	v_mov_b32_e32 v0, 0
	global_store_dword v0, v9, s[30:31]
                                        ; implicit-def: $vgpr8_vgpr9
.LBB119_93:
	s_andn2_saveexec_b64 s[2:3], s[2:3]
	s_cbranch_execz .LBB119_95
; %bb.94:
	v_mov_b32_e32 v0, 0
	global_store_dword v0, v8, s[30:31]
.LBB119_95:
	s_or_b64 exec, exec, s[2:3]
                                        ; implicit-def: $vgpr4_vgpr5
                                        ; implicit-def: $vgpr0_vgpr1
.LBB119_96:
	s_andn2_saveexec_b64 s[0:1], s[0:1]
	s_cbranch_execz .LBB119_101
; %bb.97:
	v_cmp_ne_u64_e32 vcc, 1, v[0:1]
	s_and_saveexec_b64 s[0:1], vcc
	s_xor_b64 s[0:1], exec, s[0:1]
	s_cbranch_execz .LBB119_99
; %bb.98:
	v_mov_b32_e32 v0, 0
	global_store_dword v0, v4, s[30:31]
                                        ; implicit-def: $vgpr4_vgpr5
.LBB119_99:
	s_andn2_saveexec_b64 s[0:1], s[0:1]
	s_cbranch_execz .LBB119_101
; %bb.100:
	v_mov_b32_e32 v0, 0
	global_store_dword v0, v5, s[30:31]
.LBB119_101:
	s_endpgm
	.section	.rodata,"a",@progbits
	.p2align	6, 0x0
	.amdhsa_kernel _ZN7rocprim6detail20lookback_scan_kernelILNS0_25lookback_scan_determinismE0ELb0ENS0_19wrapped_scan_configINS_14default_configEjEEN6hipcub21CountingInputIteratorIjlEEN10test_utils21single_index_iteratorIjEENS6_3SumEjjNS0_19lookback_scan_stateIjLb0ELb1EEEEEvT2_T3_mT5_T4_T7_jPT6_SL_bb
		.amdhsa_group_segment_fixed_size 15360
		.amdhsa_private_segment_fixed_size 0
		.amdhsa_kernarg_size 84
		.amdhsa_user_sgpr_count 6
		.amdhsa_user_sgpr_private_segment_buffer 1
		.amdhsa_user_sgpr_dispatch_ptr 0
		.amdhsa_user_sgpr_queue_ptr 0
		.amdhsa_user_sgpr_kernarg_segment_ptr 1
		.amdhsa_user_sgpr_dispatch_id 0
		.amdhsa_user_sgpr_flat_scratch_init 0
		.amdhsa_user_sgpr_private_segment_size 0
		.amdhsa_uses_dynamic_stack 0
		.amdhsa_system_sgpr_private_segment_wavefront_offset 0
		.amdhsa_system_sgpr_workgroup_id_x 1
		.amdhsa_system_sgpr_workgroup_id_y 0
		.amdhsa_system_sgpr_workgroup_id_z 0
		.amdhsa_system_sgpr_workgroup_info 0
		.amdhsa_system_vgpr_workitem_id 0
		.amdhsa_next_free_vgpr 49
		.amdhsa_next_free_sgpr 98
		.amdhsa_reserve_vcc 1
		.amdhsa_reserve_flat_scratch 0
		.amdhsa_float_round_mode_32 0
		.amdhsa_float_round_mode_16_64 0
		.amdhsa_float_denorm_mode_32 3
		.amdhsa_float_denorm_mode_16_64 3
		.amdhsa_dx10_clamp 1
		.amdhsa_ieee_mode 1
		.amdhsa_fp16_overflow 0
		.amdhsa_exception_fp_ieee_invalid_op 0
		.amdhsa_exception_fp_denorm_src 0
		.amdhsa_exception_fp_ieee_div_zero 0
		.amdhsa_exception_fp_ieee_overflow 0
		.amdhsa_exception_fp_ieee_underflow 0
		.amdhsa_exception_fp_ieee_inexact 0
		.amdhsa_exception_int_div_zero 0
	.end_amdhsa_kernel
	.section	.text._ZN7rocprim6detail20lookback_scan_kernelILNS0_25lookback_scan_determinismE0ELb0ENS0_19wrapped_scan_configINS_14default_configEjEEN6hipcub21CountingInputIteratorIjlEEN10test_utils21single_index_iteratorIjEENS6_3SumEjjNS0_19lookback_scan_stateIjLb0ELb1EEEEEvT2_T3_mT5_T4_T7_jPT6_SL_bb,"axG",@progbits,_ZN7rocprim6detail20lookback_scan_kernelILNS0_25lookback_scan_determinismE0ELb0ENS0_19wrapped_scan_configINS_14default_configEjEEN6hipcub21CountingInputIteratorIjlEEN10test_utils21single_index_iteratorIjEENS6_3SumEjjNS0_19lookback_scan_stateIjLb0ELb1EEEEEvT2_T3_mT5_T4_T7_jPT6_SL_bb,comdat
.Lfunc_end119:
	.size	_ZN7rocprim6detail20lookback_scan_kernelILNS0_25lookback_scan_determinismE0ELb0ENS0_19wrapped_scan_configINS_14default_configEjEEN6hipcub21CountingInputIteratorIjlEEN10test_utils21single_index_iteratorIjEENS6_3SumEjjNS0_19lookback_scan_stateIjLb0ELb1EEEEEvT2_T3_mT5_T4_T7_jPT6_SL_bb, .Lfunc_end119-_ZN7rocprim6detail20lookback_scan_kernelILNS0_25lookback_scan_determinismE0ELb0ENS0_19wrapped_scan_configINS_14default_configEjEEN6hipcub21CountingInputIteratorIjlEEN10test_utils21single_index_iteratorIjEENS6_3SumEjjNS0_19lookback_scan_stateIjLb0ELb1EEEEEvT2_T3_mT5_T4_T7_jPT6_SL_bb
                                        ; -- End function
	.set _ZN7rocprim6detail20lookback_scan_kernelILNS0_25lookback_scan_determinismE0ELb0ENS0_19wrapped_scan_configINS_14default_configEjEEN6hipcub21CountingInputIteratorIjlEEN10test_utils21single_index_iteratorIjEENS6_3SumEjjNS0_19lookback_scan_stateIjLb0ELb1EEEEEvT2_T3_mT5_T4_T7_jPT6_SL_bb.num_vgpr, 44
	.set _ZN7rocprim6detail20lookback_scan_kernelILNS0_25lookback_scan_determinismE0ELb0ENS0_19wrapped_scan_configINS_14default_configEjEEN6hipcub21CountingInputIteratorIjlEEN10test_utils21single_index_iteratorIjEENS6_3SumEjjNS0_19lookback_scan_stateIjLb0ELb1EEEEEvT2_T3_mT5_T4_T7_jPT6_SL_bb.num_agpr, 0
	.set _ZN7rocprim6detail20lookback_scan_kernelILNS0_25lookback_scan_determinismE0ELb0ENS0_19wrapped_scan_configINS_14default_configEjEEN6hipcub21CountingInputIteratorIjlEEN10test_utils21single_index_iteratorIjEENS6_3SumEjjNS0_19lookback_scan_stateIjLb0ELb1EEEEEvT2_T3_mT5_T4_T7_jPT6_SL_bb.numbered_sgpr, 44
	.set _ZN7rocprim6detail20lookback_scan_kernelILNS0_25lookback_scan_determinismE0ELb0ENS0_19wrapped_scan_configINS_14default_configEjEEN6hipcub21CountingInputIteratorIjlEEN10test_utils21single_index_iteratorIjEENS6_3SumEjjNS0_19lookback_scan_stateIjLb0ELb1EEEEEvT2_T3_mT5_T4_T7_jPT6_SL_bb.num_named_barrier, 0
	.set _ZN7rocprim6detail20lookback_scan_kernelILNS0_25lookback_scan_determinismE0ELb0ENS0_19wrapped_scan_configINS_14default_configEjEEN6hipcub21CountingInputIteratorIjlEEN10test_utils21single_index_iteratorIjEENS6_3SumEjjNS0_19lookback_scan_stateIjLb0ELb1EEEEEvT2_T3_mT5_T4_T7_jPT6_SL_bb.private_seg_size, 0
	.set _ZN7rocprim6detail20lookback_scan_kernelILNS0_25lookback_scan_determinismE0ELb0ENS0_19wrapped_scan_configINS_14default_configEjEEN6hipcub21CountingInputIteratorIjlEEN10test_utils21single_index_iteratorIjEENS6_3SumEjjNS0_19lookback_scan_stateIjLb0ELb1EEEEEvT2_T3_mT5_T4_T7_jPT6_SL_bb.uses_vcc, 1
	.set _ZN7rocprim6detail20lookback_scan_kernelILNS0_25lookback_scan_determinismE0ELb0ENS0_19wrapped_scan_configINS_14default_configEjEEN6hipcub21CountingInputIteratorIjlEEN10test_utils21single_index_iteratorIjEENS6_3SumEjjNS0_19lookback_scan_stateIjLb0ELb1EEEEEvT2_T3_mT5_T4_T7_jPT6_SL_bb.uses_flat_scratch, 0
	.set _ZN7rocprim6detail20lookback_scan_kernelILNS0_25lookback_scan_determinismE0ELb0ENS0_19wrapped_scan_configINS_14default_configEjEEN6hipcub21CountingInputIteratorIjlEEN10test_utils21single_index_iteratorIjEENS6_3SumEjjNS0_19lookback_scan_stateIjLb0ELb1EEEEEvT2_T3_mT5_T4_T7_jPT6_SL_bb.has_dyn_sized_stack, 0
	.set _ZN7rocprim6detail20lookback_scan_kernelILNS0_25lookback_scan_determinismE0ELb0ENS0_19wrapped_scan_configINS_14default_configEjEEN6hipcub21CountingInputIteratorIjlEEN10test_utils21single_index_iteratorIjEENS6_3SumEjjNS0_19lookback_scan_stateIjLb0ELb1EEEEEvT2_T3_mT5_T4_T7_jPT6_SL_bb.has_recursion, 0
	.set _ZN7rocprim6detail20lookback_scan_kernelILNS0_25lookback_scan_determinismE0ELb0ENS0_19wrapped_scan_configINS_14default_configEjEEN6hipcub21CountingInputIteratorIjlEEN10test_utils21single_index_iteratorIjEENS6_3SumEjjNS0_19lookback_scan_stateIjLb0ELb1EEEEEvT2_T3_mT5_T4_T7_jPT6_SL_bb.has_indirect_call, 0
	.section	.AMDGPU.csdata,"",@progbits
; Kernel info:
; codeLenInByte = 5416
; TotalNumSgprs: 48
; NumVgprs: 44
; ScratchSize: 0
; MemoryBound: 0
; FloatMode: 240
; IeeeMode: 1
; LDSByteSize: 15360 bytes/workgroup (compile time only)
; SGPRBlocks: 12
; VGPRBlocks: 12
; NumSGPRsForWavesPerEU: 102
; NumVGPRsForWavesPerEU: 49
; Occupancy: 4
; WaveLimiterHint : 0
; COMPUTE_PGM_RSRC2:SCRATCH_EN: 0
; COMPUTE_PGM_RSRC2:USER_SGPR: 6
; COMPUTE_PGM_RSRC2:TRAP_HANDLER: 0
; COMPUTE_PGM_RSRC2:TGID_X_EN: 1
; COMPUTE_PGM_RSRC2:TGID_Y_EN: 0
; COMPUTE_PGM_RSRC2:TGID_Z_EN: 0
; COMPUTE_PGM_RSRC2:TIDIG_COMP_CNT: 0
	.section	.text._ZN7rocprim6detail16transform_kernelINS0_24wrapped_transform_configINS_14default_configEjEEjPjS5_NS_8identityIjEEEEvT1_mT2_T3_,"axG",@progbits,_ZN7rocprim6detail16transform_kernelINS0_24wrapped_transform_configINS_14default_configEjEEjPjS5_NS_8identityIjEEEEvT1_mT2_T3_,comdat
	.protected	_ZN7rocprim6detail16transform_kernelINS0_24wrapped_transform_configINS_14default_configEjEEjPjS5_NS_8identityIjEEEEvT1_mT2_T3_ ; -- Begin function _ZN7rocprim6detail16transform_kernelINS0_24wrapped_transform_configINS_14default_configEjEEjPjS5_NS_8identityIjEEEEvT1_mT2_T3_
	.globl	_ZN7rocprim6detail16transform_kernelINS0_24wrapped_transform_configINS_14default_configEjEEjPjS5_NS_8identityIjEEEEvT1_mT2_T3_
	.p2align	8
	.type	_ZN7rocprim6detail16transform_kernelINS0_24wrapped_transform_configINS_14default_configEjEEjPjS5_NS_8identityIjEEEEvT1_mT2_T3_,@function
_ZN7rocprim6detail16transform_kernelINS0_24wrapped_transform_configINS_14default_configEjEEjPjS5_NS_8identityIjEEEEvT1_mT2_T3_: ; @_ZN7rocprim6detail16transform_kernelINS0_24wrapped_transform_configINS_14default_configEjEEjPjS5_NS_8identityIjEEEEvT1_mT2_T3_
; %bb.0:
	s_load_dword s7, s[4:5], 0x20
	s_load_dwordx4 s[0:3], s[4:5], 0x0
	s_load_dwordx2 s[8:9], s[4:5], 0x10
	s_lshl_b32 s10, s6, 11
	s_mov_b32 s11, 0
	s_waitcnt lgkmcnt(0)
	s_add_i32 s7, s7, -1
	s_lshl_b64 s[4:5], s[10:11], 2
	s_add_u32 s0, s0, s4
	s_addc_u32 s1, s1, s5
	v_lshlrev_b32_e32 v5, 2, v0
	v_mov_b32_e32 v2, s1
	v_add_co_u32_e32 v1, vcc, s0, v5
	s_cmp_lg_u32 s6, s7
	v_addc_co_u32_e32 v2, vcc, 0, v2, vcc
	s_cbranch_scc0 .LBB120_2
; %bb.1:
	v_add_co_u32_e32 v3, vcc, 0x1000, v1
	global_load_dword v6, v[1:2], off
	v_addc_co_u32_e32 v4, vcc, 0, v2, vcc
	global_load_dword v3, v[3:4], off
	s_add_u32 s0, s8, s4
	s_addc_u32 s1, s9, s5
	s_mov_b64 s[6:7], -1
	s_waitcnt vmcnt(1)
	global_store_dword v5, v6, s[0:1]
	s_cbranch_execz .LBB120_3
	s_branch .LBB120_10
.LBB120_2:
	s_mov_b64 s[6:7], 0
                                        ; implicit-def: $vgpr3
.LBB120_3:
	s_sub_i32 s10, s2, s10
	s_waitcnt vmcnt(1)
	v_mov_b32_e32 v3, 0
	v_cmp_gt_u32_e64 s[0:1], s10, v0
	v_mov_b32_e32 v4, v3
	s_and_saveexec_b64 s[2:3], s[0:1]
	s_cbranch_execz .LBB120_5
; %bb.4:
	global_load_dword v6, v[1:2], off
	v_mov_b32_e32 v7, v3
	s_waitcnt vmcnt(0)
	v_mov_b32_e32 v3, v6
	v_mov_b32_e32 v4, v7
.LBB120_5:
	s_or_b64 exec, exec, s[2:3]
	v_or_b32_e32 v0, 0x400, v0
	v_cmp_gt_u32_e64 s[2:3], s10, v0
	s_and_saveexec_b64 s[10:11], s[2:3]
	s_cbranch_execnz .LBB120_13
; %bb.6:
	s_or_b64 exec, exec, s[10:11]
	v_cndmask_b32_e64 v0, 0, v3, s[0:1]
	s_and_saveexec_b64 s[10:11], s[0:1]
	s_cbranch_execnz .LBB120_14
.LBB120_7:
	s_or_b64 exec, exec, s[10:11]
                                        ; implicit-def: $vgpr3
	s_and_saveexec_b64 s[0:1], s[2:3]
	s_cbranch_execz .LBB120_9
.LBB120_8:
	s_waitcnt vmcnt(0)
	v_cndmask_b32_e64 v3, 0, v4, s[2:3]
	s_or_b64 s[6:7], s[6:7], exec
.LBB120_9:
	s_or_b64 exec, exec, s[0:1]
.LBB120_10:
	s_and_saveexec_b64 s[0:1], s[6:7]
	s_cbranch_execnz .LBB120_12
; %bb.11:
	s_endpgm
.LBB120_12:
	s_add_u32 s0, s8, s4
	s_addc_u32 s1, s9, s5
	v_mov_b32_e32 v0, s1
	v_add_co_u32_e32 v1, vcc, s0, v5
	v_addc_co_u32_e32 v2, vcc, 0, v0, vcc
	v_add_co_u32_e32 v0, vcc, 0x1000, v1
	v_addc_co_u32_e32 v1, vcc, 0, v2, vcc
	s_waitcnt vmcnt(1)
	global_store_dword v[0:1], v3, off
	s_endpgm
.LBB120_13:
	v_add_co_u32_e32 v0, vcc, 0x1000, v1
	v_addc_co_u32_e32 v1, vcc, 0, v2, vcc
	global_load_dword v4, v[0:1], off
	s_or_b64 exec, exec, s[10:11]
	v_cndmask_b32_e64 v0, 0, v3, s[0:1]
	s_and_saveexec_b64 s[10:11], s[0:1]
	s_cbranch_execz .LBB120_7
.LBB120_14:
	s_add_u32 s0, s8, s4
	s_addc_u32 s1, s9, s5
	global_store_dword v5, v0, s[0:1]
	s_or_b64 exec, exec, s[10:11]
                                        ; implicit-def: $vgpr3
	s_and_saveexec_b64 s[0:1], s[2:3]
	s_cbranch_execnz .LBB120_8
	s_branch .LBB120_9
	.section	.rodata,"a",@progbits
	.p2align	6, 0x0
	.amdhsa_kernel _ZN7rocprim6detail16transform_kernelINS0_24wrapped_transform_configINS_14default_configEjEEjPjS5_NS_8identityIjEEEEvT1_mT2_T3_
		.amdhsa_group_segment_fixed_size 0
		.amdhsa_private_segment_fixed_size 0
		.amdhsa_kernarg_size 288
		.amdhsa_user_sgpr_count 6
		.amdhsa_user_sgpr_private_segment_buffer 1
		.amdhsa_user_sgpr_dispatch_ptr 0
		.amdhsa_user_sgpr_queue_ptr 0
		.amdhsa_user_sgpr_kernarg_segment_ptr 1
		.amdhsa_user_sgpr_dispatch_id 0
		.amdhsa_user_sgpr_flat_scratch_init 0
		.amdhsa_user_sgpr_private_segment_size 0
		.amdhsa_uses_dynamic_stack 0
		.amdhsa_system_sgpr_private_segment_wavefront_offset 0
		.amdhsa_system_sgpr_workgroup_id_x 1
		.amdhsa_system_sgpr_workgroup_id_y 0
		.amdhsa_system_sgpr_workgroup_id_z 0
		.amdhsa_system_sgpr_workgroup_info 0
		.amdhsa_system_vgpr_workitem_id 0
		.amdhsa_next_free_vgpr 8
		.amdhsa_next_free_sgpr 12
		.amdhsa_reserve_vcc 1
		.amdhsa_reserve_flat_scratch 0
		.amdhsa_float_round_mode_32 0
		.amdhsa_float_round_mode_16_64 0
		.amdhsa_float_denorm_mode_32 3
		.amdhsa_float_denorm_mode_16_64 3
		.amdhsa_dx10_clamp 1
		.amdhsa_ieee_mode 1
		.amdhsa_fp16_overflow 0
		.amdhsa_exception_fp_ieee_invalid_op 0
		.amdhsa_exception_fp_denorm_src 0
		.amdhsa_exception_fp_ieee_div_zero 0
		.amdhsa_exception_fp_ieee_overflow 0
		.amdhsa_exception_fp_ieee_underflow 0
		.amdhsa_exception_fp_ieee_inexact 0
		.amdhsa_exception_int_div_zero 0
	.end_amdhsa_kernel
	.section	.text._ZN7rocprim6detail16transform_kernelINS0_24wrapped_transform_configINS_14default_configEjEEjPjS5_NS_8identityIjEEEEvT1_mT2_T3_,"axG",@progbits,_ZN7rocprim6detail16transform_kernelINS0_24wrapped_transform_configINS_14default_configEjEEjPjS5_NS_8identityIjEEEEvT1_mT2_T3_,comdat
.Lfunc_end120:
	.size	_ZN7rocprim6detail16transform_kernelINS0_24wrapped_transform_configINS_14default_configEjEEjPjS5_NS_8identityIjEEEEvT1_mT2_T3_, .Lfunc_end120-_ZN7rocprim6detail16transform_kernelINS0_24wrapped_transform_configINS_14default_configEjEEjPjS5_NS_8identityIjEEEEvT1_mT2_T3_
                                        ; -- End function
	.set _ZN7rocprim6detail16transform_kernelINS0_24wrapped_transform_configINS_14default_configEjEEjPjS5_NS_8identityIjEEEEvT1_mT2_T3_.num_vgpr, 8
	.set _ZN7rocprim6detail16transform_kernelINS0_24wrapped_transform_configINS_14default_configEjEEjPjS5_NS_8identityIjEEEEvT1_mT2_T3_.num_agpr, 0
	.set _ZN7rocprim6detail16transform_kernelINS0_24wrapped_transform_configINS_14default_configEjEEjPjS5_NS_8identityIjEEEEvT1_mT2_T3_.numbered_sgpr, 12
	.set _ZN7rocprim6detail16transform_kernelINS0_24wrapped_transform_configINS_14default_configEjEEjPjS5_NS_8identityIjEEEEvT1_mT2_T3_.num_named_barrier, 0
	.set _ZN7rocprim6detail16transform_kernelINS0_24wrapped_transform_configINS_14default_configEjEEjPjS5_NS_8identityIjEEEEvT1_mT2_T3_.private_seg_size, 0
	.set _ZN7rocprim6detail16transform_kernelINS0_24wrapped_transform_configINS_14default_configEjEEjPjS5_NS_8identityIjEEEEvT1_mT2_T3_.uses_vcc, 1
	.set _ZN7rocprim6detail16transform_kernelINS0_24wrapped_transform_configINS_14default_configEjEEjPjS5_NS_8identityIjEEEEvT1_mT2_T3_.uses_flat_scratch, 0
	.set _ZN7rocprim6detail16transform_kernelINS0_24wrapped_transform_configINS_14default_configEjEEjPjS5_NS_8identityIjEEEEvT1_mT2_T3_.has_dyn_sized_stack, 0
	.set _ZN7rocprim6detail16transform_kernelINS0_24wrapped_transform_configINS_14default_configEjEEjPjS5_NS_8identityIjEEEEvT1_mT2_T3_.has_recursion, 0
	.set _ZN7rocprim6detail16transform_kernelINS0_24wrapped_transform_configINS_14default_configEjEEjPjS5_NS_8identityIjEEEEvT1_mT2_T3_.has_indirect_call, 0
	.section	.AMDGPU.csdata,"",@progbits
; Kernel info:
; codeLenInByte = 408
; TotalNumSgprs: 16
; NumVgprs: 8
; ScratchSize: 0
; MemoryBound: 0
; FloatMode: 240
; IeeeMode: 1
; LDSByteSize: 0 bytes/workgroup (compile time only)
; SGPRBlocks: 1
; VGPRBlocks: 1
; NumSGPRsForWavesPerEU: 16
; NumVGPRsForWavesPerEU: 8
; Occupancy: 10
; WaveLimiterHint : 1
; COMPUTE_PGM_RSRC2:SCRATCH_EN: 0
; COMPUTE_PGM_RSRC2:USER_SGPR: 6
; COMPUTE_PGM_RSRC2:TRAP_HANDLER: 0
; COMPUTE_PGM_RSRC2:TGID_X_EN: 1
; COMPUTE_PGM_RSRC2:TGID_Y_EN: 0
; COMPUTE_PGM_RSRC2:TGID_Z_EN: 0
; COMPUTE_PGM_RSRC2:TIDIG_COMP_CNT: 0
	.section	.text._ZN7rocprim6detail18single_scan_kernelILb0ENS0_19wrapped_scan_configINS_14default_configEjEEN6hipcub21CountingInputIteratorIjlEEN10test_utils21single_index_iteratorIjEENS5_3SumEjjEEvT1_mT4_T2_T3_,"axG",@progbits,_ZN7rocprim6detail18single_scan_kernelILb0ENS0_19wrapped_scan_configINS_14default_configEjEEN6hipcub21CountingInputIteratorIjlEEN10test_utils21single_index_iteratorIjEENS5_3SumEjjEEvT1_mT4_T2_T3_,comdat
	.protected	_ZN7rocprim6detail18single_scan_kernelILb0ENS0_19wrapped_scan_configINS_14default_configEjEEN6hipcub21CountingInputIteratorIjlEEN10test_utils21single_index_iteratorIjEENS5_3SumEjjEEvT1_mT4_T2_T3_ ; -- Begin function _ZN7rocprim6detail18single_scan_kernelILb0ENS0_19wrapped_scan_configINS_14default_configEjEEN6hipcub21CountingInputIteratorIjlEEN10test_utils21single_index_iteratorIjEENS5_3SumEjjEEvT1_mT4_T2_T3_
	.globl	_ZN7rocprim6detail18single_scan_kernelILb0ENS0_19wrapped_scan_configINS_14default_configEjEEN6hipcub21CountingInputIteratorIjlEEN10test_utils21single_index_iteratorIjEENS5_3SumEjjEEvT1_mT4_T2_T3_
	.p2align	8
	.type	_ZN7rocprim6detail18single_scan_kernelILb0ENS0_19wrapped_scan_configINS_14default_configEjEEN6hipcub21CountingInputIteratorIjlEEN10test_utils21single_index_iteratorIjEENS5_3SumEjjEEvT1_mT4_T2_T3_,@function
_ZN7rocprim6detail18single_scan_kernelILb0ENS0_19wrapped_scan_configINS_14default_configEjEEN6hipcub21CountingInputIteratorIjlEEN10test_utils21single_index_iteratorIjEENS5_3SumEjjEEvT1_mT4_T2_T3_: ; @_ZN7rocprim6detail18single_scan_kernelILb0ENS0_19wrapped_scan_configINS_14default_configEjEEN6hipcub21CountingInputIteratorIjlEEN10test_utils21single_index_iteratorIjEENS5_3SumEjjEEvT1_mT4_T2_T3_
; %bb.0:
	s_load_dword s0, s[4:5], 0x0
	s_load_dword s1, s[4:5], 0x8
	s_load_dwordx4 s[36:39], s[4:5], 0x18
	s_load_dwordx2 s[30:31], s[4:5], 0x28
	v_or_b32_e32 v4, 0x100, v0
	s_waitcnt lgkmcnt(0)
	v_add_u32_e32 v1, s0, v0
	v_mov_b32_e32 v2, s0
	v_add_u32_e32 v5, 0x100, v1
	v_cmp_gt_u32_e64 s[26:27], s1, v4
	v_cndmask_b32_e64 v4, v2, v5, s[26:27]
	v_or_b32_e32 v5, 0x200, v0
	v_add_u32_e32 v6, 0x200, v1
	v_cmp_gt_u32_e64 s[24:25], s1, v5
	v_cndmask_b32_e64 v5, v2, v6, s[24:25]
	v_or_b32_e32 v6, 0x300, v0
	v_add_u32_e32 v7, 0x300, v1
	v_cmp_gt_u32_e64 s[20:21], s1, v6
	v_cndmask_b32_e64 v6, v2, v7, s[20:21]
	v_or_b32_e32 v7, 0x400, v0
	v_add_u32_e32 v8, 0x400, v1
	v_cmp_gt_u32_e64 s[18:19], s1, v7
	v_cndmask_b32_e64 v7, v2, v8, s[18:19]
	v_or_b32_e32 v8, 0x500, v0
	v_add_u32_e32 v9, 0x500, v1
	v_cmp_gt_u32_e64 s[16:17], s1, v8
	v_cndmask_b32_e64 v8, v2, v9, s[16:17]
	v_or_b32_e32 v9, 0x600, v0
	v_add_u32_e32 v10, 0x600, v1
	v_cmp_gt_u32_e64 s[14:15], s1, v9
	v_cndmask_b32_e64 v9, v2, v10, s[14:15]
	v_or_b32_e32 v10, 0x700, v0
	v_add_u32_e32 v11, 0x700, v1
	v_cmp_gt_u32_e64 s[12:13], s1, v10
	v_cndmask_b32_e64 v10, v2, v11, s[12:13]
	v_or_b32_e32 v11, 0x800, v0
	v_add_u32_e32 v12, 0x800, v1
	v_cmp_gt_u32_e64 s[10:11], s1, v11
	v_cndmask_b32_e64 v11, v2, v12, s[10:11]
	v_or_b32_e32 v12, 0x900, v0
	v_add_u32_e32 v13, 0x900, v1
	v_cmp_gt_u32_e64 s[8:9], s1, v12
	v_cndmask_b32_e64 v12, v2, v13, s[8:9]
	v_or_b32_e32 v13, 0xa00, v0
	v_add_u32_e32 v14, 0xa00, v1
	v_cmp_gt_u32_e64 s[6:7], s1, v13
	v_cndmask_b32_e64 v13, v2, v14, s[6:7]
	v_or_b32_e32 v14, 0xb00, v0
	v_add_u32_e32 v15, 0xb00, v1
	v_cmp_gt_u32_e32 vcc, s1, v14
	v_cndmask_b32_e32 v14, v2, v15, vcc
	v_or_b32_e32 v15, 0xc00, v0
	v_cmp_gt_u32_e64 s[4:5], s1, v15
	v_or_b32_e32 v15, 0xd00, v0
	v_cmp_gt_u32_e64 s[22:23], s1, v0
	v_add_u32_e32 v16, 0xc00, v1
	v_cmp_gt_u32_e64 s[2:3], s1, v15
	v_or_b32_e32 v15, 0xe00, v0
	v_cndmask_b32_e64 v3, v2, v1, s[22:23]
	v_cndmask_b32_e64 v16, v2, v16, s[4:5]
	v_add_u32_e32 v17, 0xd00, v1
	v_add_u32_e32 v1, 0xe00, v1
	v_cmp_gt_u32_e64 s[0:1], s1, v15
	v_lshlrev_b32_e32 v15, 2, v0
	v_cndmask_b32_e64 v17, v2, v17, s[2:3]
	v_cndmask_b32_e64 v1, v2, v1, s[0:1]
	ds_write2st64_b32 v15, v3, v4 offset1:4
	ds_write2st64_b32 v15, v5, v6 offset0:8 offset1:12
	ds_write2st64_b32 v15, v7, v8 offset0:16 offset1:20
	;; [unrolled: 1-line block ×6, first 2 shown]
	ds_write_b32 v15, v1 offset:14336
	v_mad_u32_u24 v16, v0, 56, v15
	s_waitcnt lgkmcnt(0)
	s_barrier
	ds_read2_b32 v[1:2], v16 offset1:1
	ds_read2_b32 v[13:14], v16 offset0:2 offset1:3
	ds_read2_b32 v[11:12], v16 offset0:4 offset1:5
	;; [unrolled: 1-line block ×6, first 2 shown]
	ds_read_b32 v30, v16 offset:56
	s_waitcnt lgkmcnt(7)
	v_add_u32_e32 v16, v2, v1
	s_waitcnt lgkmcnt(6)
	v_add_u32_e32 v17, v16, v13
	v_add_u32_e32 v18, v17, v14
	s_waitcnt lgkmcnt(5)
	v_add_u32_e32 v19, v18, v11
	;; [unrolled: 3-line block ×6, first 2 shown]
	v_lshrrev_b32_e32 v31, 3, v0
	v_add_u32_e32 v28, v27, v4
	v_and_b32_e32 v31, 28, v31
	s_waitcnt lgkmcnt(0)
	v_add_u32_e32 v29, v28, v30
	v_add_u32_e32 v31, v15, v31
	v_cmp_gt_u32_e64 s[28:29], 64, v0
	s_barrier
	ds_write_b32 v31, v29
	s_waitcnt lgkmcnt(0)
	s_barrier
	s_and_saveexec_b64 s[34:35], s[28:29]
	s_cbranch_execz .LBB121_2
; %bb.1:
	v_lshrrev_b32_e32 v31, 1, v0
	v_and_b32_e32 v31, 0x7c, v31
	v_lshl_add_u32 v35, v0, 4, v31
	ds_read2_b32 v[31:32], v35 offset1:1
	ds_read2_b32 v[33:34], v35 offset0:2 offset1:3
	v_mbcnt_lo_u32_b32 v36, -1, 0
	v_mbcnt_hi_u32_b32 v36, -1, v36
	v_and_b32_e32 v37, 15, v36
	s_waitcnt lgkmcnt(1)
	v_add_u32_e32 v38, v32, v31
	s_waitcnt lgkmcnt(0)
	v_add3_u32 v38, v38, v33, v34
	v_cmp_ne_u32_e64 s[28:29], 0, v37
	s_nop 0
	v_mov_b32_dpp v39, v38 row_shr:1 row_mask:0xf bank_mask:0xf
	v_cndmask_b32_e64 v39, 0, v39, s[28:29]
	v_add_u32_e32 v38, v39, v38
	v_cmp_lt_u32_e64 s[28:29], 1, v37
	s_nop 0
	v_mov_b32_dpp v39, v38 row_shr:2 row_mask:0xf bank_mask:0xf
	v_cndmask_b32_e64 v39, 0, v39, s[28:29]
	v_add_u32_e32 v38, v38, v39
	v_cmp_lt_u32_e64 s[28:29], 3, v37
	;; [unrolled: 5-line block ×3, first 2 shown]
	s_nop 0
	v_mov_b32_dpp v39, v38 row_shr:8 row_mask:0xf bank_mask:0xf
	v_cndmask_b32_e64 v37, 0, v39, s[28:29]
	v_add_u32_e32 v37, v38, v37
	v_bfe_i32 v39, v36, 4, 1
	v_cmp_lt_u32_e64 s[28:29], 31, v36
	v_mov_b32_dpp v38, v37 row_bcast:15 row_mask:0xf bank_mask:0xf
	v_and_b32_e32 v38, v39, v38
	v_add_u32_e32 v37, v37, v38
	v_and_b32_e32 v39, 64, v36
	s_nop 0
	v_mov_b32_dpp v38, v37 row_bcast:31 row_mask:0xf bank_mask:0xf
	v_cndmask_b32_e64 v38, 0, v38, s[28:29]
	v_add_u32_e32 v37, v37, v38
	v_add_u32_e32 v38, -1, v36
	v_cmp_lt_i32_e64 s[28:29], v38, v39
	v_cndmask_b32_e64 v36, v38, v36, s[28:29]
	v_lshlrev_b32_e32 v36, 2, v36
	ds_bpermute_b32 v36, v36, v37
	v_cmp_eq_u32_e64 s[28:29], 0, v0
	s_waitcnt lgkmcnt(0)
	v_add_u32_e32 v31, v36, v31
	v_cndmask_b32_e64 v31, v31, v29, s[28:29]
	v_add_u32_e32 v32, v31, v32
	ds_write2_b32 v35, v31, v32 offset1:1
	v_add_u32_e32 v31, v32, v33
	v_add_u32_e32 v32, v31, v34
	ds_write2_b32 v35, v31, v32 offset0:2 offset1:3
.LBB121_2:
	s_or_b64 exec, exec, s[34:35]
	v_mul_u32_u24_e32 v31, 56, v0
	v_cmp_ne_u32_e64 s[28:29], 0, v0
	s_waitcnt lgkmcnt(0)
	s_barrier
	s_and_saveexec_b64 s[34:35], s[28:29]
	s_cbranch_execz .LBB121_4
; %bb.3:
	v_add_u32_e32 v16, -1, v0
	v_lshrrev_b32_e32 v17, 3, v16
	v_and_b32_e32 v17, 0x1ffffffc, v17
	v_lshl_add_u32 v16, v16, 2, v17
	ds_read_b32 v16, v16
	s_waitcnt lgkmcnt(0)
	v_add_u32_e32 v1, v16, v1
	v_add_u32_e32 v16, v1, v2
	;; [unrolled: 1-line block ×15, first 2 shown]
.LBB121_4:
	s_or_b64 exec, exec, s[34:35]
	v_add_u32_e32 v2, v15, v31
	s_barrier
	ds_write2_b32 v2, v1, v16 offset1:1
	ds_write2_b32 v2, v17, v18 offset0:2 offset1:3
	ds_write2_b32 v2, v19, v20 offset0:4 offset1:5
	;; [unrolled: 1-line block ×6, first 2 shown]
	ds_write_b32 v2, v29 offset:56
	v_mov_b32_e32 v1, s31
	v_add_co_u32_e64 v0, s[28:29], s30, v0
	s_movk_i32 s30, 0x100
	v_addc_co_u32_e64 v1, s[28:29], 0, v1, s[28:29]
	v_add_co_u32_e64 v2, s[30:31], s30, v0
	v_addc_co_u32_e64 v3, s[30:31], 0, v1, s[30:31]
	v_cmp_eq_u64_e64 s[28:29], s[38:39], v[0:1]
	v_cmp_eq_u64_e64 s[30:31], s[38:39], v[2:3]
	s_and_b64 s[28:29], s[22:23], s[28:29]
	s_and_b64 s[22:23], s[26:27], s[30:31]
	s_movk_i32 s26, 0x200
	v_add_co_u32_e64 v2, s[26:27], s26, v0
	v_addc_co_u32_e64 v3, s[26:27], 0, v1, s[26:27]
	v_cmp_eq_u64_e64 s[26:27], s[38:39], v[2:3]
	s_movk_i32 s30, 0xc00
	s_and_b64 s[24:25], s[24:25], s[26:27]
	s_movk_i32 s26, 0x300
	v_add_co_u32_e64 v2, s[26:27], s26, v0
	v_addc_co_u32_e64 v3, s[26:27], 0, v1, s[26:27]
	v_cmp_eq_u64_e64 s[26:27], s[38:39], v[2:3]
	s_or_b64 s[28:29], s[28:29], s[22:23]
	s_and_b64 s[20:21], s[20:21], s[26:27]
	s_movk_i32 s26, 0x400
	v_add_co_u32_e64 v2, s[26:27], s26, v0
	v_addc_co_u32_e64 v3, s[26:27], 0, v1, s[26:27]
	v_cmp_eq_u64_e64 s[26:27], s[38:39], v[2:3]
	s_or_b64 s[28:29], s[24:25], s[28:29]
	;; [unrolled: 6-line block ×9, first 2 shown]
	s_and_b64 s[26:27], vcc, s[26:27]
	v_add_co_u32_e32 v2, vcc, s30, v0
	v_addc_co_u32_e32 v3, vcc, 0, v1, vcc
	v_cmp_eq_u64_e32 vcc, s[38:39], v[2:3]
	s_movk_i32 s30, 0xd00
	s_and_b64 s[4:5], s[4:5], vcc
	v_add_co_u32_e32 v2, vcc, s30, v0
	v_addc_co_u32_e32 v3, vcc, 0, v1, vcc
	v_cmp_eq_u64_e32 vcc, s[38:39], v[2:3]
	s_or_b64 s[28:29], s[6:7], s[28:29]
	s_and_b64 s[2:3], s[2:3], vcc
	v_add_co_u32_e32 v0, vcc, 0xe00, v0
	v_addc_co_u32_e32 v1, vcc, 0, v1, vcc
	s_or_b64 s[28:29], s[26:27], s[28:29]
	v_cmp_eq_u64_e32 vcc, s[38:39], v[0:1]
	s_or_b64 s[28:29], s[4:5], s[28:29]
	s_or_b64 s[28:29], s[2:3], s[28:29]
	s_and_b64 vcc, s[0:1], vcc
	s_or_b64 s[0:1], vcc, s[28:29]
	s_waitcnt lgkmcnt(0)
	s_barrier
	s_and_saveexec_b64 s[28:29], s[0:1]
	s_cbranch_execz .LBB121_6
; %bb.5:
	ds_read_b32 v16, v15 offset:14336
	ds_read2st64_b32 v[0:1], v15 offset0:48 offset1:52
	ds_read2st64_b32 v[2:3], v15 offset0:40 offset1:44
	ds_read2st64_b32 v[4:5], v15 offset1:4
	ds_read2st64_b32 v[6:7], v15 offset0:8 offset1:12
	ds_read2st64_b32 v[8:9], v15 offset0:32 offset1:36
	;; [unrolled: 1-line block ×4, first 2 shown]
	s_waitcnt lgkmcnt(4)
	v_cndmask_b32_e64 v4, v4, v5, s[22:23]
	s_waitcnt lgkmcnt(3)
	v_cndmask_b32_e64 v4, v4, v6, s[24:25]
	v_cndmask_b32_e64 v4, v4, v7, s[20:21]
	s_waitcnt lgkmcnt(1)
	v_cndmask_b32_e64 v4, v4, v10, s[18:19]
	;; [unrolled: 3-line block ×3, first 2 shown]
	v_cndmask_b32_e64 v4, v4, v13, s[12:13]
	v_cndmask_b32_e64 v4, v4, v8, s[10:11]
	;; [unrolled: 1-line block ×7, first 2 shown]
	v_mov_b32_e32 v14, 0
	v_cndmask_b32_e32 v0, v0, v16, vcc
	global_store_dword v14, v0, s[36:37]
.LBB121_6:
	s_endpgm
	.section	.rodata,"a",@progbits
	.p2align	6, 0x0
	.amdhsa_kernel _ZN7rocprim6detail18single_scan_kernelILb0ENS0_19wrapped_scan_configINS_14default_configEjEEN6hipcub21CountingInputIteratorIjlEEN10test_utils21single_index_iteratorIjEENS5_3SumEjjEEvT1_mT4_T2_T3_
		.amdhsa_group_segment_fixed_size 15360
		.amdhsa_private_segment_fixed_size 0
		.amdhsa_kernarg_size 52
		.amdhsa_user_sgpr_count 6
		.amdhsa_user_sgpr_private_segment_buffer 1
		.amdhsa_user_sgpr_dispatch_ptr 0
		.amdhsa_user_sgpr_queue_ptr 0
		.amdhsa_user_sgpr_kernarg_segment_ptr 1
		.amdhsa_user_sgpr_dispatch_id 0
		.amdhsa_user_sgpr_flat_scratch_init 0
		.amdhsa_user_sgpr_private_segment_size 0
		.amdhsa_uses_dynamic_stack 0
		.amdhsa_system_sgpr_private_segment_wavefront_offset 0
		.amdhsa_system_sgpr_workgroup_id_x 1
		.amdhsa_system_sgpr_workgroup_id_y 0
		.amdhsa_system_sgpr_workgroup_id_z 0
		.amdhsa_system_sgpr_workgroup_info 0
		.amdhsa_system_vgpr_workitem_id 0
		.amdhsa_next_free_vgpr 49
		.amdhsa_next_free_sgpr 98
		.amdhsa_reserve_vcc 1
		.amdhsa_reserve_flat_scratch 0
		.amdhsa_float_round_mode_32 0
		.amdhsa_float_round_mode_16_64 0
		.amdhsa_float_denorm_mode_32 3
		.amdhsa_float_denorm_mode_16_64 3
		.amdhsa_dx10_clamp 1
		.amdhsa_ieee_mode 1
		.amdhsa_fp16_overflow 0
		.amdhsa_exception_fp_ieee_invalid_op 0
		.amdhsa_exception_fp_denorm_src 0
		.amdhsa_exception_fp_ieee_div_zero 0
		.amdhsa_exception_fp_ieee_overflow 0
		.amdhsa_exception_fp_ieee_underflow 0
		.amdhsa_exception_fp_ieee_inexact 0
		.amdhsa_exception_int_div_zero 0
	.end_amdhsa_kernel
	.section	.text._ZN7rocprim6detail18single_scan_kernelILb0ENS0_19wrapped_scan_configINS_14default_configEjEEN6hipcub21CountingInputIteratorIjlEEN10test_utils21single_index_iteratorIjEENS5_3SumEjjEEvT1_mT4_T2_T3_,"axG",@progbits,_ZN7rocprim6detail18single_scan_kernelILb0ENS0_19wrapped_scan_configINS_14default_configEjEEN6hipcub21CountingInputIteratorIjlEEN10test_utils21single_index_iteratorIjEENS5_3SumEjjEEvT1_mT4_T2_T3_,comdat
.Lfunc_end121:
	.size	_ZN7rocprim6detail18single_scan_kernelILb0ENS0_19wrapped_scan_configINS_14default_configEjEEN6hipcub21CountingInputIteratorIjlEEN10test_utils21single_index_iteratorIjEENS5_3SumEjjEEvT1_mT4_T2_T3_, .Lfunc_end121-_ZN7rocprim6detail18single_scan_kernelILb0ENS0_19wrapped_scan_configINS_14default_configEjEEN6hipcub21CountingInputIteratorIjlEEN10test_utils21single_index_iteratorIjEENS5_3SumEjjEEvT1_mT4_T2_T3_
                                        ; -- End function
	.set _ZN7rocprim6detail18single_scan_kernelILb0ENS0_19wrapped_scan_configINS_14default_configEjEEN6hipcub21CountingInputIteratorIjlEEN10test_utils21single_index_iteratorIjEENS5_3SumEjjEEvT1_mT4_T2_T3_.num_vgpr, 40
	.set _ZN7rocprim6detail18single_scan_kernelILb0ENS0_19wrapped_scan_configINS_14default_configEjEEN6hipcub21CountingInputIteratorIjlEEN10test_utils21single_index_iteratorIjEENS5_3SumEjjEEvT1_mT4_T2_T3_.num_agpr, 0
	.set _ZN7rocprim6detail18single_scan_kernelILb0ENS0_19wrapped_scan_configINS_14default_configEjEEN6hipcub21CountingInputIteratorIjlEEN10test_utils21single_index_iteratorIjEENS5_3SumEjjEEvT1_mT4_T2_T3_.numbered_sgpr, 40
	.set _ZN7rocprim6detail18single_scan_kernelILb0ENS0_19wrapped_scan_configINS_14default_configEjEEN6hipcub21CountingInputIteratorIjlEEN10test_utils21single_index_iteratorIjEENS5_3SumEjjEEvT1_mT4_T2_T3_.num_named_barrier, 0
	.set _ZN7rocprim6detail18single_scan_kernelILb0ENS0_19wrapped_scan_configINS_14default_configEjEEN6hipcub21CountingInputIteratorIjlEEN10test_utils21single_index_iteratorIjEENS5_3SumEjjEEvT1_mT4_T2_T3_.private_seg_size, 0
	.set _ZN7rocprim6detail18single_scan_kernelILb0ENS0_19wrapped_scan_configINS_14default_configEjEEN6hipcub21CountingInputIteratorIjlEEN10test_utils21single_index_iteratorIjEENS5_3SumEjjEEvT1_mT4_T2_T3_.uses_vcc, 1
	.set _ZN7rocprim6detail18single_scan_kernelILb0ENS0_19wrapped_scan_configINS_14default_configEjEEN6hipcub21CountingInputIteratorIjlEEN10test_utils21single_index_iteratorIjEENS5_3SumEjjEEvT1_mT4_T2_T3_.uses_flat_scratch, 0
	.set _ZN7rocprim6detail18single_scan_kernelILb0ENS0_19wrapped_scan_configINS_14default_configEjEEN6hipcub21CountingInputIteratorIjlEEN10test_utils21single_index_iteratorIjEENS5_3SumEjjEEvT1_mT4_T2_T3_.has_dyn_sized_stack, 0
	.set _ZN7rocprim6detail18single_scan_kernelILb0ENS0_19wrapped_scan_configINS_14default_configEjEEN6hipcub21CountingInputIteratorIjlEEN10test_utils21single_index_iteratorIjEENS5_3SumEjjEEvT1_mT4_T2_T3_.has_recursion, 0
	.set _ZN7rocprim6detail18single_scan_kernelILb0ENS0_19wrapped_scan_configINS_14default_configEjEEN6hipcub21CountingInputIteratorIjlEEN10test_utils21single_index_iteratorIjEENS5_3SumEjjEEvT1_mT4_T2_T3_.has_indirect_call, 0
	.section	.AMDGPU.csdata,"",@progbits
; Kernel info:
; codeLenInByte = 2056
; TotalNumSgprs: 44
; NumVgprs: 40
; ScratchSize: 0
; MemoryBound: 0
; FloatMode: 240
; IeeeMode: 1
; LDSByteSize: 15360 bytes/workgroup (compile time only)
; SGPRBlocks: 12
; VGPRBlocks: 12
; NumSGPRsForWavesPerEU: 102
; NumVGPRsForWavesPerEU: 49
; Occupancy: 4
; WaveLimiterHint : 0
; COMPUTE_PGM_RSRC2:SCRATCH_EN: 0
; COMPUTE_PGM_RSRC2:USER_SGPR: 6
; COMPUTE_PGM_RSRC2:TRAP_HANDLER: 0
; COMPUTE_PGM_RSRC2:TGID_X_EN: 1
; COMPUTE_PGM_RSRC2:TGID_Y_EN: 0
; COMPUTE_PGM_RSRC2:TGID_Z_EN: 0
; COMPUTE_PGM_RSRC2:TIDIG_COMP_CNT: 0
	.section	.text._ZN7rocprim6detail20lookback_scan_kernelILNS0_25lookback_scan_determinismE0ELb1ENS0_19wrapped_scan_configINS_14default_configEjEEN6hipcub21CountingInputIteratorIjlEEN10test_utils21single_index_iteratorIjEENS6_3SumEjjNS0_19lookback_scan_stateIjLb1ELb1EEEEEvT2_T3_mT5_T4_T7_jPT6_SL_bb,"axG",@progbits,_ZN7rocprim6detail20lookback_scan_kernelILNS0_25lookback_scan_determinismE0ELb1ENS0_19wrapped_scan_configINS_14default_configEjEEN6hipcub21CountingInputIteratorIjlEEN10test_utils21single_index_iteratorIjEENS6_3SumEjjNS0_19lookback_scan_stateIjLb1ELb1EEEEEvT2_T3_mT5_T4_T7_jPT6_SL_bb,comdat
	.protected	_ZN7rocprim6detail20lookback_scan_kernelILNS0_25lookback_scan_determinismE0ELb1ENS0_19wrapped_scan_configINS_14default_configEjEEN6hipcub21CountingInputIteratorIjlEEN10test_utils21single_index_iteratorIjEENS6_3SumEjjNS0_19lookback_scan_stateIjLb1ELb1EEEEEvT2_T3_mT5_T4_T7_jPT6_SL_bb ; -- Begin function _ZN7rocprim6detail20lookback_scan_kernelILNS0_25lookback_scan_determinismE0ELb1ENS0_19wrapped_scan_configINS_14default_configEjEEN6hipcub21CountingInputIteratorIjlEEN10test_utils21single_index_iteratorIjEENS6_3SumEjjNS0_19lookback_scan_stateIjLb1ELb1EEEEEvT2_T3_mT5_T4_T7_jPT6_SL_bb
	.globl	_ZN7rocprim6detail20lookback_scan_kernelILNS0_25lookback_scan_determinismE0ELb1ENS0_19wrapped_scan_configINS_14default_configEjEEN6hipcub21CountingInputIteratorIjlEEN10test_utils21single_index_iteratorIjEENS6_3SumEjjNS0_19lookback_scan_stateIjLb1ELb1EEEEEvT2_T3_mT5_T4_T7_jPT6_SL_bb
	.p2align	8
	.type	_ZN7rocprim6detail20lookback_scan_kernelILNS0_25lookback_scan_determinismE0ELb1ENS0_19wrapped_scan_configINS_14default_configEjEEN6hipcub21CountingInputIteratorIjlEEN10test_utils21single_index_iteratorIjEENS6_3SumEjjNS0_19lookback_scan_stateIjLb1ELb1EEEEEvT2_T3_mT5_T4_T7_jPT6_SL_bb,@function
_ZN7rocprim6detail20lookback_scan_kernelILNS0_25lookback_scan_determinismE0ELb1ENS0_19wrapped_scan_configINS_14default_configEjEEN6hipcub21CountingInputIteratorIjlEEN10test_utils21single_index_iteratorIjEENS6_3SumEjjNS0_19lookback_scan_stateIjLb1ELb1EEEEEvT2_T3_mT5_T4_T7_jPT6_SL_bb: ; @_ZN7rocprim6detail20lookback_scan_kernelILNS0_25lookback_scan_determinismE0ELb1ENS0_19wrapped_scan_configINS_14default_configEjEEN6hipcub21CountingInputIteratorIjlEEN10test_utils21single_index_iteratorIjEENS6_3SumEjjNS0_19lookback_scan_stateIjLb1ELb1EEEEEvT2_T3_mT5_T4_T7_jPT6_SL_bb
; %bb.0:
	s_endpgm
	.section	.rodata,"a",@progbits
	.p2align	6, 0x0
	.amdhsa_kernel _ZN7rocprim6detail20lookback_scan_kernelILNS0_25lookback_scan_determinismE0ELb1ENS0_19wrapped_scan_configINS_14default_configEjEEN6hipcub21CountingInputIteratorIjlEEN10test_utils21single_index_iteratorIjEENS6_3SumEjjNS0_19lookback_scan_stateIjLb1ELb1EEEEEvT2_T3_mT5_T4_T7_jPT6_SL_bb
		.amdhsa_group_segment_fixed_size 0
		.amdhsa_private_segment_fixed_size 0
		.amdhsa_kernarg_size 84
		.amdhsa_user_sgpr_count 6
		.amdhsa_user_sgpr_private_segment_buffer 1
		.amdhsa_user_sgpr_dispatch_ptr 0
		.amdhsa_user_sgpr_queue_ptr 0
		.amdhsa_user_sgpr_kernarg_segment_ptr 1
		.amdhsa_user_sgpr_dispatch_id 0
		.amdhsa_user_sgpr_flat_scratch_init 0
		.amdhsa_user_sgpr_private_segment_size 0
		.amdhsa_uses_dynamic_stack 0
		.amdhsa_system_sgpr_private_segment_wavefront_offset 0
		.amdhsa_system_sgpr_workgroup_id_x 1
		.amdhsa_system_sgpr_workgroup_id_y 0
		.amdhsa_system_sgpr_workgroup_id_z 0
		.amdhsa_system_sgpr_workgroup_info 0
		.amdhsa_system_vgpr_workitem_id 0
		.amdhsa_next_free_vgpr 1
		.amdhsa_next_free_sgpr 0
		.amdhsa_reserve_vcc 0
		.amdhsa_reserve_flat_scratch 0
		.amdhsa_float_round_mode_32 0
		.amdhsa_float_round_mode_16_64 0
		.amdhsa_float_denorm_mode_32 3
		.amdhsa_float_denorm_mode_16_64 3
		.amdhsa_dx10_clamp 1
		.amdhsa_ieee_mode 1
		.amdhsa_fp16_overflow 0
		.amdhsa_exception_fp_ieee_invalid_op 0
		.amdhsa_exception_fp_denorm_src 0
		.amdhsa_exception_fp_ieee_div_zero 0
		.amdhsa_exception_fp_ieee_overflow 0
		.amdhsa_exception_fp_ieee_underflow 0
		.amdhsa_exception_fp_ieee_inexact 0
		.amdhsa_exception_int_div_zero 0
	.end_amdhsa_kernel
	.section	.text._ZN7rocprim6detail20lookback_scan_kernelILNS0_25lookback_scan_determinismE0ELb1ENS0_19wrapped_scan_configINS_14default_configEjEEN6hipcub21CountingInputIteratorIjlEEN10test_utils21single_index_iteratorIjEENS6_3SumEjjNS0_19lookback_scan_stateIjLb1ELb1EEEEEvT2_T3_mT5_T4_T7_jPT6_SL_bb,"axG",@progbits,_ZN7rocprim6detail20lookback_scan_kernelILNS0_25lookback_scan_determinismE0ELb1ENS0_19wrapped_scan_configINS_14default_configEjEEN6hipcub21CountingInputIteratorIjlEEN10test_utils21single_index_iteratorIjEENS6_3SumEjjNS0_19lookback_scan_stateIjLb1ELb1EEEEEvT2_T3_mT5_T4_T7_jPT6_SL_bb,comdat
.Lfunc_end122:
	.size	_ZN7rocprim6detail20lookback_scan_kernelILNS0_25lookback_scan_determinismE0ELb1ENS0_19wrapped_scan_configINS_14default_configEjEEN6hipcub21CountingInputIteratorIjlEEN10test_utils21single_index_iteratorIjEENS6_3SumEjjNS0_19lookback_scan_stateIjLb1ELb1EEEEEvT2_T3_mT5_T4_T7_jPT6_SL_bb, .Lfunc_end122-_ZN7rocprim6detail20lookback_scan_kernelILNS0_25lookback_scan_determinismE0ELb1ENS0_19wrapped_scan_configINS_14default_configEjEEN6hipcub21CountingInputIteratorIjlEEN10test_utils21single_index_iteratorIjEENS6_3SumEjjNS0_19lookback_scan_stateIjLb1ELb1EEEEEvT2_T3_mT5_T4_T7_jPT6_SL_bb
                                        ; -- End function
	.set _ZN7rocprim6detail20lookback_scan_kernelILNS0_25lookback_scan_determinismE0ELb1ENS0_19wrapped_scan_configINS_14default_configEjEEN6hipcub21CountingInputIteratorIjlEEN10test_utils21single_index_iteratorIjEENS6_3SumEjjNS0_19lookback_scan_stateIjLb1ELb1EEEEEvT2_T3_mT5_T4_T7_jPT6_SL_bb.num_vgpr, 0
	.set _ZN7rocprim6detail20lookback_scan_kernelILNS0_25lookback_scan_determinismE0ELb1ENS0_19wrapped_scan_configINS_14default_configEjEEN6hipcub21CountingInputIteratorIjlEEN10test_utils21single_index_iteratorIjEENS6_3SumEjjNS0_19lookback_scan_stateIjLb1ELb1EEEEEvT2_T3_mT5_T4_T7_jPT6_SL_bb.num_agpr, 0
	.set _ZN7rocprim6detail20lookback_scan_kernelILNS0_25lookback_scan_determinismE0ELb1ENS0_19wrapped_scan_configINS_14default_configEjEEN6hipcub21CountingInputIteratorIjlEEN10test_utils21single_index_iteratorIjEENS6_3SumEjjNS0_19lookback_scan_stateIjLb1ELb1EEEEEvT2_T3_mT5_T4_T7_jPT6_SL_bb.numbered_sgpr, 0
	.set _ZN7rocprim6detail20lookback_scan_kernelILNS0_25lookback_scan_determinismE0ELb1ENS0_19wrapped_scan_configINS_14default_configEjEEN6hipcub21CountingInputIteratorIjlEEN10test_utils21single_index_iteratorIjEENS6_3SumEjjNS0_19lookback_scan_stateIjLb1ELb1EEEEEvT2_T3_mT5_T4_T7_jPT6_SL_bb.num_named_barrier, 0
	.set _ZN7rocprim6detail20lookback_scan_kernelILNS0_25lookback_scan_determinismE0ELb1ENS0_19wrapped_scan_configINS_14default_configEjEEN6hipcub21CountingInputIteratorIjlEEN10test_utils21single_index_iteratorIjEENS6_3SumEjjNS0_19lookback_scan_stateIjLb1ELb1EEEEEvT2_T3_mT5_T4_T7_jPT6_SL_bb.private_seg_size, 0
	.set _ZN7rocprim6detail20lookback_scan_kernelILNS0_25lookback_scan_determinismE0ELb1ENS0_19wrapped_scan_configINS_14default_configEjEEN6hipcub21CountingInputIteratorIjlEEN10test_utils21single_index_iteratorIjEENS6_3SumEjjNS0_19lookback_scan_stateIjLb1ELb1EEEEEvT2_T3_mT5_T4_T7_jPT6_SL_bb.uses_vcc, 0
	.set _ZN7rocprim6detail20lookback_scan_kernelILNS0_25lookback_scan_determinismE0ELb1ENS0_19wrapped_scan_configINS_14default_configEjEEN6hipcub21CountingInputIteratorIjlEEN10test_utils21single_index_iteratorIjEENS6_3SumEjjNS0_19lookback_scan_stateIjLb1ELb1EEEEEvT2_T3_mT5_T4_T7_jPT6_SL_bb.uses_flat_scratch, 0
	.set _ZN7rocprim6detail20lookback_scan_kernelILNS0_25lookback_scan_determinismE0ELb1ENS0_19wrapped_scan_configINS_14default_configEjEEN6hipcub21CountingInputIteratorIjlEEN10test_utils21single_index_iteratorIjEENS6_3SumEjjNS0_19lookback_scan_stateIjLb1ELb1EEEEEvT2_T3_mT5_T4_T7_jPT6_SL_bb.has_dyn_sized_stack, 0
	.set _ZN7rocprim6detail20lookback_scan_kernelILNS0_25lookback_scan_determinismE0ELb1ENS0_19wrapped_scan_configINS_14default_configEjEEN6hipcub21CountingInputIteratorIjlEEN10test_utils21single_index_iteratorIjEENS6_3SumEjjNS0_19lookback_scan_stateIjLb1ELb1EEEEEvT2_T3_mT5_T4_T7_jPT6_SL_bb.has_recursion, 0
	.set _ZN7rocprim6detail20lookback_scan_kernelILNS0_25lookback_scan_determinismE0ELb1ENS0_19wrapped_scan_configINS_14default_configEjEEN6hipcub21CountingInputIteratorIjlEEN10test_utils21single_index_iteratorIjEENS6_3SumEjjNS0_19lookback_scan_stateIjLb1ELb1EEEEEvT2_T3_mT5_T4_T7_jPT6_SL_bb.has_indirect_call, 0
	.section	.AMDGPU.csdata,"",@progbits
; Kernel info:
; codeLenInByte = 4
; TotalNumSgprs: 4
; NumVgprs: 0
; ScratchSize: 0
; MemoryBound: 0
; FloatMode: 240
; IeeeMode: 1
; LDSByteSize: 0 bytes/workgroup (compile time only)
; SGPRBlocks: 0
; VGPRBlocks: 0
; NumSGPRsForWavesPerEU: 4
; NumVGPRsForWavesPerEU: 1
; Occupancy: 10
; WaveLimiterHint : 0
; COMPUTE_PGM_RSRC2:SCRATCH_EN: 0
; COMPUTE_PGM_RSRC2:USER_SGPR: 6
; COMPUTE_PGM_RSRC2:TRAP_HANDLER: 0
; COMPUTE_PGM_RSRC2:TGID_X_EN: 1
; COMPUTE_PGM_RSRC2:TGID_Y_EN: 0
; COMPUTE_PGM_RSRC2:TGID_Z_EN: 0
; COMPUTE_PGM_RSRC2:TIDIG_COMP_CNT: 0
	.section	.text._ZN7rocprim6detail20lookback_scan_kernelILNS0_25lookback_scan_determinismE0ELb1ENS0_19wrapped_scan_configINS_14default_configEjEEN6hipcub21CountingInputIteratorIjlEEN10test_utils21single_index_iteratorIjEENS6_3SumEjjNS0_19lookback_scan_stateIjLb0ELb1EEEEEvT2_T3_mT5_T4_T7_jPT6_SL_bb,"axG",@progbits,_ZN7rocprim6detail20lookback_scan_kernelILNS0_25lookback_scan_determinismE0ELb1ENS0_19wrapped_scan_configINS_14default_configEjEEN6hipcub21CountingInputIteratorIjlEEN10test_utils21single_index_iteratorIjEENS6_3SumEjjNS0_19lookback_scan_stateIjLb0ELb1EEEEEvT2_T3_mT5_T4_T7_jPT6_SL_bb,comdat
	.protected	_ZN7rocprim6detail20lookback_scan_kernelILNS0_25lookback_scan_determinismE0ELb1ENS0_19wrapped_scan_configINS_14default_configEjEEN6hipcub21CountingInputIteratorIjlEEN10test_utils21single_index_iteratorIjEENS6_3SumEjjNS0_19lookback_scan_stateIjLb0ELb1EEEEEvT2_T3_mT5_T4_T7_jPT6_SL_bb ; -- Begin function _ZN7rocprim6detail20lookback_scan_kernelILNS0_25lookback_scan_determinismE0ELb1ENS0_19wrapped_scan_configINS_14default_configEjEEN6hipcub21CountingInputIteratorIjlEEN10test_utils21single_index_iteratorIjEENS6_3SumEjjNS0_19lookback_scan_stateIjLb0ELb1EEEEEvT2_T3_mT5_T4_T7_jPT6_SL_bb
	.globl	_ZN7rocprim6detail20lookback_scan_kernelILNS0_25lookback_scan_determinismE0ELb1ENS0_19wrapped_scan_configINS_14default_configEjEEN6hipcub21CountingInputIteratorIjlEEN10test_utils21single_index_iteratorIjEENS6_3SumEjjNS0_19lookback_scan_stateIjLb0ELb1EEEEEvT2_T3_mT5_T4_T7_jPT6_SL_bb
	.p2align	8
	.type	_ZN7rocprim6detail20lookback_scan_kernelILNS0_25lookback_scan_determinismE0ELb1ENS0_19wrapped_scan_configINS_14default_configEjEEN6hipcub21CountingInputIteratorIjlEEN10test_utils21single_index_iteratorIjEENS6_3SumEjjNS0_19lookback_scan_stateIjLb0ELb1EEEEEvT2_T3_mT5_T4_T7_jPT6_SL_bb,@function
_ZN7rocprim6detail20lookback_scan_kernelILNS0_25lookback_scan_determinismE0ELb1ENS0_19wrapped_scan_configINS_14default_configEjEEN6hipcub21CountingInputIteratorIjlEEN10test_utils21single_index_iteratorIjEENS6_3SumEjjNS0_19lookback_scan_stateIjLb0ELb1EEEEEvT2_T3_mT5_T4_T7_jPT6_SL_bb: ; @_ZN7rocprim6detail20lookback_scan_kernelILNS0_25lookback_scan_determinismE0ELb1ENS0_19wrapped_scan_configINS_14default_configEjEEN6hipcub21CountingInputIteratorIjlEEN10test_utils21single_index_iteratorIjEENS6_3SumEjjNS0_19lookback_scan_stateIjLb0ELb1EEEEEvT2_T3_mT5_T4_T7_jPT6_SL_bb
; %bb.0:
	s_load_dword s0, s[4:5], 0x38
	s_load_dwordx8 s[36:43], s[4:5], 0x8
	s_load_dword s7, s[4:5], 0x0
	s_mul_i32 s35, s6, 0xf00
	v_lshlrev_b32_e32 v31, 2, v0
	s_waitcnt lgkmcnt(0)
	s_add_i32 s0, s0, -1
	s_mul_i32 s1, s0, 0xf00
	s_sub_u32 s33, s42, s1
	s_subb_u32 s34, s43, 0
	s_cmp_lg_u32 s6, s0
	s_cselect_b64 s[8:9], -1, 0
	s_add_i32 s2, s7, s35
	s_mov_b64 s[0:1], -1
	s_and_b64 vcc, exec, s[8:9]
	v_add_u32_e32 v1, s2, v0
	s_cbranch_vccz .LBB123_2
; %bb.1:
	v_add_u32_e32 v2, 0x100, v1
	v_add_u32_e32 v3, 0x200, v1
	;; [unrolled: 1-line block ×14, first 2 shown]
	ds_write2st64_b32 v31, v1, v2 offset1:4
	ds_write2st64_b32 v31, v3, v4 offset0:8 offset1:12
	ds_write2st64_b32 v31, v5, v6 offset0:16 offset1:20
	ds_write2st64_b32 v31, v7, v8 offset0:24 offset1:28
	ds_write2st64_b32 v31, v9, v10 offset0:32 offset1:36
	ds_write2st64_b32 v31, v11, v12 offset0:40 offset1:44
	ds_write2st64_b32 v31, v13, v14 offset0:48 offset1:52
	ds_write_b32 v31, v15 offset:14336
	s_waitcnt lgkmcnt(0)
	s_barrier
	s_mov_b64 s[0:1], 0
.LBB123_2:
	s_andn2_b64 vcc, exec, s[0:1]
	v_cmp_gt_u32_e64 s[0:1], s33, v0
	s_cbranch_vccnz .LBB123_4
; %bb.3:
	v_or_b32_e32 v4, 0x100, v0
	v_mov_b32_e32 v2, s2
	v_add_u32_e32 v5, 0x100, v1
	v_cmp_gt_u32_e32 vcc, s33, v4
	v_cndmask_b32_e32 v4, v2, v5, vcc
	v_or_b32_e32 v5, 0x200, v0
	v_add_u32_e32 v6, 0x200, v1
	v_cmp_gt_u32_e32 vcc, s33, v5
	v_cndmask_b32_e32 v5, v2, v6, vcc
	v_or_b32_e32 v6, 0x300, v0
	;; [unrolled: 4-line block ×13, first 2 shown]
	v_cndmask_b32_e64 v3, v2, v1, s[0:1]
	v_add_u32_e32 v1, 0xe00, v1
	v_cmp_gt_u32_e32 vcc, s33, v17
	v_cndmask_b32_e32 v1, v2, v1, vcc
	ds_write2st64_b32 v31, v3, v4 offset1:4
	ds_write2st64_b32 v31, v5, v6 offset0:8 offset1:12
	ds_write2st64_b32 v31, v7, v8 offset0:16 offset1:20
	;; [unrolled: 1-line block ×6, first 2 shown]
	ds_write_b32 v31, v1 offset:14336
	s_waitcnt lgkmcnt(0)
	s_barrier
.LBB123_4:
	s_load_dwordx2 s[10:11], s[4:5], 0x30
	v_mul_u32_u24_e32 v32, 60, v0
	s_waitcnt lgkmcnt(0)
	ds_read2_b32 v[29:30], v32 offset1:1
	ds_read2_b32 v[27:28], v32 offset0:2 offset1:3
	ds_read2_b32 v[25:26], v32 offset0:4 offset1:5
	;; [unrolled: 1-line block ×6, first 2 shown]
	ds_read_b32 v33, v32 offset:56
	s_waitcnt lgkmcnt(6)
	v_add3_u32 v1, v30, v29, v27
	s_cmp_lg_u32 s6, 0
	s_waitcnt lgkmcnt(5)
	v_add3_u32 v35, v1, v28, v25
	v_lshrrev_b32_e32 v34, 3, v0
	v_cmp_gt_u32_e32 vcc, 64, v0
	s_waitcnt lgkmcnt(0)
	s_barrier
	s_cbranch_scc0 .LBB123_24
; %bb.5:
	v_add3_u32 v1, v35, v26, v23
	v_add3_u32 v1, v1, v24, v21
	;; [unrolled: 1-line block ×4, first 2 shown]
	v_and_b32_e32 v2, 28, v34
	v_add3_u32 v1, v1, v18, v33
	v_lshl_add_u32 v2, v0, 2, v2
	ds_write_b32 v2, v1
	s_waitcnt lgkmcnt(0)
	s_barrier
	s_and_saveexec_b64 s[2:3], vcc
	s_cbranch_execz .LBB123_7
; %bb.6:
	v_lshrrev_b32_e32 v2, 1, v0
	v_and_b32_e32 v2, 0x7c, v2
	v_lshl_add_u32 v6, v0, 4, v2
	ds_read2_b32 v[2:3], v6 offset1:1
	ds_read2_b32 v[4:5], v6 offset0:2 offset1:3
	v_mbcnt_lo_u32_b32 v7, -1, 0
	v_mbcnt_hi_u32_b32 v7, -1, v7
	v_and_b32_e32 v8, 15, v7
	s_waitcnt lgkmcnt(1)
	v_add_u32_e32 v9, v3, v2
	s_waitcnt lgkmcnt(0)
	v_add3_u32 v9, v9, v4, v5
	v_cmp_ne_u32_e64 s[0:1], 0, v8
	s_nop 0
	v_mov_b32_dpp v10, v9 row_shr:1 row_mask:0xf bank_mask:0xf
	v_cndmask_b32_e64 v10, 0, v10, s[0:1]
	v_add_u32_e32 v9, v10, v9
	v_cmp_lt_u32_e64 s[0:1], 1, v8
	s_nop 0
	v_mov_b32_dpp v10, v9 row_shr:2 row_mask:0xf bank_mask:0xf
	v_cndmask_b32_e64 v10, 0, v10, s[0:1]
	v_add_u32_e32 v9, v9, v10
	v_cmp_lt_u32_e64 s[0:1], 3, v8
	;; [unrolled: 5-line block ×3, first 2 shown]
	s_nop 0
	v_mov_b32_dpp v10, v9 row_shr:8 row_mask:0xf bank_mask:0xf
	v_cndmask_b32_e64 v8, 0, v10, s[0:1]
	v_add_u32_e32 v8, v9, v8
	v_bfe_i32 v10, v7, 4, 1
	v_cmp_lt_u32_e64 s[0:1], 31, v7
	v_mov_b32_dpp v9, v8 row_bcast:15 row_mask:0xf bank_mask:0xf
	v_and_b32_e32 v9, v10, v9
	v_add_u32_e32 v8, v8, v9
	v_and_b32_e32 v10, 64, v7
	s_nop 0
	v_mov_b32_dpp v9, v8 row_bcast:31 row_mask:0xf bank_mask:0xf
	v_cndmask_b32_e64 v9, 0, v9, s[0:1]
	v_add_u32_e32 v8, v8, v9
	v_add_u32_e32 v9, -1, v7
	v_cmp_lt_i32_e64 s[0:1], v9, v10
	v_cndmask_b32_e64 v7, v9, v7, s[0:1]
	v_lshlrev_b32_e32 v7, 2, v7
	ds_bpermute_b32 v7, v7, v8
	v_cmp_eq_u32_e64 s[0:1], 0, v0
	s_waitcnt lgkmcnt(0)
	v_add_u32_e32 v2, v7, v2
	v_cndmask_b32_e64 v1, v2, v1, s[0:1]
	v_add_u32_e32 v2, v1, v3
	ds_write2_b32 v6, v1, v2 offset1:1
	v_add_u32_e32 v1, v2, v4
	v_add_u32_e32 v2, v1, v5
	ds_write2_b32 v6, v1, v2 offset0:2 offset1:3
.LBB123_7:
	s_or_b64 exec, exec, s[2:3]
	v_mov_b32_e32 v10, 0
	v_cmp_eq_u32_e64 s[0:1], 0, v0
	v_cmp_ne_u32_e64 s[2:3], 0, v0
	s_waitcnt lgkmcnt(0)
	s_barrier
	s_and_saveexec_b64 s[12:13], s[2:3]
; %bb.8:
	v_add_u32_e32 v1, -1, v0
	v_lshrrev_b32_e32 v2, 3, v1
	v_and_b32_e32 v2, 0x1ffffffc, v2
	v_lshl_add_u32 v1, v1, 2, v2
	ds_read_b32 v10, v1
; %bb.9:
	s_or_b64 exec, exec, s[12:13]
	s_and_saveexec_b64 s[12:13], vcc
	s_cbranch_execz .LBB123_29
; %bb.10:
	v_mov_b32_e32 v6, 0
	ds_read_b32 v1, v6 offset:1048
	v_mbcnt_lo_u32_b32 v2, -1, 0
	v_mbcnt_hi_u32_b32 v3, -1, v2
	s_mov_b32 s17, 0
	v_cmp_eq_u32_e64 s[2:3], 0, v3
	s_and_saveexec_b64 s[14:15], s[2:3]
	s_cbranch_execz .LBB123_12
; %bb.11:
	s_add_i32 s16, s6, 64
	s_lshl_b64 s[16:17], s[16:17], 3
	s_add_u32 s16, s10, s16
	v_mov_b32_e32 v2, 1
	s_addc_u32 s17, s11, s17
	s_waitcnt lgkmcnt(0)
	global_store_dwordx2 v6, v[1:2], s[16:17]
.LBB123_12:
	s_or_b64 exec, exec, s[14:15]
	v_xad_u32 v2, v3, -1, s6
	v_add_u32_e32 v5, 64, v2
	v_lshlrev_b64 v[4:5], 3, v[5:6]
	v_mov_b32_e32 v8, s11
	v_add_co_u32_e32 v7, vcc, s10, v4
	v_addc_co_u32_e32 v8, vcc, v8, v5, vcc
	global_load_dwordx2 v[4:5], v[7:8], off glc
	s_waitcnt vmcnt(0)
	v_cmp_eq_u16_sdwa s[16:17], v5, v6 src0_sel:BYTE_0 src1_sel:DWORD
	s_and_saveexec_b64 s[14:15], s[16:17]
	s_cbranch_execz .LBB123_16
; %bb.13:
	s_mov_b64 s[16:17], 0
	v_mov_b32_e32 v6, 0
.LBB123_14:                             ; =>This Inner Loop Header: Depth=1
	global_load_dwordx2 v[4:5], v[7:8], off glc
	s_waitcnt vmcnt(0)
	v_cmp_ne_u16_sdwa s[18:19], v5, v6 src0_sel:BYTE_0 src1_sel:DWORD
	s_or_b64 s[16:17], s[18:19], s[16:17]
	s_andn2_b64 exec, exec, s[16:17]
	s_cbranch_execnz .LBB123_14
; %bb.15:
	s_or_b64 exec, exec, s[16:17]
.LBB123_16:
	s_or_b64 exec, exec, s[14:15]
	v_and_b32_e32 v37, 63, v3
	v_mov_b32_e32 v11, 2
	v_lshlrev_b64 v[6:7], v3, -1
	v_cmp_ne_u32_e32 vcc, 63, v37
	v_cmp_eq_u16_sdwa s[14:15], v5, v11 src0_sel:BYTE_0 src1_sel:DWORD
	v_addc_co_u32_e32 v12, vcc, 0, v3, vcc
	v_and_b32_e32 v8, s15, v7
	v_lshlrev_b32_e32 v12, 2, v12
	v_or_b32_e32 v8, 0x80000000, v8
	ds_bpermute_b32 v14, v12, v4
	v_and_b32_e32 v9, s14, v6
	v_ffbl_b32_e32 v8, v8
	v_add_u32_e32 v8, 32, v8
	v_ffbl_b32_e32 v9, v9
	v_min_u32_e32 v8, v9, v8
	v_add_u32_e32 v13, 1, v3
	v_cmp_le_u32_e32 vcc, v13, v8
	s_waitcnt lgkmcnt(0)
	v_cndmask_b32_e32 v9, 0, v14, vcc
	v_cmp_gt_u32_e32 vcc, 62, v37
	v_add_u32_e32 v4, v9, v4
	v_cndmask_b32_e64 v9, 0, 2, vcc
	v_add_lshl_u32 v14, v9, v3, 2
	ds_bpermute_b32 v9, v14, v4
	v_add_u32_e32 v15, 2, v3
	v_cmp_le_u32_e32 vcc, v15, v8
	v_add_u32_e32 v36, 4, v3
	v_add_u32_e32 v39, 8, v3
	s_waitcnt lgkmcnt(0)
	v_cndmask_b32_e32 v9, 0, v9, vcc
	v_cmp_gt_u32_e32 vcc, 60, v37
	v_add_u32_e32 v4, v4, v9
	v_cndmask_b32_e64 v9, 0, 4, vcc
	v_add_lshl_u32 v16, v9, v3, 2
	ds_bpermute_b32 v9, v16, v4
	v_cmp_le_u32_e32 vcc, v36, v8
	v_add_u32_e32 v41, 16, v3
	v_add_u32_e32 v43, 32, v3
	s_waitcnt lgkmcnt(0)
	v_cndmask_b32_e32 v9, 0, v9, vcc
	v_cmp_gt_u32_e32 vcc, 56, v37
	v_add_u32_e32 v4, v4, v9
	v_cndmask_b32_e64 v9, 0, 8, vcc
	v_add_lshl_u32 v38, v9, v3, 2
	ds_bpermute_b32 v9, v38, v4
	v_cmp_le_u32_e32 vcc, v39, v8
	s_waitcnt lgkmcnt(0)
	v_cndmask_b32_e32 v9, 0, v9, vcc
	v_cmp_gt_u32_e32 vcc, 48, v37
	v_add_u32_e32 v4, v4, v9
	v_cndmask_b32_e64 v9, 0, 16, vcc
	v_add_lshl_u32 v40, v9, v3, 2
	ds_bpermute_b32 v9, v40, v4
	v_cmp_le_u32_e32 vcc, v41, v8
	s_waitcnt lgkmcnt(0)
	v_cndmask_b32_e32 v9, 0, v9, vcc
	v_add_u32_e32 v4, v4, v9
	v_mov_b32_e32 v9, 0x80
	v_lshl_or_b32 v42, v3, 2, v9
	ds_bpermute_b32 v9, v42, v4
	v_cmp_le_u32_e32 vcc, v43, v8
	s_waitcnt lgkmcnt(0)
	v_cndmask_b32_e32 v3, 0, v9, vcc
	v_add_u32_e32 v4, v4, v3
	v_mov_b32_e32 v3, 0
	s_branch .LBB123_20
.LBB123_17:                             ;   in Loop: Header=BB123_20 Depth=1
	s_or_b64 exec, exec, s[16:17]
.LBB123_18:                             ;   in Loop: Header=BB123_20 Depth=1
	s_or_b64 exec, exec, s[14:15]
	v_cmp_eq_u16_sdwa s[14:15], v5, v11 src0_sel:BYTE_0 src1_sel:DWORD
	v_and_b32_e32 v8, s15, v7
	v_or_b32_e32 v8, 0x80000000, v8
	ds_bpermute_b32 v44, v12, v4
	v_and_b32_e32 v9, s14, v6
	v_ffbl_b32_e32 v8, v8
	v_add_u32_e32 v8, 32, v8
	v_ffbl_b32_e32 v9, v9
	v_min_u32_e32 v8, v9, v8
	v_cmp_le_u32_e32 vcc, v13, v8
	s_waitcnt lgkmcnt(0)
	v_cndmask_b32_e32 v9, 0, v44, vcc
	v_add_u32_e32 v4, v9, v4
	ds_bpermute_b32 v9, v14, v4
	v_cmp_le_u32_e32 vcc, v15, v8
	v_subrev_u32_e32 v2, 64, v2
	s_mov_b64 s[14:15], 0
	s_waitcnt lgkmcnt(0)
	v_cndmask_b32_e32 v9, 0, v9, vcc
	v_add_u32_e32 v4, v4, v9
	ds_bpermute_b32 v9, v16, v4
	v_cmp_le_u32_e32 vcc, v36, v8
	s_waitcnt lgkmcnt(0)
	v_cndmask_b32_e32 v9, 0, v9, vcc
	v_add_u32_e32 v4, v4, v9
	ds_bpermute_b32 v9, v38, v4
	v_cmp_le_u32_e32 vcc, v39, v8
	;; [unrolled: 5-line block ×4, first 2 shown]
	s_waitcnt lgkmcnt(0)
	v_cndmask_b32_e32 v8, 0, v9, vcc
	v_add3_u32 v4, v8, v37, v4
.LBB123_19:                             ;   in Loop: Header=BB123_20 Depth=1
	s_and_b64 vcc, exec, s[14:15]
	s_cbranch_vccnz .LBB123_25
.LBB123_20:                             ; =>This Loop Header: Depth=1
                                        ;     Child Loop BB123_23 Depth 2
	v_cmp_ne_u16_sdwa s[14:15], v5, v11 src0_sel:BYTE_0 src1_sel:DWORD
	v_mov_b32_e32 v37, v4
	s_cmp_lg_u64 s[14:15], exec
	s_mov_b64 s[14:15], -1
                                        ; implicit-def: $vgpr4
                                        ; implicit-def: $vgpr5
	s_cbranch_scc1 .LBB123_19
; %bb.21:                               ;   in Loop: Header=BB123_20 Depth=1
	v_lshlrev_b64 v[4:5], 3, v[2:3]
	v_mov_b32_e32 v9, s11
	v_add_co_u32_e32 v8, vcc, s10, v4
	v_addc_co_u32_e32 v9, vcc, v9, v5, vcc
	global_load_dwordx2 v[4:5], v[8:9], off glc
	s_waitcnt vmcnt(0)
	v_cmp_eq_u16_sdwa s[16:17], v5, v3 src0_sel:BYTE_0 src1_sel:DWORD
	s_and_saveexec_b64 s[14:15], s[16:17]
	s_cbranch_execz .LBB123_18
; %bb.22:                               ;   in Loop: Header=BB123_20 Depth=1
	s_mov_b64 s[16:17], 0
.LBB123_23:                             ;   Parent Loop BB123_20 Depth=1
                                        ; =>  This Inner Loop Header: Depth=2
	global_load_dwordx2 v[4:5], v[8:9], off glc
	s_waitcnt vmcnt(0)
	v_cmp_ne_u16_sdwa s[18:19], v5, v3 src0_sel:BYTE_0 src1_sel:DWORD
	s_or_b64 s[16:17], s[18:19], s[16:17]
	s_andn2_b64 exec, exec, s[16:17]
	s_cbranch_execnz .LBB123_23
	s_branch .LBB123_17
.LBB123_24:
                                        ; implicit-def: $vgpr1_vgpr2_vgpr3_vgpr4_vgpr5_vgpr6_vgpr7_vgpr8_vgpr9_vgpr10_vgpr11_vgpr12_vgpr13_vgpr14_vgpr15_vgpr16
	s_load_dwordx4 s[28:31], s[4:5], 0x40
	s_cbranch_execnz .LBB123_30
	s_branch .LBB123_39
.LBB123_25:
	s_and_saveexec_b64 s[14:15], s[2:3]
	s_cbranch_execz .LBB123_27
; %bb.26:
	s_add_i32 s2, s6, 64
	s_mov_b32 s3, 0
	s_lshl_b64 s[2:3], s[2:3], 3
	s_add_u32 s2, s10, s2
	v_add_u32_e32 v1, v37, v1
	v_mov_b32_e32 v2, 2
	s_addc_u32 s3, s11, s3
	v_mov_b32_e32 v3, 0
	global_store_dwordx2 v3, v[1:2], s[2:3]
.LBB123_27:
	s_or_b64 exec, exec, s[14:15]
	s_and_b64 exec, exec, s[0:1]
; %bb.28:
	v_mov_b32_e32 v1, 0
	ds_write_b32 v1, v37
.LBB123_29:
	s_or_b64 exec, exec, s[12:13]
	v_mov_b32_e32 v1, 0
	s_waitcnt vmcnt(0) lgkmcnt(0)
	s_barrier
	ds_read_b32 v1, v1
	s_waitcnt lgkmcnt(0)
	v_add_u32_e32 v1, v1, v10
	v_add_u32_e32 v2, v1, v29
	;; [unrolled: 1-line block ×15, first 2 shown]
	s_load_dwordx4 s[28:31], s[4:5], 0x40
	s_branch .LBB123_39
.LBB123_30:
	s_load_dword s0, s[4:5], 0x50
	s_load_dword s1, s[4:5], 0x28
	s_waitcnt lgkmcnt(0)
	s_bitcmp0_b32 s0, 0
	v_mov_b32_e32 v16, s1
	s_cbranch_scc1 .LBB123_32
; %bb.31:
	v_mov_b32_e32 v1, 0
	global_load_dword v1, v1, s[28:29]
	s_waitcnt vmcnt(0)
	v_add_u32_e32 v1, s7, v1
	v_add_u32_e32 v16, -1, v1
.LBB123_32:
	v_add3_u32 v1, v35, v26, v23
	v_add3_u32 v1, v1, v24, v21
	;; [unrolled: 1-line block ×4, first 2 shown]
	v_and_b32_e32 v2, 28, v34
	v_add3_u32 v1, v1, v18, v33
	v_lshl_add_u32 v2, v0, 2, v2
	v_cmp_gt_u32_e32 vcc, 64, v0
	ds_write_b32 v2, v1
	s_waitcnt lgkmcnt(0)
	s_barrier
	s_and_saveexec_b64 s[0:1], vcc
	s_cbranch_execz .LBB123_34
; %bb.33:
	v_lshrrev_b32_e32 v2, 1, v0
	v_and_b32_e32 v2, 0x7c, v2
	v_lshl_add_u32 v6, v0, 4, v2
	ds_read2_b32 v[2:3], v6 offset1:1
	ds_read2_b32 v[4:5], v6 offset0:2 offset1:3
	v_mbcnt_lo_u32_b32 v7, -1, 0
	v_mbcnt_hi_u32_b32 v7, -1, v7
	v_and_b32_e32 v8, 15, v7
	s_waitcnt lgkmcnt(1)
	v_add_u32_e32 v9, v3, v2
	s_waitcnt lgkmcnt(0)
	v_add3_u32 v9, v9, v4, v5
	v_cmp_ne_u32_e32 vcc, 0, v8
	s_nop 0
	v_mov_b32_dpp v10, v9 row_shr:1 row_mask:0xf bank_mask:0xf
	v_cndmask_b32_e32 v10, 0, v10, vcc
	v_add_u32_e32 v9, v10, v9
	v_cmp_lt_u32_e32 vcc, 1, v8
	s_nop 0
	v_mov_b32_dpp v10, v9 row_shr:2 row_mask:0xf bank_mask:0xf
	v_cndmask_b32_e32 v10, 0, v10, vcc
	v_add_u32_e32 v9, v9, v10
	v_cmp_lt_u32_e32 vcc, 3, v8
	;; [unrolled: 5-line block ×3, first 2 shown]
	s_nop 0
	v_mov_b32_dpp v10, v9 row_shr:8 row_mask:0xf bank_mask:0xf
	v_cndmask_b32_e32 v8, 0, v10, vcc
	v_add_u32_e32 v8, v9, v8
	v_bfe_i32 v10, v7, 4, 1
	v_cmp_lt_u32_e32 vcc, 31, v7
	v_mov_b32_dpp v9, v8 row_bcast:15 row_mask:0xf bank_mask:0xf
	v_and_b32_e32 v9, v10, v9
	v_add_u32_e32 v8, v8, v9
	v_and_b32_e32 v10, 64, v7
	s_nop 0
	v_mov_b32_dpp v9, v8 row_bcast:31 row_mask:0xf bank_mask:0xf
	v_cndmask_b32_e32 v9, 0, v9, vcc
	v_add_u32_e32 v8, v8, v9
	v_add_u32_e32 v9, -1, v7
	v_cmp_lt_i32_e32 vcc, v9, v10
	v_cndmask_b32_e32 v7, v9, v7, vcc
	v_lshlrev_b32_e32 v7, 2, v7
	ds_bpermute_b32 v7, v7, v8
	v_cmp_eq_u32_e32 vcc, 0, v0
	s_waitcnt lgkmcnt(0)
	v_add_u32_e32 v2, v7, v2
	v_cndmask_b32_e32 v1, v2, v1, vcc
	v_add_u32_e32 v2, v1, v3
	ds_write2_b32 v6, v1, v2 offset1:1
	v_add_u32_e32 v1, v2, v4
	v_add_u32_e32 v2, v1, v5
	ds_write2_b32 v6, v1, v2 offset0:2 offset1:3
.LBB123_34:
	s_or_b64 exec, exec, s[0:1]
	v_cmp_eq_u32_e32 vcc, 0, v0
	v_cmp_ne_u32_e64 s[0:1], 0, v0
	v_mov_b32_e32 v1, v16
	s_waitcnt lgkmcnt(0)
	s_barrier
	s_and_saveexec_b64 s[2:3], s[0:1]
	s_cbranch_execz .LBB123_36
; %bb.35:
	v_add_u32_e32 v1, -1, v0
	v_lshrrev_b32_e32 v2, 3, v1
	v_and_b32_e32 v2, 0x1ffffffc, v2
	v_lshl_add_u32 v1, v1, 2, v2
	ds_read_b32 v1, v1
	s_waitcnt lgkmcnt(0)
	v_add_u32_e32 v1, v1, v16
.LBB123_36:
	s_or_b64 exec, exec, s[2:3]
	v_add_u32_e32 v2, v1, v29
	v_add_u32_e32 v3, v2, v30
	;; [unrolled: 1-line block ×14, first 2 shown]
	s_and_saveexec_b64 s[0:1], vcc
	s_cbranch_execz .LBB123_38
; %bb.37:
	v_mov_b32_e32 v18, 0
	ds_read_b32 v17, v18 offset:1048
	s_waitcnt lgkmcnt(0)
	v_add_u32_e32 v16, v17, v16
	v_mov_b32_e32 v17, 2
	global_store_dwordx2 v18, v[16:17], s[10:11] offset:512
.LBB123_38:
	s_or_b64 exec, exec, s[0:1]
.LBB123_39:
	s_mov_b64 s[0:1], -1
	s_and_b64 vcc, exec, s[8:9]
	s_waitcnt vmcnt(0) lgkmcnt(0)
	s_barrier
	s_cbranch_vccz .LBB123_43
; %bb.40:
	s_add_u32 s0, s40, s35
	s_addc_u32 s1, s41, 0
	v_mov_b32_e32 v18, s1
	v_add_co_u32_e32 v17, vcc, s0, v0
	s_movk_i32 s0, 0x100
	v_addc_co_u32_e32 v18, vcc, 0, v18, vcc
	v_add_co_u32_e64 v19, s[0:1], s0, v17
	v_addc_co_u32_e64 v20, s[0:1], 0, v18, s[0:1]
	s_movk_i32 s2, 0x200
	v_cmp_eq_u64_e64 s[0:1], s[38:39], v[19:20]
	v_add_co_u32_e64 v19, s[2:3], s2, v17
	v_cmp_eq_u64_e32 vcc, s[38:39], v[17:18]
	v_addc_co_u32_e64 v20, s[2:3], 0, v18, s[2:3]
	v_cmp_eq_u64_e64 s[2:3], s[38:39], v[19:20]
	s_or_b64 s[6:7], vcc, s[0:1]
	s_or_b64 s[10:11], s[2:3], s[6:7]
	s_movk_i32 s6, 0x300
	v_add_co_u32_e32 v19, vcc, s6, v17
	v_addc_co_u32_e32 v20, vcc, 0, v18, vcc
	s_movk_i32 s8, 0x400
	v_cmp_eq_u64_e64 s[6:7], s[38:39], v[19:20]
	v_add_co_u32_e32 v19, vcc, s8, v17
	v_addc_co_u32_e32 v20, vcc, 0, v18, vcc
	v_cmp_eq_u64_e64 s[8:9], s[38:39], v[19:20]
	s_or_b64 s[10:11], s[6:7], s[10:11]
	s_or_b64 s[14:15], s[8:9], s[10:11]
	s_movk_i32 s10, 0x500
	v_add_co_u32_e32 v19, vcc, s10, v17
	v_addc_co_u32_e32 v20, vcc, 0, v18, vcc
	s_movk_i32 s12, 0x600
	v_cmp_eq_u64_e64 s[10:11], s[38:39], v[19:20]
	v_add_co_u32_e32 v19, vcc, s12, v17
	v_addc_co_u32_e32 v20, vcc, 0, v18, vcc
	v_cmp_eq_u64_e64 s[12:13], s[38:39], v[19:20]
	s_or_b64 s[14:15], s[10:11], s[14:15]
	s_or_b64 s[18:19], s[12:13], s[14:15]
	s_movk_i32 s14, 0x700
	v_add_co_u32_e32 v19, vcc, s14, v17
	v_addc_co_u32_e32 v20, vcc, 0, v18, vcc
	s_movk_i32 s16, 0x800
	v_cmp_eq_u64_e64 s[14:15], s[38:39], v[19:20]
	v_add_co_u32_e32 v19, vcc, s16, v17
	v_addc_co_u32_e32 v20, vcc, 0, v18, vcc
	v_cmp_eq_u64_e64 s[16:17], s[38:39], v[19:20]
	s_or_b64 s[18:19], s[14:15], s[18:19]
	s_or_b64 s[22:23], s[16:17], s[18:19]
	s_movk_i32 s18, 0x900
	v_add_co_u32_e32 v19, vcc, s18, v17
	v_addc_co_u32_e32 v20, vcc, 0, v18, vcc
	s_movk_i32 s20, 0xa00
	v_cmp_eq_u64_e64 s[18:19], s[38:39], v[19:20]
	v_add_co_u32_e32 v19, vcc, s20, v17
	v_addc_co_u32_e32 v20, vcc, 0, v18, vcc
	v_cmp_eq_u64_e64 s[20:21], s[38:39], v[19:20]
	s_or_b64 s[22:23], s[18:19], s[22:23]
	s_or_b64 s[26:27], s[20:21], s[22:23]
	s_movk_i32 s22, 0xb00
	v_add_co_u32_e32 v19, vcc, s22, v17
	v_addc_co_u32_e32 v20, vcc, 0, v18, vcc
	s_movk_i32 s24, 0xc00
	v_cmp_eq_u64_e64 s[22:23], s[38:39], v[19:20]
	v_add_co_u32_e32 v19, vcc, s24, v17
	v_addc_co_u32_e32 v20, vcc, 0, v18, vcc
	v_cmp_eq_u64_e64 s[24:25], s[38:39], v[19:20]
	s_or_b64 s[26:27], s[22:23], s[26:27]
	s_or_b64 s[28:29], s[24:25], s[26:27]
	s_movk_i32 s26, 0xd00
	v_add_co_u32_e32 v19, vcc, s26, v17
	v_addc_co_u32_e32 v20, vcc, 0, v18, vcc
	v_add_co_u32_e32 v17, vcc, 0xe00, v17
	v_cmp_eq_u64_e64 s[26:27], s[38:39], v[19:20]
	v_addc_co_u32_e32 v18, vcc, 0, v18, vcc
	v_cmp_eq_u64_e32 vcc, s[38:39], v[17:18]
	s_or_b64 s[28:29], s[26:27], s[28:29]
	v_mov_b32_e32 v16, 0
	s_or_b64 s[42:43], vcc, s[28:29]
	ds_write2_b32 v32, v1, v2 offset1:1
	ds_write2_b32 v32, v3, v4 offset0:2 offset1:3
	ds_write2_b32 v32, v5, v6 offset0:4 offset1:5
	;; [unrolled: 1-line block ×6, first 2 shown]
	ds_write_b32 v32, v15 offset:56
	s_waitcnt lgkmcnt(0)
	s_barrier
	s_and_saveexec_b64 s[28:29], s[42:43]
	s_cbranch_execz .LBB123_42
; %bb.41:
	ds_read_b32 v33, v31 offset:14336
	ds_read2st64_b32 v[17:18], v31 offset0:48 offset1:52
	ds_read2st64_b32 v[19:20], v31 offset0:40 offset1:44
	ds_read2st64_b32 v[21:22], v31 offset1:4
	ds_read2st64_b32 v[23:24], v31 offset0:8 offset1:12
	ds_read2st64_b32 v[25:26], v31 offset0:32 offset1:36
	;; [unrolled: 1-line block ×4, first 2 shown]
	s_waitcnt lgkmcnt(4)
	v_cndmask_b32_e64 v21, v21, v22, s[0:1]
	s_waitcnt lgkmcnt(3)
	v_cndmask_b32_e64 v21, v21, v23, s[2:3]
	v_cndmask_b32_e64 v21, v21, v24, s[6:7]
	s_waitcnt lgkmcnt(1)
	v_cndmask_b32_e64 v21, v21, v27, s[8:9]
	;; [unrolled: 3-line block ×3, first 2 shown]
	v_cndmask_b32_e64 v21, v21, v30, s[14:15]
	v_cndmask_b32_e64 v21, v21, v25, s[16:17]
	;; [unrolled: 1-line block ×7, first 2 shown]
	v_cndmask_b32_e32 v17, v17, v33, vcc
	global_store_dword v16, v17, s[36:37]
.LBB123_42:
	s_or_b64 exec, exec, s[28:29]
	s_mov_b64 s[0:1], 0
.LBB123_43:
	s_andn2_b64 vcc, exec, s[0:1]
	s_cbranch_vccnz .LBB123_101
; %bb.44:
	v_add_co_u32_e32 v17, vcc, s35, v0
	v_addc_co_u32_e64 v18, s[0:1], 0, 0, vcc
	v_mov_b32_e32 v19, s41
	v_add_co_u32_e32 v17, vcc, s40, v17
	v_addc_co_u32_e32 v18, vcc, v18, v19, vcc
	v_cmp_eq_u64_e32 vcc, s[38:39], v[17:18]
	v_cmp_gt_u32_e64 s[0:1], s33, v0
	s_and_b64 s[2:3], s[0:1], vcc
	s_movk_i32 s0, 0x100
	v_add_co_u32_e32 v19, vcc, s0, v17
	v_addc_co_u32_e32 v20, vcc, 0, v18, vcc
	v_or_b32_e32 v21, 0x100, v0
	v_cmp_eq_u64_e32 vcc, s[38:39], v[19:20]
	v_cmp_gt_u32_e64 s[0:1], s33, v21
	s_and_b64 s[0:1], s[0:1], vcc
	s_or_b64 s[6:7], s[2:3], s[0:1]
	s_movk_i32 s2, 0x200
	v_add_co_u32_e32 v19, vcc, s2, v17
	v_addc_co_u32_e32 v20, vcc, 0, v18, vcc
	v_or_b32_e32 v21, 0x200, v0
	v_cmp_eq_u64_e32 vcc, s[38:39], v[19:20]
	v_cmp_gt_u32_e64 s[2:3], s33, v21
	s_and_b64 s[2:3], s[2:3], vcc
	s_or_b64 s[8:9], s[2:3], s[6:7]
	;; [unrolled: 8-line block ×11, first 2 shown]
	s_movk_i32 s24, 0xc00
	v_add_co_u32_e32 v19, vcc, s24, v17
	v_addc_co_u32_e32 v20, vcc, 0, v18, vcc
	v_or_b32_e32 v21, 0xc00, v0
	v_cmp_eq_u64_e32 vcc, s[38:39], v[19:20]
	v_cmp_gt_u32_e64 s[24:25], s33, v21
	s_and_b64 s[24:25], s[24:25], vcc
	ds_write2_b32 v32, v1, v2 offset1:1
	ds_write2_b32 v32, v3, v4 offset0:2 offset1:3
	ds_write2_b32 v32, v5, v6 offset0:4 offset1:5
	;; [unrolled: 1-line block ×6, first 2 shown]
	ds_write_b32 v32, v15 offset:56
	s_waitcnt vmcnt(0) lgkmcnt(0)
	s_barrier
	ds_read2st64_b32 v[4:5], v31 offset1:4
	ds_read2st64_b32 v[8:9], v31 offset0:8 offset1:12
	ds_read2st64_b32 v[6:7], v31 offset0:16 offset1:20
	ds_read2st64_b32 v[14:15], v31 offset0:24 offset1:28
	ds_read2st64_b32 v[10:11], v31 offset0:32 offset1:36
	ds_read2st64_b32 v[2:3], v31 offset0:40 offset1:44
	ds_read2st64_b32 v[12:13], v31 offset0:48 offset1:52
	ds_read_b32 v16, v31 offset:14336
	s_or_b64 s[28:29], s[24:25], s[26:27]
	s_movk_i32 s26, 0xd00
	v_add_co_u32_e32 v19, vcc, s26, v17
	v_addc_co_u32_e32 v20, vcc, 0, v18, vcc
	v_or_b32_e32 v21, 0xd00, v0
	v_cmp_eq_u64_e32 vcc, s[38:39], v[19:20]
	v_cmp_gt_u32_e64 s[26:27], s33, v21
	s_and_b64 s[26:27], s[26:27], vcc
	v_add_co_u32_e32 v17, vcc, 0xe00, v17
	v_addc_co_u32_e32 v18, vcc, 0, v18, vcc
	v_or_b32_e32 v19, 0xe00, v0
	v_cmp_eq_u64_e32 vcc, s[38:39], v[17:18]
	s_or_b64 s[40:41], s[26:27], s[28:29]
	v_cmp_gt_u32_e64 s[28:29], s33, v19
	s_and_b64 vcc, s[28:29], vcc
	v_mov_b32_e32 v1, 0
	s_or_b64 s[38:39], vcc, s[40:41]
	s_and_saveexec_b64 s[28:29], s[38:39]
	s_cbranch_execz .LBB123_46
; %bb.45:
	s_waitcnt lgkmcnt(7)
	v_cndmask_b32_e64 v17, v4, v5, s[0:1]
	s_waitcnt lgkmcnt(6)
	v_cndmask_b32_e64 v17, v17, v8, s[2:3]
	v_cndmask_b32_e64 v17, v17, v9, s[6:7]
	s_waitcnt lgkmcnt(5)
	v_cndmask_b32_e64 v17, v17, v6, s[8:9]
	;; [unrolled: 3-line block ×6, first 2 shown]
	v_cndmask_b32_e64 v17, v17, v13, s[26:27]
	s_waitcnt lgkmcnt(0)
	v_cndmask_b32_e32 v17, v17, v16, vcc
	global_store_dword v1, v17, s[36:37]
.LBB123_46:
	s_or_b64 exec, exec, s[28:29]
	s_load_dword s0, s[4:5], 0x50
	s_waitcnt lgkmcnt(0)
	s_bfe_u32 s0, s0, 0x10008
	s_cmp_eq_u32 s0, 0
	s_cbranch_scc1 .LBB123_101
; %bb.47:
	s_add_u32 s0, s33, -1
	s_addc_u32 s1, s34, -1
	s_mul_i32 s5, s1, 0x88888889
	s_mul_hi_u32 s6, s0, 0x88888889
	s_mul_hi_u32 s4, s1, 0x88888889
	s_add_u32 s5, s5, s6
	s_mul_i32 s3, s0, 0x88888888
	s_addc_u32 s4, s4, 0
	s_mul_hi_u32 s2, s0, 0x88888888
	s_add_u32 s3, s3, s5
	s_addc_u32 s2, s2, 0
	s_add_u32 s2, s4, s2
	s_addc_u32 s3, 0, 0
	s_mul_i32 s5, s1, 0x88888888
	s_mul_hi_u32 s4, s1, 0x88888888
	s_add_u32 s2, s5, s2
	s_addc_u32 s3, s4, s3
	s_lshr_b64 s[2:3], s[2:3], 3
	v_cmp_eq_u64_e32 vcc, s[2:3], v[0:1]
	s_and_saveexec_b64 s[2:3], vcc
	s_cbranch_execz .LBB123_101
; %bb.48:
	v_mul_hi_u32_u24_e32 v1, 15, v0
	v_mul_u32_u24_e32 v0, 15, v0
	v_mov_b32_e32 v17, s1
	v_sub_co_u32_e32 v0, vcc, s0, v0
	v_subb_co_u32_e32 v1, vcc, v17, v1, vcc
	v_cmp_lt_i64_e32 vcc, 7, v[0:1]
	s_and_saveexec_b64 s[0:1], vcc
	s_xor_b64 s[0:1], exec, s[0:1]
	s_cbranch_execz .LBB123_74
; %bb.49:
	v_cmp_lt_i64_e32 vcc, 10, v[0:1]
	s_and_saveexec_b64 s[2:3], vcc
	s_xor_b64 s[2:3], exec, s[2:3]
	s_cbranch_execz .LBB123_63
; %bb.50:
	;; [unrolled: 5-line block ×4, first 2 shown]
	v_mov_b32_e32 v0, 0
	global_store_dword v0, v16, s[30:31]
                                        ; implicit-def: $vgpr12_vgpr13
.LBB123_53:
	s_andn2_saveexec_b64 s[6:7], s[6:7]
	s_cbranch_execz .LBB123_55
; %bb.54:
	v_mov_b32_e32 v0, 0
	global_store_dword v0, v13, s[30:31]
.LBB123_55:
	s_or_b64 exec, exec, s[6:7]
                                        ; implicit-def: $vgpr2_vgpr3
                                        ; implicit-def: $vgpr0_vgpr1
                                        ; implicit-def: $vgpr12_vgpr13
.LBB123_56:
	s_andn2_saveexec_b64 s[4:5], s[4:5]
	s_cbranch_execz .LBB123_62
; %bb.57:
	v_cmp_lt_i64_e32 vcc, 11, v[0:1]
	s_and_saveexec_b64 s[6:7], vcc
	s_xor_b64 s[6:7], exec, s[6:7]
	s_cbranch_execz .LBB123_59
; %bb.58:
	v_mov_b32_e32 v0, 0
	global_store_dword v0, v12, s[30:31]
                                        ; implicit-def: $vgpr2_vgpr3
.LBB123_59:
	s_andn2_saveexec_b64 s[6:7], s[6:7]
	s_cbranch_execz .LBB123_61
; %bb.60:
	v_mov_b32_e32 v0, 0
	global_store_dword v0, v3, s[30:31]
.LBB123_61:
	s_or_b64 exec, exec, s[6:7]
.LBB123_62:
	s_or_b64 exec, exec, s[4:5]
                                        ; implicit-def: $vgpr10_vgpr11
                                        ; implicit-def: $vgpr0_vgpr1
                                        ; implicit-def: $vgpr2_vgpr3
.LBB123_63:
	s_andn2_saveexec_b64 s[2:3], s[2:3]
	s_cbranch_execz .LBB123_73
; %bb.64:
	v_cmp_lt_i64_e32 vcc, 8, v[0:1]
	s_and_saveexec_b64 s[4:5], vcc
	s_xor_b64 s[4:5], exec, s[4:5]
	s_cbranch_execz .LBB123_70
; %bb.65:
	v_cmp_lt_i64_e32 vcc, 9, v[0:1]
	s_and_saveexec_b64 s[6:7], vcc
	s_xor_b64 s[6:7], exec, s[6:7]
	s_cbranch_execz .LBB123_67
; %bb.66:
	v_mov_b32_e32 v0, 0
	global_store_dword v0, v2, s[30:31]
                                        ; implicit-def: $vgpr10_vgpr11
.LBB123_67:
	s_andn2_saveexec_b64 s[6:7], s[6:7]
	s_cbranch_execz .LBB123_69
; %bb.68:
	v_mov_b32_e32 v0, 0
	global_store_dword v0, v11, s[30:31]
.LBB123_69:
	s_or_b64 exec, exec, s[6:7]
                                        ; implicit-def: $vgpr10_vgpr11
.LBB123_70:
	s_andn2_saveexec_b64 s[4:5], s[4:5]
	s_cbranch_execz .LBB123_72
; %bb.71:
	v_mov_b32_e32 v0, 0
	global_store_dword v0, v10, s[30:31]
.LBB123_72:
	s_or_b64 exec, exec, s[4:5]
.LBB123_73:
	s_or_b64 exec, exec, s[2:3]
                                        ; implicit-def: $vgpr0_vgpr1
                                        ; implicit-def: $vgpr4_vgpr5
                                        ; implicit-def: $vgpr6_vgpr7
                                        ; implicit-def: $vgpr8_vgpr9
                                        ; implicit-def: $vgpr14_vgpr15
.LBB123_74:
	s_andn2_saveexec_b64 s[0:1], s[0:1]
	s_cbranch_execz .LBB123_101
; %bb.75:
	v_cmp_lt_i64_e32 vcc, 3, v[0:1]
	s_and_saveexec_b64 s[0:1], vcc
	s_xor_b64 s[0:1], exec, s[0:1]
	s_cbranch_execz .LBB123_89
; %bb.76:
	v_cmp_lt_i64_e32 vcc, 5, v[0:1]
	s_and_saveexec_b64 s[2:3], vcc
	s_xor_b64 s[2:3], exec, s[2:3]
	;; [unrolled: 5-line block ×3, first 2 shown]
	s_cbranch_execz .LBB123_79
; %bb.78:
	v_mov_b32_e32 v0, 0
	global_store_dword v0, v15, s[30:31]
                                        ; implicit-def: $vgpr14_vgpr15
.LBB123_79:
	s_andn2_saveexec_b64 s[4:5], s[4:5]
	s_cbranch_execz .LBB123_81
; %bb.80:
	v_mov_b32_e32 v0, 0
	global_store_dword v0, v14, s[30:31]
.LBB123_81:
	s_or_b64 exec, exec, s[4:5]
                                        ; implicit-def: $vgpr6_vgpr7
                                        ; implicit-def: $vgpr0_vgpr1
.LBB123_82:
	s_andn2_saveexec_b64 s[2:3], s[2:3]
	s_cbranch_execz .LBB123_88
; %bb.83:
	v_cmp_lt_i64_e32 vcc, 4, v[0:1]
	s_and_saveexec_b64 s[4:5], vcc
	s_xor_b64 s[4:5], exec, s[4:5]
	s_cbranch_execz .LBB123_85
; %bb.84:
	v_mov_b32_e32 v0, 0
	global_store_dword v0, v7, s[30:31]
                                        ; implicit-def: $vgpr6_vgpr7
.LBB123_85:
	s_andn2_saveexec_b64 s[4:5], s[4:5]
	s_cbranch_execz .LBB123_87
; %bb.86:
	v_mov_b32_e32 v0, 0
	global_store_dword v0, v6, s[30:31]
.LBB123_87:
	s_or_b64 exec, exec, s[4:5]
.LBB123_88:
	s_or_b64 exec, exec, s[2:3]
                                        ; implicit-def: $vgpr0_vgpr1
                                        ; implicit-def: $vgpr4_vgpr5
                                        ; implicit-def: $vgpr8_vgpr9
.LBB123_89:
	s_andn2_saveexec_b64 s[0:1], s[0:1]
	s_cbranch_execz .LBB123_101
; %bb.90:
	v_cmp_lt_i64_e32 vcc, 1, v[0:1]
	s_and_saveexec_b64 s[0:1], vcc
	s_xor_b64 s[0:1], exec, s[0:1]
	s_cbranch_execz .LBB123_96
; %bb.91:
	v_cmp_lt_i64_e32 vcc, 2, v[0:1]
	s_and_saveexec_b64 s[2:3], vcc
	s_xor_b64 s[2:3], exec, s[2:3]
	s_cbranch_execz .LBB123_93
; %bb.92:
	v_mov_b32_e32 v0, 0
	global_store_dword v0, v9, s[30:31]
                                        ; implicit-def: $vgpr8_vgpr9
.LBB123_93:
	s_andn2_saveexec_b64 s[2:3], s[2:3]
	s_cbranch_execz .LBB123_95
; %bb.94:
	v_mov_b32_e32 v0, 0
	global_store_dword v0, v8, s[30:31]
.LBB123_95:
	s_or_b64 exec, exec, s[2:3]
                                        ; implicit-def: $vgpr4_vgpr5
                                        ; implicit-def: $vgpr0_vgpr1
.LBB123_96:
	s_andn2_saveexec_b64 s[0:1], s[0:1]
	s_cbranch_execz .LBB123_101
; %bb.97:
	v_cmp_ne_u64_e32 vcc, 1, v[0:1]
	s_and_saveexec_b64 s[0:1], vcc
	s_xor_b64 s[0:1], exec, s[0:1]
	s_cbranch_execz .LBB123_99
; %bb.98:
	v_mov_b32_e32 v0, 0
	global_store_dword v0, v4, s[30:31]
                                        ; implicit-def: $vgpr4_vgpr5
.LBB123_99:
	s_andn2_saveexec_b64 s[0:1], s[0:1]
	s_cbranch_execz .LBB123_101
; %bb.100:
	v_mov_b32_e32 v0, 0
	global_store_dword v0, v5, s[30:31]
.LBB123_101:
	s_endpgm
	.section	.rodata,"a",@progbits
	.p2align	6, 0x0
	.amdhsa_kernel _ZN7rocprim6detail20lookback_scan_kernelILNS0_25lookback_scan_determinismE0ELb1ENS0_19wrapped_scan_configINS_14default_configEjEEN6hipcub21CountingInputIteratorIjlEEN10test_utils21single_index_iteratorIjEENS6_3SumEjjNS0_19lookback_scan_stateIjLb0ELb1EEEEEvT2_T3_mT5_T4_T7_jPT6_SL_bb
		.amdhsa_group_segment_fixed_size 15360
		.amdhsa_private_segment_fixed_size 0
		.amdhsa_kernarg_size 84
		.amdhsa_user_sgpr_count 6
		.amdhsa_user_sgpr_private_segment_buffer 1
		.amdhsa_user_sgpr_dispatch_ptr 0
		.amdhsa_user_sgpr_queue_ptr 0
		.amdhsa_user_sgpr_kernarg_segment_ptr 1
		.amdhsa_user_sgpr_dispatch_id 0
		.amdhsa_user_sgpr_flat_scratch_init 0
		.amdhsa_user_sgpr_private_segment_size 0
		.amdhsa_uses_dynamic_stack 0
		.amdhsa_system_sgpr_private_segment_wavefront_offset 0
		.amdhsa_system_sgpr_workgroup_id_x 1
		.amdhsa_system_sgpr_workgroup_id_y 0
		.amdhsa_system_sgpr_workgroup_id_z 0
		.amdhsa_system_sgpr_workgroup_info 0
		.amdhsa_system_vgpr_workitem_id 0
		.amdhsa_next_free_vgpr 49
		.amdhsa_next_free_sgpr 98
		.amdhsa_reserve_vcc 1
		.amdhsa_reserve_flat_scratch 0
		.amdhsa_float_round_mode_32 0
		.amdhsa_float_round_mode_16_64 0
		.amdhsa_float_denorm_mode_32 3
		.amdhsa_float_denorm_mode_16_64 3
		.amdhsa_dx10_clamp 1
		.amdhsa_ieee_mode 1
		.amdhsa_fp16_overflow 0
		.amdhsa_exception_fp_ieee_invalid_op 0
		.amdhsa_exception_fp_denorm_src 0
		.amdhsa_exception_fp_ieee_div_zero 0
		.amdhsa_exception_fp_ieee_overflow 0
		.amdhsa_exception_fp_ieee_underflow 0
		.amdhsa_exception_fp_ieee_inexact 0
		.amdhsa_exception_int_div_zero 0
	.end_amdhsa_kernel
	.section	.text._ZN7rocprim6detail20lookback_scan_kernelILNS0_25lookback_scan_determinismE0ELb1ENS0_19wrapped_scan_configINS_14default_configEjEEN6hipcub21CountingInputIteratorIjlEEN10test_utils21single_index_iteratorIjEENS6_3SumEjjNS0_19lookback_scan_stateIjLb0ELb1EEEEEvT2_T3_mT5_T4_T7_jPT6_SL_bb,"axG",@progbits,_ZN7rocprim6detail20lookback_scan_kernelILNS0_25lookback_scan_determinismE0ELb1ENS0_19wrapped_scan_configINS_14default_configEjEEN6hipcub21CountingInputIteratorIjlEEN10test_utils21single_index_iteratorIjEENS6_3SumEjjNS0_19lookback_scan_stateIjLb0ELb1EEEEEvT2_T3_mT5_T4_T7_jPT6_SL_bb,comdat
.Lfunc_end123:
	.size	_ZN7rocprim6detail20lookback_scan_kernelILNS0_25lookback_scan_determinismE0ELb1ENS0_19wrapped_scan_configINS_14default_configEjEEN6hipcub21CountingInputIteratorIjlEEN10test_utils21single_index_iteratorIjEENS6_3SumEjjNS0_19lookback_scan_stateIjLb0ELb1EEEEEvT2_T3_mT5_T4_T7_jPT6_SL_bb, .Lfunc_end123-_ZN7rocprim6detail20lookback_scan_kernelILNS0_25lookback_scan_determinismE0ELb1ENS0_19wrapped_scan_configINS_14default_configEjEEN6hipcub21CountingInputIteratorIjlEEN10test_utils21single_index_iteratorIjEENS6_3SumEjjNS0_19lookback_scan_stateIjLb0ELb1EEEEEvT2_T3_mT5_T4_T7_jPT6_SL_bb
                                        ; -- End function
	.set _ZN7rocprim6detail20lookback_scan_kernelILNS0_25lookback_scan_determinismE0ELb1ENS0_19wrapped_scan_configINS_14default_configEjEEN6hipcub21CountingInputIteratorIjlEEN10test_utils21single_index_iteratorIjEENS6_3SumEjjNS0_19lookback_scan_stateIjLb0ELb1EEEEEvT2_T3_mT5_T4_T7_jPT6_SL_bb.num_vgpr, 45
	.set _ZN7rocprim6detail20lookback_scan_kernelILNS0_25lookback_scan_determinismE0ELb1ENS0_19wrapped_scan_configINS_14default_configEjEEN6hipcub21CountingInputIteratorIjlEEN10test_utils21single_index_iteratorIjEENS6_3SumEjjNS0_19lookback_scan_stateIjLb0ELb1EEEEEvT2_T3_mT5_T4_T7_jPT6_SL_bb.num_agpr, 0
	.set _ZN7rocprim6detail20lookback_scan_kernelILNS0_25lookback_scan_determinismE0ELb1ENS0_19wrapped_scan_configINS_14default_configEjEEN6hipcub21CountingInputIteratorIjlEEN10test_utils21single_index_iteratorIjEENS6_3SumEjjNS0_19lookback_scan_stateIjLb0ELb1EEEEEvT2_T3_mT5_T4_T7_jPT6_SL_bb.numbered_sgpr, 44
	.set _ZN7rocprim6detail20lookback_scan_kernelILNS0_25lookback_scan_determinismE0ELb1ENS0_19wrapped_scan_configINS_14default_configEjEEN6hipcub21CountingInputIteratorIjlEEN10test_utils21single_index_iteratorIjEENS6_3SumEjjNS0_19lookback_scan_stateIjLb0ELb1EEEEEvT2_T3_mT5_T4_T7_jPT6_SL_bb.num_named_barrier, 0
	.set _ZN7rocprim6detail20lookback_scan_kernelILNS0_25lookback_scan_determinismE0ELb1ENS0_19wrapped_scan_configINS_14default_configEjEEN6hipcub21CountingInputIteratorIjlEEN10test_utils21single_index_iteratorIjEENS6_3SumEjjNS0_19lookback_scan_stateIjLb0ELb1EEEEEvT2_T3_mT5_T4_T7_jPT6_SL_bb.private_seg_size, 0
	.set _ZN7rocprim6detail20lookback_scan_kernelILNS0_25lookback_scan_determinismE0ELb1ENS0_19wrapped_scan_configINS_14default_configEjEEN6hipcub21CountingInputIteratorIjlEEN10test_utils21single_index_iteratorIjEENS6_3SumEjjNS0_19lookback_scan_stateIjLb0ELb1EEEEEvT2_T3_mT5_T4_T7_jPT6_SL_bb.uses_vcc, 1
	.set _ZN7rocprim6detail20lookback_scan_kernelILNS0_25lookback_scan_determinismE0ELb1ENS0_19wrapped_scan_configINS_14default_configEjEEN6hipcub21CountingInputIteratorIjlEEN10test_utils21single_index_iteratorIjEENS6_3SumEjjNS0_19lookback_scan_stateIjLb0ELb1EEEEEvT2_T3_mT5_T4_T7_jPT6_SL_bb.uses_flat_scratch, 0
	.set _ZN7rocprim6detail20lookback_scan_kernelILNS0_25lookback_scan_determinismE0ELb1ENS0_19wrapped_scan_configINS_14default_configEjEEN6hipcub21CountingInputIteratorIjlEEN10test_utils21single_index_iteratorIjEENS6_3SumEjjNS0_19lookback_scan_stateIjLb0ELb1EEEEEvT2_T3_mT5_T4_T7_jPT6_SL_bb.has_dyn_sized_stack, 0
	.set _ZN7rocprim6detail20lookback_scan_kernelILNS0_25lookback_scan_determinismE0ELb1ENS0_19wrapped_scan_configINS_14default_configEjEEN6hipcub21CountingInputIteratorIjlEEN10test_utils21single_index_iteratorIjEENS6_3SumEjjNS0_19lookback_scan_stateIjLb0ELb1EEEEEvT2_T3_mT5_T4_T7_jPT6_SL_bb.has_recursion, 0
	.set _ZN7rocprim6detail20lookback_scan_kernelILNS0_25lookback_scan_determinismE0ELb1ENS0_19wrapped_scan_configINS_14default_configEjEEN6hipcub21CountingInputIteratorIjlEEN10test_utils21single_index_iteratorIjEENS6_3SumEjjNS0_19lookback_scan_stateIjLb0ELb1EEEEEvT2_T3_mT5_T4_T7_jPT6_SL_bb.has_indirect_call, 0
	.section	.AMDGPU.csdata,"",@progbits
; Kernel info:
; codeLenInByte = 5300
; TotalNumSgprs: 48
; NumVgprs: 45
; ScratchSize: 0
; MemoryBound: 0
; FloatMode: 240
; IeeeMode: 1
; LDSByteSize: 15360 bytes/workgroup (compile time only)
; SGPRBlocks: 12
; VGPRBlocks: 12
; NumSGPRsForWavesPerEU: 102
; NumVGPRsForWavesPerEU: 49
; Occupancy: 4
; WaveLimiterHint : 0
; COMPUTE_PGM_RSRC2:SCRATCH_EN: 0
; COMPUTE_PGM_RSRC2:USER_SGPR: 6
; COMPUTE_PGM_RSRC2:TRAP_HANDLER: 0
; COMPUTE_PGM_RSRC2:TGID_X_EN: 1
; COMPUTE_PGM_RSRC2:TGID_Y_EN: 0
; COMPUTE_PGM_RSRC2:TGID_Z_EN: 0
; COMPUTE_PGM_RSRC2:TIDIG_COMP_CNT: 0
	.section	.text._ZN7rocprim6detail18single_scan_kernelILb1ENS0_19wrapped_scan_configINS_14default_configEjEEN6hipcub21CountingInputIteratorIjlEEN10test_utils21single_index_iteratorIjEENS5_3SumEjjEEvT1_mT4_T2_T3_,"axG",@progbits,_ZN7rocprim6detail18single_scan_kernelILb1ENS0_19wrapped_scan_configINS_14default_configEjEEN6hipcub21CountingInputIteratorIjlEEN10test_utils21single_index_iteratorIjEENS5_3SumEjjEEvT1_mT4_T2_T3_,comdat
	.protected	_ZN7rocprim6detail18single_scan_kernelILb1ENS0_19wrapped_scan_configINS_14default_configEjEEN6hipcub21CountingInputIteratorIjlEEN10test_utils21single_index_iteratorIjEENS5_3SumEjjEEvT1_mT4_T2_T3_ ; -- Begin function _ZN7rocprim6detail18single_scan_kernelILb1ENS0_19wrapped_scan_configINS_14default_configEjEEN6hipcub21CountingInputIteratorIjlEEN10test_utils21single_index_iteratorIjEENS5_3SumEjjEEvT1_mT4_T2_T3_
	.globl	_ZN7rocprim6detail18single_scan_kernelILb1ENS0_19wrapped_scan_configINS_14default_configEjEEN6hipcub21CountingInputIteratorIjlEEN10test_utils21single_index_iteratorIjEENS5_3SumEjjEEvT1_mT4_T2_T3_
	.p2align	8
	.type	_ZN7rocprim6detail18single_scan_kernelILb1ENS0_19wrapped_scan_configINS_14default_configEjEEN6hipcub21CountingInputIteratorIjlEEN10test_utils21single_index_iteratorIjEENS5_3SumEjjEEvT1_mT4_T2_T3_,@function
_ZN7rocprim6detail18single_scan_kernelILb1ENS0_19wrapped_scan_configINS_14default_configEjEEN6hipcub21CountingInputIteratorIjlEEN10test_utils21single_index_iteratorIjEENS5_3SumEjjEEvT1_mT4_T2_T3_: ; @_ZN7rocprim6detail18single_scan_kernelILb1ENS0_19wrapped_scan_configINS_14default_configEjEEN6hipcub21CountingInputIteratorIjlEEN10test_utils21single_index_iteratorIjEENS5_3SumEjjEEvT1_mT4_T2_T3_
; %bb.0:
	s_load_dword s0, s[4:5], 0x0
	s_load_dword s1, s[4:5], 0x8
	s_load_dwordx4 s[36:39], s[4:5], 0x18
	s_load_dwordx2 s[34:35], s[4:5], 0x28
	v_or_b32_e32 v4, 0x100, v0
	s_waitcnt lgkmcnt(0)
	v_add_u32_e32 v1, s0, v0
	v_mov_b32_e32 v2, s0
	v_add_u32_e32 v5, 0x100, v1
	v_cmp_gt_u32_e64 s[26:27], s1, v4
	v_cndmask_b32_e64 v4, v2, v5, s[26:27]
	v_or_b32_e32 v5, 0x200, v0
	v_add_u32_e32 v6, 0x200, v1
	v_cmp_gt_u32_e64 s[24:25], s1, v5
	v_cndmask_b32_e64 v5, v2, v6, s[24:25]
	v_or_b32_e32 v6, 0x300, v0
	;; [unrolled: 4-line block ×10, first 2 shown]
	v_add_u32_e32 v15, 0xb00, v1
	v_cmp_gt_u32_e32 vcc, s1, v14
	v_cndmask_b32_e32 v14, v2, v15, vcc
	v_or_b32_e32 v15, 0xc00, v0
	v_cmp_gt_u32_e64 s[28:29], s1, v15
	v_or_b32_e32 v15, 0xd00, v0
	v_cmp_gt_u32_e64 s[22:23], s1, v0
	v_add_u32_e32 v16, 0xc00, v1
	v_cmp_gt_u32_e64 s[2:3], s1, v15
	v_or_b32_e32 v15, 0xe00, v0
	v_cndmask_b32_e64 v3, v2, v1, s[22:23]
	v_cndmask_b32_e64 v16, v2, v16, s[28:29]
	v_add_u32_e32 v17, 0xd00, v1
	v_add_u32_e32 v1, 0xe00, v1
	v_cmp_gt_u32_e64 s[0:1], s1, v15
	v_lshlrev_b32_e32 v15, 2, v0
	v_cndmask_b32_e64 v17, v2, v17, s[2:3]
	v_cndmask_b32_e64 v1, v2, v1, s[0:1]
	ds_write2st64_b32 v15, v3, v4 offset1:4
	ds_write2st64_b32 v15, v5, v6 offset0:8 offset1:12
	ds_write2st64_b32 v15, v7, v8 offset0:16 offset1:20
	;; [unrolled: 1-line block ×6, first 2 shown]
	ds_write_b32 v15, v1 offset:14336
	v_mad_u32_u24 v16, v0, 56, v15
	s_waitcnt lgkmcnt(0)
	s_barrier
	ds_read2_b32 v[13:14], v16 offset1:1
	ds_read2_b32 v[11:12], v16 offset0:2 offset1:3
	ds_read2_b32 v[9:10], v16 offset0:4 offset1:5
	;; [unrolled: 1-line block ×6, first 2 shown]
	ds_read_b32 v16, v16 offset:56
	s_waitcnt lgkmcnt(6)
	v_add3_u32 v17, v14, v13, v11
	s_waitcnt lgkmcnt(5)
	v_add3_u32 v17, v17, v12, v9
	;; [unrolled: 2-line block ×7, first 2 shown]
	v_lshrrev_b32_e32 v17, 3, v0
	v_and_b32_e32 v17, 28, v17
	v_add_u32_e32 v17, v15, v17
	v_cmp_gt_u32_e64 s[30:31], 64, v0
	s_barrier
	ds_write_b32 v17, v16
	s_waitcnt lgkmcnt(0)
	s_barrier
	s_and_saveexec_b64 s[40:41], s[30:31]
	s_cbranch_execz .LBB124_2
; %bb.1:
	v_lshrrev_b32_e32 v17, 1, v0
	v_and_b32_e32 v17, 0x7c, v17
	v_lshl_add_u32 v21, v0, 4, v17
	ds_read2_b32 v[17:18], v21 offset1:1
	ds_read2_b32 v[19:20], v21 offset0:2 offset1:3
	v_mbcnt_lo_u32_b32 v22, -1, 0
	v_mbcnt_hi_u32_b32 v22, -1, v22
	v_and_b32_e32 v23, 15, v22
	s_waitcnt lgkmcnt(1)
	v_add_u32_e32 v24, v18, v17
	s_waitcnt lgkmcnt(0)
	v_add3_u32 v24, v24, v19, v20
	v_cmp_ne_u32_e64 s[30:31], 0, v23
	s_nop 0
	v_mov_b32_dpp v25, v24 row_shr:1 row_mask:0xf bank_mask:0xf
	v_cndmask_b32_e64 v25, 0, v25, s[30:31]
	v_add_u32_e32 v24, v25, v24
	v_cmp_lt_u32_e64 s[30:31], 1, v23
	s_nop 0
	v_mov_b32_dpp v25, v24 row_shr:2 row_mask:0xf bank_mask:0xf
	v_cndmask_b32_e64 v25, 0, v25, s[30:31]
	v_add_u32_e32 v24, v24, v25
	v_cmp_lt_u32_e64 s[30:31], 3, v23
	;; [unrolled: 5-line block ×3, first 2 shown]
	s_nop 0
	v_mov_b32_dpp v25, v24 row_shr:8 row_mask:0xf bank_mask:0xf
	v_cndmask_b32_e64 v23, 0, v25, s[30:31]
	v_add_u32_e32 v23, v24, v23
	v_bfe_i32 v25, v22, 4, 1
	v_cmp_lt_u32_e64 s[30:31], 31, v22
	v_mov_b32_dpp v24, v23 row_bcast:15 row_mask:0xf bank_mask:0xf
	v_and_b32_e32 v24, v25, v24
	v_add_u32_e32 v23, v23, v24
	v_and_b32_e32 v25, 64, v22
	s_nop 0
	v_mov_b32_dpp v24, v23 row_bcast:31 row_mask:0xf bank_mask:0xf
	v_cndmask_b32_e64 v24, 0, v24, s[30:31]
	v_add_u32_e32 v23, v23, v24
	v_add_u32_e32 v24, -1, v22
	v_cmp_lt_i32_e64 s[30:31], v24, v25
	v_cndmask_b32_e64 v22, v24, v22, s[30:31]
	v_lshlrev_b32_e32 v22, 2, v22
	ds_bpermute_b32 v22, v22, v23
	v_cmp_eq_u32_e64 s[30:31], 0, v0
	s_waitcnt lgkmcnt(0)
	v_add_u32_e32 v17, v22, v17
	v_cndmask_b32_e64 v16, v17, v16, s[30:31]
	v_add_u32_e32 v17, v16, v18
	ds_write2_b32 v21, v16, v17 offset1:1
	v_add_u32_e32 v16, v17, v19
	v_add_u32_e32 v17, v16, v20
	ds_write2_b32 v21, v16, v17 offset0:2 offset1:3
.LBB124_2:
	s_or_b64 exec, exec, s[40:41]
	s_load_dword s33, s[4:5], 0x10
	v_mul_u32_u24_e32 v16, 56, v0
	v_cmp_ne_u32_e64 s[4:5], 0, v0
	s_waitcnt lgkmcnt(0)
	s_barrier
	v_mov_b32_e32 v17, s33
	s_and_saveexec_b64 s[30:31], s[4:5]
	s_cbranch_execz .LBB124_4
; %bb.3:
	v_add_u32_e32 v17, -1, v0
	v_lshrrev_b32_e32 v18, 3, v17
	v_and_b32_e32 v18, 0x1ffffffc, v18
	v_lshl_add_u32 v17, v17, 2, v18
	ds_read_b32 v17, v17
	s_waitcnt lgkmcnt(0)
	v_add_u32_e32 v17, s33, v17
.LBB124_4:
	s_or_b64 exec, exec, s[30:31]
	v_add_u32_e32 v13, v17, v13
	v_add_u32_e32 v14, v13, v14
	;; [unrolled: 1-line block ×15, first 2 shown]
	s_barrier
	ds_write2_b32 v16, v17, v13 offset1:1
	ds_write2_b32 v16, v14, v11 offset0:2 offset1:3
	ds_write2_b32 v16, v12, v9 offset0:4 offset1:5
	;; [unrolled: 1-line block ×6, first 2 shown]
	ds_write_b32 v16, v2 offset:56
	v_mov_b32_e32 v1, s35
	v_add_co_u32_e64 v0, s[4:5], s34, v0
	v_addc_co_u32_e64 v1, s[4:5], 0, v1, s[4:5]
	v_cmp_eq_u64_e64 s[4:5], s[38:39], v[0:1]
	s_movk_i32 s30, 0x100
	v_add_co_u32_e64 v2, s[30:31], s30, v0
	v_addc_co_u32_e64 v3, s[30:31], 0, v1, s[30:31]
	s_and_b64 s[34:35], s[22:23], s[4:5]
	s_movk_i32 s22, 0x200
	v_cmp_eq_u64_e64 s[30:31], s[38:39], v[2:3]
	v_add_co_u32_e64 v2, s[22:23], s22, v0
	v_addc_co_u32_e64 v3, s[22:23], 0, v1, s[22:23]
	v_cmp_eq_u64_e64 s[22:23], s[38:39], v[2:3]
	s_and_b64 s[4:5], s[26:27], s[30:31]
	s_and_b64 s[22:23], s[24:25], s[22:23]
	s_movk_i32 s24, 0x300
	v_add_co_u32_e64 v2, s[24:25], s24, v0
	v_addc_co_u32_e64 v3, s[24:25], 0, v1, s[24:25]
	v_cmp_eq_u64_e64 s[24:25], s[38:39], v[2:3]
	s_or_b64 s[26:27], s[34:35], s[4:5]
	s_and_b64 s[20:21], s[20:21], s[24:25]
	s_movk_i32 s24, 0x400
	v_add_co_u32_e64 v2, s[24:25], s24, v0
	v_addc_co_u32_e64 v3, s[24:25], 0, v1, s[24:25]
	v_cmp_eq_u64_e64 s[24:25], s[38:39], v[2:3]
	s_or_b64 s[26:27], s[22:23], s[26:27]
	;; [unrolled: 6-line block ×6, first 2 shown]
	s_and_b64 s[10:11], s[10:11], s[24:25]
	s_movk_i32 s24, 0x900
	v_add_co_u32_e64 v2, s[24:25], s24, v0
	v_addc_co_u32_e64 v3, s[24:25], 0, v1, s[24:25]
	v_cmp_eq_u64_e64 s[24:25], s[38:39], v[2:3]
	s_movk_i32 s30, 0xc00
	s_and_b64 s[8:9], s[8:9], s[24:25]
	s_movk_i32 s24, 0xa00
	v_add_co_u32_e64 v2, s[24:25], s24, v0
	v_addc_co_u32_e64 v3, s[24:25], 0, v1, s[24:25]
	v_cmp_eq_u64_e64 s[24:25], s[38:39], v[2:3]
	s_or_b64 s[26:27], s[12:13], s[26:27]
	s_and_b64 s[6:7], s[6:7], s[24:25]
	s_movk_i32 s24, 0xb00
	v_add_co_u32_e64 v2, s[24:25], s24, v0
	v_addc_co_u32_e64 v3, s[24:25], 0, v1, s[24:25]
	v_cmp_eq_u64_e64 s[24:25], s[38:39], v[2:3]
	s_or_b64 s[26:27], s[10:11], s[26:27]
	s_and_b64 s[24:25], vcc, s[24:25]
	v_add_co_u32_e32 v2, vcc, s30, v0
	v_addc_co_u32_e32 v3, vcc, 0, v1, vcc
	s_or_b64 s[26:27], s[8:9], s[26:27]
	v_cmp_eq_u64_e32 vcc, s[38:39], v[2:3]
	s_or_b64 s[26:27], s[6:7], s[26:27]
	s_or_b64 s[30:31], s[24:25], s[26:27]
	s_and_b64 s[26:27], s[28:29], vcc
	s_movk_i32 s28, 0xd00
	v_add_co_u32_e32 v2, vcc, s28, v0
	v_addc_co_u32_e32 v3, vcc, 0, v1, vcc
	v_cmp_eq_u64_e32 vcc, s[38:39], v[2:3]
	s_or_b64 s[28:29], s[26:27], s[30:31]
	s_and_b64 s[2:3], s[2:3], vcc
	v_add_co_u32_e32 v0, vcc, 0xe00, v0
	v_addc_co_u32_e32 v1, vcc, 0, v1, vcc
	v_cmp_eq_u64_e32 vcc, s[38:39], v[0:1]
	s_or_b64 s[28:29], s[2:3], s[28:29]
	s_and_b64 vcc, s[0:1], vcc
	s_or_b64 s[0:1], vcc, s[28:29]
	s_waitcnt lgkmcnt(0)
	s_barrier
	s_and_saveexec_b64 s[28:29], s[0:1]
	s_cbranch_execz .LBB124_6
; %bb.5:
	ds_read_b32 v16, v15 offset:14336
	ds_read2st64_b32 v[0:1], v15 offset0:48 offset1:52
	ds_read2st64_b32 v[2:3], v15 offset0:40 offset1:44
	ds_read2st64_b32 v[4:5], v15 offset1:4
	ds_read2st64_b32 v[6:7], v15 offset0:8 offset1:12
	ds_read2st64_b32 v[8:9], v15 offset0:32 offset1:36
	;; [unrolled: 1-line block ×4, first 2 shown]
	s_waitcnt lgkmcnt(4)
	v_cndmask_b32_e64 v4, v4, v5, s[4:5]
	s_waitcnt lgkmcnt(3)
	v_cndmask_b32_e64 v4, v4, v6, s[22:23]
	v_cndmask_b32_e64 v4, v4, v7, s[20:21]
	s_waitcnt lgkmcnt(1)
	v_cndmask_b32_e64 v4, v4, v10, s[18:19]
	;; [unrolled: 3-line block ×3, first 2 shown]
	v_cndmask_b32_e64 v4, v4, v13, s[12:13]
	v_cndmask_b32_e64 v4, v4, v8, s[10:11]
	;; [unrolled: 1-line block ×7, first 2 shown]
	v_mov_b32_e32 v14, 0
	v_cndmask_b32_e32 v0, v0, v16, vcc
	global_store_dword v14, v0, s[36:37]
.LBB124_6:
	s_endpgm
	.section	.rodata,"a",@progbits
	.p2align	6, 0x0
	.amdhsa_kernel _ZN7rocprim6detail18single_scan_kernelILb1ENS0_19wrapped_scan_configINS_14default_configEjEEN6hipcub21CountingInputIteratorIjlEEN10test_utils21single_index_iteratorIjEENS5_3SumEjjEEvT1_mT4_T2_T3_
		.amdhsa_group_segment_fixed_size 15360
		.amdhsa_private_segment_fixed_size 0
		.amdhsa_kernarg_size 52
		.amdhsa_user_sgpr_count 6
		.amdhsa_user_sgpr_private_segment_buffer 1
		.amdhsa_user_sgpr_dispatch_ptr 0
		.amdhsa_user_sgpr_queue_ptr 0
		.amdhsa_user_sgpr_kernarg_segment_ptr 1
		.amdhsa_user_sgpr_dispatch_id 0
		.amdhsa_user_sgpr_flat_scratch_init 0
		.amdhsa_user_sgpr_private_segment_size 0
		.amdhsa_uses_dynamic_stack 0
		.amdhsa_system_sgpr_private_segment_wavefront_offset 0
		.amdhsa_system_sgpr_workgroup_id_x 1
		.amdhsa_system_sgpr_workgroup_id_y 0
		.amdhsa_system_sgpr_workgroup_id_z 0
		.amdhsa_system_sgpr_workgroup_info 0
		.amdhsa_system_vgpr_workitem_id 0
		.amdhsa_next_free_vgpr 49
		.amdhsa_next_free_sgpr 98
		.amdhsa_reserve_vcc 1
		.amdhsa_reserve_flat_scratch 0
		.amdhsa_float_round_mode_32 0
		.amdhsa_float_round_mode_16_64 0
		.amdhsa_float_denorm_mode_32 3
		.amdhsa_float_denorm_mode_16_64 3
		.amdhsa_dx10_clamp 1
		.amdhsa_ieee_mode 1
		.amdhsa_fp16_overflow 0
		.amdhsa_exception_fp_ieee_invalid_op 0
		.amdhsa_exception_fp_denorm_src 0
		.amdhsa_exception_fp_ieee_div_zero 0
		.amdhsa_exception_fp_ieee_overflow 0
		.amdhsa_exception_fp_ieee_underflow 0
		.amdhsa_exception_fp_ieee_inexact 0
		.amdhsa_exception_int_div_zero 0
	.end_amdhsa_kernel
	.section	.text._ZN7rocprim6detail18single_scan_kernelILb1ENS0_19wrapped_scan_configINS_14default_configEjEEN6hipcub21CountingInputIteratorIjlEEN10test_utils21single_index_iteratorIjEENS5_3SumEjjEEvT1_mT4_T2_T3_,"axG",@progbits,_ZN7rocprim6detail18single_scan_kernelILb1ENS0_19wrapped_scan_configINS_14default_configEjEEN6hipcub21CountingInputIteratorIjlEEN10test_utils21single_index_iteratorIjEENS5_3SumEjjEEvT1_mT4_T2_T3_,comdat
.Lfunc_end124:
	.size	_ZN7rocprim6detail18single_scan_kernelILb1ENS0_19wrapped_scan_configINS_14default_configEjEEN6hipcub21CountingInputIteratorIjlEEN10test_utils21single_index_iteratorIjEENS5_3SumEjjEEvT1_mT4_T2_T3_, .Lfunc_end124-_ZN7rocprim6detail18single_scan_kernelILb1ENS0_19wrapped_scan_configINS_14default_configEjEEN6hipcub21CountingInputIteratorIjlEEN10test_utils21single_index_iteratorIjEENS5_3SumEjjEEvT1_mT4_T2_T3_
                                        ; -- End function
	.set _ZN7rocprim6detail18single_scan_kernelILb1ENS0_19wrapped_scan_configINS_14default_configEjEEN6hipcub21CountingInputIteratorIjlEEN10test_utils21single_index_iteratorIjEENS5_3SumEjjEEvT1_mT4_T2_T3_.num_vgpr, 26
	.set _ZN7rocprim6detail18single_scan_kernelILb1ENS0_19wrapped_scan_configINS_14default_configEjEEN6hipcub21CountingInputIteratorIjlEEN10test_utils21single_index_iteratorIjEENS5_3SumEjjEEvT1_mT4_T2_T3_.num_agpr, 0
	.set _ZN7rocprim6detail18single_scan_kernelILb1ENS0_19wrapped_scan_configINS_14default_configEjEEN6hipcub21CountingInputIteratorIjlEEN10test_utils21single_index_iteratorIjEENS5_3SumEjjEEvT1_mT4_T2_T3_.numbered_sgpr, 42
	.set _ZN7rocprim6detail18single_scan_kernelILb1ENS0_19wrapped_scan_configINS_14default_configEjEEN6hipcub21CountingInputIteratorIjlEEN10test_utils21single_index_iteratorIjEENS5_3SumEjjEEvT1_mT4_T2_T3_.num_named_barrier, 0
	.set _ZN7rocprim6detail18single_scan_kernelILb1ENS0_19wrapped_scan_configINS_14default_configEjEEN6hipcub21CountingInputIteratorIjlEEN10test_utils21single_index_iteratorIjEENS5_3SumEjjEEvT1_mT4_T2_T3_.private_seg_size, 0
	.set _ZN7rocprim6detail18single_scan_kernelILb1ENS0_19wrapped_scan_configINS_14default_configEjEEN6hipcub21CountingInputIteratorIjlEEN10test_utils21single_index_iteratorIjEENS5_3SumEjjEEvT1_mT4_T2_T3_.uses_vcc, 1
	.set _ZN7rocprim6detail18single_scan_kernelILb1ENS0_19wrapped_scan_configINS_14default_configEjEEN6hipcub21CountingInputIteratorIjlEEN10test_utils21single_index_iteratorIjEENS5_3SumEjjEEvT1_mT4_T2_T3_.uses_flat_scratch, 0
	.set _ZN7rocprim6detail18single_scan_kernelILb1ENS0_19wrapped_scan_configINS_14default_configEjEEN6hipcub21CountingInputIteratorIjlEEN10test_utils21single_index_iteratorIjEENS5_3SumEjjEEvT1_mT4_T2_T3_.has_dyn_sized_stack, 0
	.set _ZN7rocprim6detail18single_scan_kernelILb1ENS0_19wrapped_scan_configINS_14default_configEjEEN6hipcub21CountingInputIteratorIjlEEN10test_utils21single_index_iteratorIjEENS5_3SumEjjEEvT1_mT4_T2_T3_.has_recursion, 0
	.set _ZN7rocprim6detail18single_scan_kernelILb1ENS0_19wrapped_scan_configINS_14default_configEjEEN6hipcub21CountingInputIteratorIjlEEN10test_utils21single_index_iteratorIjEENS5_3SumEjjEEvT1_mT4_T2_T3_.has_indirect_call, 0
	.section	.AMDGPU.csdata,"",@progbits
; Kernel info:
; codeLenInByte = 2064
; TotalNumSgprs: 46
; NumVgprs: 26
; ScratchSize: 0
; MemoryBound: 0
; FloatMode: 240
; IeeeMode: 1
; LDSByteSize: 15360 bytes/workgroup (compile time only)
; SGPRBlocks: 12
; VGPRBlocks: 12
; NumSGPRsForWavesPerEU: 102
; NumVGPRsForWavesPerEU: 49
; Occupancy: 4
; WaveLimiterHint : 0
; COMPUTE_PGM_RSRC2:SCRATCH_EN: 0
; COMPUTE_PGM_RSRC2:USER_SGPR: 6
; COMPUTE_PGM_RSRC2:TRAP_HANDLER: 0
; COMPUTE_PGM_RSRC2:TGID_X_EN: 1
; COMPUTE_PGM_RSRC2:TGID_Y_EN: 0
; COMPUTE_PGM_RSRC2:TGID_Z_EN: 0
; COMPUTE_PGM_RSRC2:TIDIG_COMP_CNT: 0
	.section	.text._ZN7rocprim6detail31init_lookback_scan_state_kernelINS0_19lookback_scan_stateIlLb1ELb1EEEEEvT_jjPNS4_10value_typeE,"axG",@progbits,_ZN7rocprim6detail31init_lookback_scan_state_kernelINS0_19lookback_scan_stateIlLb1ELb1EEEEEvT_jjPNS4_10value_typeE,comdat
	.protected	_ZN7rocprim6detail31init_lookback_scan_state_kernelINS0_19lookback_scan_stateIlLb1ELb1EEEEEvT_jjPNS4_10value_typeE ; -- Begin function _ZN7rocprim6detail31init_lookback_scan_state_kernelINS0_19lookback_scan_stateIlLb1ELb1EEEEEvT_jjPNS4_10value_typeE
	.globl	_ZN7rocprim6detail31init_lookback_scan_state_kernelINS0_19lookback_scan_stateIlLb1ELb1EEEEEvT_jjPNS4_10value_typeE
	.p2align	8
	.type	_ZN7rocprim6detail31init_lookback_scan_state_kernelINS0_19lookback_scan_stateIlLb1ELb1EEEEEvT_jjPNS4_10value_typeE,@function
_ZN7rocprim6detail31init_lookback_scan_state_kernelINS0_19lookback_scan_stateIlLb1ELb1EEEEEvT_jjPNS4_10value_typeE: ; @_ZN7rocprim6detail31init_lookback_scan_state_kernelINS0_19lookback_scan_stateIlLb1ELb1EEEEEvT_jjPNS4_10value_typeE
; %bb.0:
	s_load_dword s7, s[4:5], 0x24
	s_load_dwordx2 s[8:9], s[4:5], 0x10
	s_load_dwordx4 s[0:3], s[4:5], 0x0
	s_waitcnt lgkmcnt(0)
	s_and_b32 s4, s7, 0xffff
	s_mul_i32 s6, s6, s4
	s_cmp_eq_u64 s[8:9], 0
	v_add_u32_e32 v0, s6, v0
	s_cbranch_scc1 .LBB125_10
; %bb.1:
	s_cmp_lt_u32 s3, s2
	s_cselect_b32 s4, s3, 0
	s_mov_b32 s7, 0
	v_cmp_eq_u32_e32 vcc, s4, v0
	s_and_saveexec_b64 s[4:5], vcc
	s_cbranch_execz .LBB125_9
; %bb.2:
	s_add_i32 s6, s3, 64
	s_lshl_b64 s[6:7], s[6:7], 4
	s_add_u32 s12, s0, s6
	s_addc_u32 s13, s1, s7
	v_mov_b32_e32 v1, s12
	v_mov_b32_e32 v2, s13
	;;#ASMSTART
	global_load_dwordx4 v[1:4], v[1:2] off glc	
s_waitcnt vmcnt(0)
	;;#ASMEND
	v_and_b32_e32 v4, 0xff, v3
	v_mov_b32_e32 v5, 0
	v_cmp_eq_u64_e32 vcc, 0, v[4:5]
	s_mov_b64 s[10:11], 0
	s_and_saveexec_b64 s[6:7], vcc
	s_cbranch_execz .LBB125_8
; %bb.3:
	v_mov_b32_e32 v6, s12
	s_mov_b32 s3, 1
	v_mov_b32_e32 v7, s13
.LBB125_4:                              ; =>This Loop Header: Depth=1
                                        ;     Child Loop BB125_5 Depth 2
	s_mov_b32 s12, s3
.LBB125_5:                              ;   Parent Loop BB125_4 Depth=1
                                        ; =>  This Inner Loop Header: Depth=2
	s_add_i32 s12, s12, -1
	s_cmp_eq_u32 s12, 0
	s_sleep 1
	s_cbranch_scc0 .LBB125_5
; %bb.6:                                ;   in Loop: Header=BB125_4 Depth=1
	s_cmp_lt_u32 s3, 32
	;;#ASMSTART
	global_load_dwordx4 v[1:4], v[6:7] off glc	
s_waitcnt vmcnt(0)
	;;#ASMEND
	s_cselect_b64 s[12:13], -1, 0
	v_and_b32_e32 v4, 0xff, v3
	s_cmp_lg_u64 s[12:13], 0
	v_cmp_ne_u64_e32 vcc, 0, v[4:5]
	s_addc_u32 s3, s3, 0
	s_or_b64 s[10:11], vcc, s[10:11]
	s_andn2_b64 exec, exec, s[10:11]
	s_cbranch_execnz .LBB125_4
; %bb.7:
	s_or_b64 exec, exec, s[10:11]
.LBB125_8:
	s_or_b64 exec, exec, s[6:7]
	v_mov_b32_e32 v3, 0
	global_store_dwordx2 v3, v[1:2], s[8:9]
.LBB125_9:
	s_or_b64 exec, exec, s[4:5]
.LBB125_10:
	v_cmp_gt_u32_e32 vcc, s2, v0
	s_and_saveexec_b64 s[2:3], vcc
	s_cbranch_execnz .LBB125_13
; %bb.11:
	s_or_b64 exec, exec, s[2:3]
	v_cmp_gt_u32_e32 vcc, 64, v0
	s_and_saveexec_b64 s[2:3], vcc
	s_cbranch_execnz .LBB125_14
.LBB125_12:
	s_endpgm
.LBB125_13:
	v_add_u32_e32 v1, 64, v0
	v_mov_b32_e32 v2, 0
	v_lshlrev_b64 v[3:4], 4, v[1:2]
	v_mov_b32_e32 v1, s1
	v_add_co_u32_e32 v5, vcc, s0, v3
	v_addc_co_u32_e32 v6, vcc, v1, v4, vcc
	v_mov_b32_e32 v1, v2
	v_mov_b32_e32 v3, v2
	;; [unrolled: 1-line block ×3, first 2 shown]
	global_store_dwordx4 v[5:6], v[1:4], off
	s_or_b64 exec, exec, s[2:3]
	v_cmp_gt_u32_e32 vcc, 64, v0
	s_and_saveexec_b64 s[2:3], vcc
	s_cbranch_execz .LBB125_12
.LBB125_14:
	v_mov_b32_e32 v1, 0
	v_lshlrev_b64 v[2:3], 4, v[0:1]
	v_mov_b32_e32 v0, s1
	v_add_co_u32_e32 v4, vcc, s0, v2
	v_addc_co_u32_e32 v5, vcc, v0, v3, vcc
	v_mov_b32_e32 v2, 0xff
	v_mov_b32_e32 v0, v1
	;; [unrolled: 1-line block ×3, first 2 shown]
	global_store_dwordx4 v[4:5], v[0:3], off
	s_endpgm
	.section	.rodata,"a",@progbits
	.p2align	6, 0x0
	.amdhsa_kernel _ZN7rocprim6detail31init_lookback_scan_state_kernelINS0_19lookback_scan_stateIlLb1ELb1EEEEEvT_jjPNS4_10value_typeE
		.amdhsa_group_segment_fixed_size 0
		.amdhsa_private_segment_fixed_size 0
		.amdhsa_kernarg_size 280
		.amdhsa_user_sgpr_count 6
		.amdhsa_user_sgpr_private_segment_buffer 1
		.amdhsa_user_sgpr_dispatch_ptr 0
		.amdhsa_user_sgpr_queue_ptr 0
		.amdhsa_user_sgpr_kernarg_segment_ptr 1
		.amdhsa_user_sgpr_dispatch_id 0
		.amdhsa_user_sgpr_flat_scratch_init 0
		.amdhsa_user_sgpr_private_segment_size 0
		.amdhsa_uses_dynamic_stack 0
		.amdhsa_system_sgpr_private_segment_wavefront_offset 0
		.amdhsa_system_sgpr_workgroup_id_x 1
		.amdhsa_system_sgpr_workgroup_id_y 0
		.amdhsa_system_sgpr_workgroup_id_z 0
		.amdhsa_system_sgpr_workgroup_info 0
		.amdhsa_system_vgpr_workitem_id 0
		.amdhsa_next_free_vgpr 8
		.amdhsa_next_free_sgpr 14
		.amdhsa_reserve_vcc 1
		.amdhsa_reserve_flat_scratch 0
		.amdhsa_float_round_mode_32 0
		.amdhsa_float_round_mode_16_64 0
		.amdhsa_float_denorm_mode_32 3
		.amdhsa_float_denorm_mode_16_64 3
		.amdhsa_dx10_clamp 1
		.amdhsa_ieee_mode 1
		.amdhsa_fp16_overflow 0
		.amdhsa_exception_fp_ieee_invalid_op 0
		.amdhsa_exception_fp_denorm_src 0
		.amdhsa_exception_fp_ieee_div_zero 0
		.amdhsa_exception_fp_ieee_overflow 0
		.amdhsa_exception_fp_ieee_underflow 0
		.amdhsa_exception_fp_ieee_inexact 0
		.amdhsa_exception_int_div_zero 0
	.end_amdhsa_kernel
	.section	.text._ZN7rocprim6detail31init_lookback_scan_state_kernelINS0_19lookback_scan_stateIlLb1ELb1EEEEEvT_jjPNS4_10value_typeE,"axG",@progbits,_ZN7rocprim6detail31init_lookback_scan_state_kernelINS0_19lookback_scan_stateIlLb1ELb1EEEEEvT_jjPNS4_10value_typeE,comdat
.Lfunc_end125:
	.size	_ZN7rocprim6detail31init_lookback_scan_state_kernelINS0_19lookback_scan_stateIlLb1ELb1EEEEEvT_jjPNS4_10value_typeE, .Lfunc_end125-_ZN7rocprim6detail31init_lookback_scan_state_kernelINS0_19lookback_scan_stateIlLb1ELb1EEEEEvT_jjPNS4_10value_typeE
                                        ; -- End function
	.set _ZN7rocprim6detail31init_lookback_scan_state_kernelINS0_19lookback_scan_stateIlLb1ELb1EEEEEvT_jjPNS4_10value_typeE.num_vgpr, 8
	.set _ZN7rocprim6detail31init_lookback_scan_state_kernelINS0_19lookback_scan_stateIlLb1ELb1EEEEEvT_jjPNS4_10value_typeE.num_agpr, 0
	.set _ZN7rocprim6detail31init_lookback_scan_state_kernelINS0_19lookback_scan_stateIlLb1ELb1EEEEEvT_jjPNS4_10value_typeE.numbered_sgpr, 14
	.set _ZN7rocprim6detail31init_lookback_scan_state_kernelINS0_19lookback_scan_stateIlLb1ELb1EEEEEvT_jjPNS4_10value_typeE.num_named_barrier, 0
	.set _ZN7rocprim6detail31init_lookback_scan_state_kernelINS0_19lookback_scan_stateIlLb1ELb1EEEEEvT_jjPNS4_10value_typeE.private_seg_size, 0
	.set _ZN7rocprim6detail31init_lookback_scan_state_kernelINS0_19lookback_scan_stateIlLb1ELb1EEEEEvT_jjPNS4_10value_typeE.uses_vcc, 1
	.set _ZN7rocprim6detail31init_lookback_scan_state_kernelINS0_19lookback_scan_stateIlLb1ELb1EEEEEvT_jjPNS4_10value_typeE.uses_flat_scratch, 0
	.set _ZN7rocprim6detail31init_lookback_scan_state_kernelINS0_19lookback_scan_stateIlLb1ELb1EEEEEvT_jjPNS4_10value_typeE.has_dyn_sized_stack, 0
	.set _ZN7rocprim6detail31init_lookback_scan_state_kernelINS0_19lookback_scan_stateIlLb1ELb1EEEEEvT_jjPNS4_10value_typeE.has_recursion, 0
	.set _ZN7rocprim6detail31init_lookback_scan_state_kernelINS0_19lookback_scan_stateIlLb1ELb1EEEEEvT_jjPNS4_10value_typeE.has_indirect_call, 0
	.section	.AMDGPU.csdata,"",@progbits
; Kernel info:
; codeLenInByte = 404
; TotalNumSgprs: 18
; NumVgprs: 8
; ScratchSize: 0
; MemoryBound: 0
; FloatMode: 240
; IeeeMode: 1
; LDSByteSize: 0 bytes/workgroup (compile time only)
; SGPRBlocks: 2
; VGPRBlocks: 1
; NumSGPRsForWavesPerEU: 18
; NumVGPRsForWavesPerEU: 8
; Occupancy: 10
; WaveLimiterHint : 0
; COMPUTE_PGM_RSRC2:SCRATCH_EN: 0
; COMPUTE_PGM_RSRC2:USER_SGPR: 6
; COMPUTE_PGM_RSRC2:TRAP_HANDLER: 0
; COMPUTE_PGM_RSRC2:TGID_X_EN: 1
; COMPUTE_PGM_RSRC2:TGID_Y_EN: 0
; COMPUTE_PGM_RSRC2:TGID_Z_EN: 0
; COMPUTE_PGM_RSRC2:TIDIG_COMP_CNT: 0
	.section	.text._ZN7rocprim6detail31init_lookback_scan_state_kernelINS0_19lookback_scan_stateIlLb0ELb1EEEEEvT_jjPNS4_10value_typeE,"axG",@progbits,_ZN7rocprim6detail31init_lookback_scan_state_kernelINS0_19lookback_scan_stateIlLb0ELb1EEEEEvT_jjPNS4_10value_typeE,comdat
	.protected	_ZN7rocprim6detail31init_lookback_scan_state_kernelINS0_19lookback_scan_stateIlLb0ELb1EEEEEvT_jjPNS4_10value_typeE ; -- Begin function _ZN7rocprim6detail31init_lookback_scan_state_kernelINS0_19lookback_scan_stateIlLb0ELb1EEEEEvT_jjPNS4_10value_typeE
	.globl	_ZN7rocprim6detail31init_lookback_scan_state_kernelINS0_19lookback_scan_stateIlLb0ELb1EEEEEvT_jjPNS4_10value_typeE
	.p2align	8
	.type	_ZN7rocprim6detail31init_lookback_scan_state_kernelINS0_19lookback_scan_stateIlLb0ELb1EEEEEvT_jjPNS4_10value_typeE,@function
_ZN7rocprim6detail31init_lookback_scan_state_kernelINS0_19lookback_scan_stateIlLb0ELb1EEEEEvT_jjPNS4_10value_typeE: ; @_ZN7rocprim6detail31init_lookback_scan_state_kernelINS0_19lookback_scan_stateIlLb0ELb1EEEEEvT_jjPNS4_10value_typeE
; %bb.0:
	s_load_dword s7, s[4:5], 0x24
	s_load_dwordx2 s[8:9], s[4:5], 0x10
	s_load_dwordx4 s[0:3], s[4:5], 0x0
	s_waitcnt lgkmcnt(0)
	s_and_b32 s4, s7, 0xffff
	s_mul_i32 s6, s6, s4
	s_cmp_eq_u64 s[8:9], 0
	v_add_u32_e32 v0, s6, v0
	s_cbranch_scc1 .LBB126_8
; %bb.1:
	s_cmp_lt_u32 s3, s2
	s_cselect_b32 s4, s3, 0
	s_mov_b32 s7, 0
	v_cmp_eq_u32_e32 vcc, s4, v0
	s_and_saveexec_b64 s[4:5], vcc
	s_cbranch_execz .LBB126_7
; %bb.2:
	s_add_i32 s6, s3, 64
	s_lshl_b64 s[6:7], s[6:7], 4
	s_add_u32 s12, s0, s6
	s_addc_u32 s13, s1, s7
	v_mov_b32_e32 v1, s12
	v_mov_b32_e32 v2, s13
	;;#ASMSTART
	global_load_dwordx4 v[1:4], v[1:2] off glc	
s_waitcnt vmcnt(0)
	;;#ASMEND
	v_and_b32_e32 v4, 0xff, v3
	v_mov_b32_e32 v5, 0
	v_cmp_eq_u64_e32 vcc, 0, v[4:5]
	s_mov_b64 s[10:11], 0
	s_and_saveexec_b64 s[6:7], vcc
	s_cbranch_execz .LBB126_6
; %bb.3:
	v_mov_b32_e32 v6, s12
	v_mov_b32_e32 v7, s13
.LBB126_4:                              ; =>This Inner Loop Header: Depth=1
	;;#ASMSTART
	global_load_dwordx4 v[1:4], v[6:7] off glc	
s_waitcnt vmcnt(0)
	;;#ASMEND
	v_and_b32_e32 v4, 0xff, v3
	v_cmp_ne_u64_e32 vcc, 0, v[4:5]
	s_or_b64 s[10:11], vcc, s[10:11]
	s_andn2_b64 exec, exec, s[10:11]
	s_cbranch_execnz .LBB126_4
; %bb.5:
	s_or_b64 exec, exec, s[10:11]
.LBB126_6:
	s_or_b64 exec, exec, s[6:7]
	v_mov_b32_e32 v3, 0
	global_store_dwordx2 v3, v[1:2], s[8:9]
.LBB126_7:
	s_or_b64 exec, exec, s[4:5]
.LBB126_8:
	v_cmp_gt_u32_e32 vcc, s2, v0
	s_and_saveexec_b64 s[2:3], vcc
	s_cbranch_execnz .LBB126_11
; %bb.9:
	s_or_b64 exec, exec, s[2:3]
	v_cmp_gt_u32_e32 vcc, 64, v0
	s_and_saveexec_b64 s[2:3], vcc
	s_cbranch_execnz .LBB126_12
.LBB126_10:
	s_endpgm
.LBB126_11:
	v_add_u32_e32 v1, 64, v0
	v_mov_b32_e32 v2, 0
	v_lshlrev_b64 v[3:4], 4, v[1:2]
	v_mov_b32_e32 v1, s1
	v_add_co_u32_e32 v5, vcc, s0, v3
	v_addc_co_u32_e32 v6, vcc, v1, v4, vcc
	v_mov_b32_e32 v1, v2
	v_mov_b32_e32 v3, v2
	;; [unrolled: 1-line block ×3, first 2 shown]
	global_store_dwordx4 v[5:6], v[1:4], off
	s_or_b64 exec, exec, s[2:3]
	v_cmp_gt_u32_e32 vcc, 64, v0
	s_and_saveexec_b64 s[2:3], vcc
	s_cbranch_execz .LBB126_10
.LBB126_12:
	v_mov_b32_e32 v1, 0
	v_lshlrev_b64 v[2:3], 4, v[0:1]
	v_mov_b32_e32 v0, s1
	v_add_co_u32_e32 v4, vcc, s0, v2
	v_addc_co_u32_e32 v5, vcc, v0, v3, vcc
	v_mov_b32_e32 v2, 0xff
	v_mov_b32_e32 v0, v1
	;; [unrolled: 1-line block ×3, first 2 shown]
	global_store_dwordx4 v[4:5], v[0:3], off
	s_endpgm
	.section	.rodata,"a",@progbits
	.p2align	6, 0x0
	.amdhsa_kernel _ZN7rocprim6detail31init_lookback_scan_state_kernelINS0_19lookback_scan_stateIlLb0ELb1EEEEEvT_jjPNS4_10value_typeE
		.amdhsa_group_segment_fixed_size 0
		.amdhsa_private_segment_fixed_size 0
		.amdhsa_kernarg_size 280
		.amdhsa_user_sgpr_count 6
		.amdhsa_user_sgpr_private_segment_buffer 1
		.amdhsa_user_sgpr_dispatch_ptr 0
		.amdhsa_user_sgpr_queue_ptr 0
		.amdhsa_user_sgpr_kernarg_segment_ptr 1
		.amdhsa_user_sgpr_dispatch_id 0
		.amdhsa_user_sgpr_flat_scratch_init 0
		.amdhsa_user_sgpr_private_segment_size 0
		.amdhsa_uses_dynamic_stack 0
		.amdhsa_system_sgpr_private_segment_wavefront_offset 0
		.amdhsa_system_sgpr_workgroup_id_x 1
		.amdhsa_system_sgpr_workgroup_id_y 0
		.amdhsa_system_sgpr_workgroup_id_z 0
		.amdhsa_system_sgpr_workgroup_info 0
		.amdhsa_system_vgpr_workitem_id 0
		.amdhsa_next_free_vgpr 8
		.amdhsa_next_free_sgpr 14
		.amdhsa_reserve_vcc 1
		.amdhsa_reserve_flat_scratch 0
		.amdhsa_float_round_mode_32 0
		.amdhsa_float_round_mode_16_64 0
		.amdhsa_float_denorm_mode_32 3
		.amdhsa_float_denorm_mode_16_64 3
		.amdhsa_dx10_clamp 1
		.amdhsa_ieee_mode 1
		.amdhsa_fp16_overflow 0
		.amdhsa_exception_fp_ieee_invalid_op 0
		.amdhsa_exception_fp_denorm_src 0
		.amdhsa_exception_fp_ieee_div_zero 0
		.amdhsa_exception_fp_ieee_overflow 0
		.amdhsa_exception_fp_ieee_underflow 0
		.amdhsa_exception_fp_ieee_inexact 0
		.amdhsa_exception_int_div_zero 0
	.end_amdhsa_kernel
	.section	.text._ZN7rocprim6detail31init_lookback_scan_state_kernelINS0_19lookback_scan_stateIlLb0ELb1EEEEEvT_jjPNS4_10value_typeE,"axG",@progbits,_ZN7rocprim6detail31init_lookback_scan_state_kernelINS0_19lookback_scan_stateIlLb0ELb1EEEEEvT_jjPNS4_10value_typeE,comdat
.Lfunc_end126:
	.size	_ZN7rocprim6detail31init_lookback_scan_state_kernelINS0_19lookback_scan_stateIlLb0ELb1EEEEEvT_jjPNS4_10value_typeE, .Lfunc_end126-_ZN7rocprim6detail31init_lookback_scan_state_kernelINS0_19lookback_scan_stateIlLb0ELb1EEEEEvT_jjPNS4_10value_typeE
                                        ; -- End function
	.set _ZN7rocprim6detail31init_lookback_scan_state_kernelINS0_19lookback_scan_stateIlLb0ELb1EEEEEvT_jjPNS4_10value_typeE.num_vgpr, 8
	.set _ZN7rocprim6detail31init_lookback_scan_state_kernelINS0_19lookback_scan_stateIlLb0ELb1EEEEEvT_jjPNS4_10value_typeE.num_agpr, 0
	.set _ZN7rocprim6detail31init_lookback_scan_state_kernelINS0_19lookback_scan_stateIlLb0ELb1EEEEEvT_jjPNS4_10value_typeE.numbered_sgpr, 14
	.set _ZN7rocprim6detail31init_lookback_scan_state_kernelINS0_19lookback_scan_stateIlLb0ELb1EEEEEvT_jjPNS4_10value_typeE.num_named_barrier, 0
	.set _ZN7rocprim6detail31init_lookback_scan_state_kernelINS0_19lookback_scan_stateIlLb0ELb1EEEEEvT_jjPNS4_10value_typeE.private_seg_size, 0
	.set _ZN7rocprim6detail31init_lookback_scan_state_kernelINS0_19lookback_scan_stateIlLb0ELb1EEEEEvT_jjPNS4_10value_typeE.uses_vcc, 1
	.set _ZN7rocprim6detail31init_lookback_scan_state_kernelINS0_19lookback_scan_stateIlLb0ELb1EEEEEvT_jjPNS4_10value_typeE.uses_flat_scratch, 0
	.set _ZN7rocprim6detail31init_lookback_scan_state_kernelINS0_19lookback_scan_stateIlLb0ELb1EEEEEvT_jjPNS4_10value_typeE.has_dyn_sized_stack, 0
	.set _ZN7rocprim6detail31init_lookback_scan_state_kernelINS0_19lookback_scan_stateIlLb0ELb1EEEEEvT_jjPNS4_10value_typeE.has_recursion, 0
	.set _ZN7rocprim6detail31init_lookback_scan_state_kernelINS0_19lookback_scan_stateIlLb0ELb1EEEEEvT_jjPNS4_10value_typeE.has_indirect_call, 0
	.section	.AMDGPU.csdata,"",@progbits
; Kernel info:
; codeLenInByte = 364
; TotalNumSgprs: 18
; NumVgprs: 8
; ScratchSize: 0
; MemoryBound: 0
; FloatMode: 240
; IeeeMode: 1
; LDSByteSize: 0 bytes/workgroup (compile time only)
; SGPRBlocks: 2
; VGPRBlocks: 1
; NumSGPRsForWavesPerEU: 18
; NumVGPRsForWavesPerEU: 8
; Occupancy: 10
; WaveLimiterHint : 0
; COMPUTE_PGM_RSRC2:SCRATCH_EN: 0
; COMPUTE_PGM_RSRC2:USER_SGPR: 6
; COMPUTE_PGM_RSRC2:TRAP_HANDLER: 0
; COMPUTE_PGM_RSRC2:TGID_X_EN: 1
; COMPUTE_PGM_RSRC2:TGID_Y_EN: 0
; COMPUTE_PGM_RSRC2:TGID_Z_EN: 0
; COMPUTE_PGM_RSRC2:TIDIG_COMP_CNT: 0
	.section	.text._ZN7rocprim6detail20lookback_scan_kernelILNS0_25lookback_scan_determinismE0ELb1ENS0_19wrapped_scan_configINS_14default_configElEEN6hipcub22TransformInputIteratorIiNS6_6CastOpIiEEPilEEPlNS6_3SumENS_12future_valueIlSC_EElNS0_19lookback_scan_stateIlLb1ELb1EEEEEvT2_T3_mT5_T4_T7_jPT6_SO_bb,"axG",@progbits,_ZN7rocprim6detail20lookback_scan_kernelILNS0_25lookback_scan_determinismE0ELb1ENS0_19wrapped_scan_configINS_14default_configElEEN6hipcub22TransformInputIteratorIiNS6_6CastOpIiEEPilEEPlNS6_3SumENS_12future_valueIlSC_EElNS0_19lookback_scan_stateIlLb1ELb1EEEEEvT2_T3_mT5_T4_T7_jPT6_SO_bb,comdat
	.protected	_ZN7rocprim6detail20lookback_scan_kernelILNS0_25lookback_scan_determinismE0ELb1ENS0_19wrapped_scan_configINS_14default_configElEEN6hipcub22TransformInputIteratorIiNS6_6CastOpIiEEPilEEPlNS6_3SumENS_12future_valueIlSC_EElNS0_19lookback_scan_stateIlLb1ELb1EEEEEvT2_T3_mT5_T4_T7_jPT6_SO_bb ; -- Begin function _ZN7rocprim6detail20lookback_scan_kernelILNS0_25lookback_scan_determinismE0ELb1ENS0_19wrapped_scan_configINS_14default_configElEEN6hipcub22TransformInputIteratorIiNS6_6CastOpIiEEPilEEPlNS6_3SumENS_12future_valueIlSC_EElNS0_19lookback_scan_stateIlLb1ELb1EEEEEvT2_T3_mT5_T4_T7_jPT6_SO_bb
	.globl	_ZN7rocprim6detail20lookback_scan_kernelILNS0_25lookback_scan_determinismE0ELb1ENS0_19wrapped_scan_configINS_14default_configElEEN6hipcub22TransformInputIteratorIiNS6_6CastOpIiEEPilEEPlNS6_3SumENS_12future_valueIlSC_EElNS0_19lookback_scan_stateIlLb1ELb1EEEEEvT2_T3_mT5_T4_T7_jPT6_SO_bb
	.p2align	8
	.type	_ZN7rocprim6detail20lookback_scan_kernelILNS0_25lookback_scan_determinismE0ELb1ENS0_19wrapped_scan_configINS_14default_configElEEN6hipcub22TransformInputIteratorIiNS6_6CastOpIiEEPilEEPlNS6_3SumENS_12future_valueIlSC_EElNS0_19lookback_scan_stateIlLb1ELb1EEEEEvT2_T3_mT5_T4_T7_jPT6_SO_bb,@function
_ZN7rocprim6detail20lookback_scan_kernelILNS0_25lookback_scan_determinismE0ELb1ENS0_19wrapped_scan_configINS_14default_configElEEN6hipcub22TransformInputIteratorIiNS6_6CastOpIiEEPilEEPlNS6_3SumENS_12future_valueIlSC_EElNS0_19lookback_scan_stateIlLb1ELb1EEEEEvT2_T3_mT5_T4_T7_jPT6_SO_bb: ; @_ZN7rocprim6detail20lookback_scan_kernelILNS0_25lookback_scan_determinismE0ELb1ENS0_19wrapped_scan_configINS_14default_configElEEN6hipcub22TransformInputIteratorIiNS6_6CastOpIiEEPilEEPlNS6_3SumENS_12future_valueIlSC_EElNS0_19lookback_scan_stateIlLb1ELb1EEEEEvT2_T3_mT5_T4_T7_jPT6_SO_bb
; %bb.0:
	s_endpgm
	.section	.rodata,"a",@progbits
	.p2align	6, 0x0
	.amdhsa_kernel _ZN7rocprim6detail20lookback_scan_kernelILNS0_25lookback_scan_determinismE0ELb1ENS0_19wrapped_scan_configINS_14default_configElEEN6hipcub22TransformInputIteratorIiNS6_6CastOpIiEEPilEEPlNS6_3SumENS_12future_valueIlSC_EElNS0_19lookback_scan_stateIlLb1ELb1EEEEEvT2_T3_mT5_T4_T7_jPT6_SO_bb
		.amdhsa_group_segment_fixed_size 0
		.amdhsa_private_segment_fixed_size 0
		.amdhsa_kernarg_size 84
		.amdhsa_user_sgpr_count 6
		.amdhsa_user_sgpr_private_segment_buffer 1
		.amdhsa_user_sgpr_dispatch_ptr 0
		.amdhsa_user_sgpr_queue_ptr 0
		.amdhsa_user_sgpr_kernarg_segment_ptr 1
		.amdhsa_user_sgpr_dispatch_id 0
		.amdhsa_user_sgpr_flat_scratch_init 0
		.amdhsa_user_sgpr_private_segment_size 0
		.amdhsa_uses_dynamic_stack 0
		.amdhsa_system_sgpr_private_segment_wavefront_offset 0
		.amdhsa_system_sgpr_workgroup_id_x 1
		.amdhsa_system_sgpr_workgroup_id_y 0
		.amdhsa_system_sgpr_workgroup_id_z 0
		.amdhsa_system_sgpr_workgroup_info 0
		.amdhsa_system_vgpr_workitem_id 0
		.amdhsa_next_free_vgpr 1
		.amdhsa_next_free_sgpr 0
		.amdhsa_reserve_vcc 0
		.amdhsa_reserve_flat_scratch 0
		.amdhsa_float_round_mode_32 0
		.amdhsa_float_round_mode_16_64 0
		.amdhsa_float_denorm_mode_32 3
		.amdhsa_float_denorm_mode_16_64 3
		.amdhsa_dx10_clamp 1
		.amdhsa_ieee_mode 1
		.amdhsa_fp16_overflow 0
		.amdhsa_exception_fp_ieee_invalid_op 0
		.amdhsa_exception_fp_denorm_src 0
		.amdhsa_exception_fp_ieee_div_zero 0
		.amdhsa_exception_fp_ieee_overflow 0
		.amdhsa_exception_fp_ieee_underflow 0
		.amdhsa_exception_fp_ieee_inexact 0
		.amdhsa_exception_int_div_zero 0
	.end_amdhsa_kernel
	.section	.text._ZN7rocprim6detail20lookback_scan_kernelILNS0_25lookback_scan_determinismE0ELb1ENS0_19wrapped_scan_configINS_14default_configElEEN6hipcub22TransformInputIteratorIiNS6_6CastOpIiEEPilEEPlNS6_3SumENS_12future_valueIlSC_EElNS0_19lookback_scan_stateIlLb1ELb1EEEEEvT2_T3_mT5_T4_T7_jPT6_SO_bb,"axG",@progbits,_ZN7rocprim6detail20lookback_scan_kernelILNS0_25lookback_scan_determinismE0ELb1ENS0_19wrapped_scan_configINS_14default_configElEEN6hipcub22TransformInputIteratorIiNS6_6CastOpIiEEPilEEPlNS6_3SumENS_12future_valueIlSC_EElNS0_19lookback_scan_stateIlLb1ELb1EEEEEvT2_T3_mT5_T4_T7_jPT6_SO_bb,comdat
.Lfunc_end127:
	.size	_ZN7rocprim6detail20lookback_scan_kernelILNS0_25lookback_scan_determinismE0ELb1ENS0_19wrapped_scan_configINS_14default_configElEEN6hipcub22TransformInputIteratorIiNS6_6CastOpIiEEPilEEPlNS6_3SumENS_12future_valueIlSC_EElNS0_19lookback_scan_stateIlLb1ELb1EEEEEvT2_T3_mT5_T4_T7_jPT6_SO_bb, .Lfunc_end127-_ZN7rocprim6detail20lookback_scan_kernelILNS0_25lookback_scan_determinismE0ELb1ENS0_19wrapped_scan_configINS_14default_configElEEN6hipcub22TransformInputIteratorIiNS6_6CastOpIiEEPilEEPlNS6_3SumENS_12future_valueIlSC_EElNS0_19lookback_scan_stateIlLb1ELb1EEEEEvT2_T3_mT5_T4_T7_jPT6_SO_bb
                                        ; -- End function
	.set _ZN7rocprim6detail20lookback_scan_kernelILNS0_25lookback_scan_determinismE0ELb1ENS0_19wrapped_scan_configINS_14default_configElEEN6hipcub22TransformInputIteratorIiNS6_6CastOpIiEEPilEEPlNS6_3SumENS_12future_valueIlSC_EElNS0_19lookback_scan_stateIlLb1ELb1EEEEEvT2_T3_mT5_T4_T7_jPT6_SO_bb.num_vgpr, 0
	.set _ZN7rocprim6detail20lookback_scan_kernelILNS0_25lookback_scan_determinismE0ELb1ENS0_19wrapped_scan_configINS_14default_configElEEN6hipcub22TransformInputIteratorIiNS6_6CastOpIiEEPilEEPlNS6_3SumENS_12future_valueIlSC_EElNS0_19lookback_scan_stateIlLb1ELb1EEEEEvT2_T3_mT5_T4_T7_jPT6_SO_bb.num_agpr, 0
	.set _ZN7rocprim6detail20lookback_scan_kernelILNS0_25lookback_scan_determinismE0ELb1ENS0_19wrapped_scan_configINS_14default_configElEEN6hipcub22TransformInputIteratorIiNS6_6CastOpIiEEPilEEPlNS6_3SumENS_12future_valueIlSC_EElNS0_19lookback_scan_stateIlLb1ELb1EEEEEvT2_T3_mT5_T4_T7_jPT6_SO_bb.numbered_sgpr, 0
	.set _ZN7rocprim6detail20lookback_scan_kernelILNS0_25lookback_scan_determinismE0ELb1ENS0_19wrapped_scan_configINS_14default_configElEEN6hipcub22TransformInputIteratorIiNS6_6CastOpIiEEPilEEPlNS6_3SumENS_12future_valueIlSC_EElNS0_19lookback_scan_stateIlLb1ELb1EEEEEvT2_T3_mT5_T4_T7_jPT6_SO_bb.num_named_barrier, 0
	.set _ZN7rocprim6detail20lookback_scan_kernelILNS0_25lookback_scan_determinismE0ELb1ENS0_19wrapped_scan_configINS_14default_configElEEN6hipcub22TransformInputIteratorIiNS6_6CastOpIiEEPilEEPlNS6_3SumENS_12future_valueIlSC_EElNS0_19lookback_scan_stateIlLb1ELb1EEEEEvT2_T3_mT5_T4_T7_jPT6_SO_bb.private_seg_size, 0
	.set _ZN7rocprim6detail20lookback_scan_kernelILNS0_25lookback_scan_determinismE0ELb1ENS0_19wrapped_scan_configINS_14default_configElEEN6hipcub22TransformInputIteratorIiNS6_6CastOpIiEEPilEEPlNS6_3SumENS_12future_valueIlSC_EElNS0_19lookback_scan_stateIlLb1ELb1EEEEEvT2_T3_mT5_T4_T7_jPT6_SO_bb.uses_vcc, 0
	.set _ZN7rocprim6detail20lookback_scan_kernelILNS0_25lookback_scan_determinismE0ELb1ENS0_19wrapped_scan_configINS_14default_configElEEN6hipcub22TransformInputIteratorIiNS6_6CastOpIiEEPilEEPlNS6_3SumENS_12future_valueIlSC_EElNS0_19lookback_scan_stateIlLb1ELb1EEEEEvT2_T3_mT5_T4_T7_jPT6_SO_bb.uses_flat_scratch, 0
	.set _ZN7rocprim6detail20lookback_scan_kernelILNS0_25lookback_scan_determinismE0ELb1ENS0_19wrapped_scan_configINS_14default_configElEEN6hipcub22TransformInputIteratorIiNS6_6CastOpIiEEPilEEPlNS6_3SumENS_12future_valueIlSC_EElNS0_19lookback_scan_stateIlLb1ELb1EEEEEvT2_T3_mT5_T4_T7_jPT6_SO_bb.has_dyn_sized_stack, 0
	.set _ZN7rocprim6detail20lookback_scan_kernelILNS0_25lookback_scan_determinismE0ELb1ENS0_19wrapped_scan_configINS_14default_configElEEN6hipcub22TransformInputIteratorIiNS6_6CastOpIiEEPilEEPlNS6_3SumENS_12future_valueIlSC_EElNS0_19lookback_scan_stateIlLb1ELb1EEEEEvT2_T3_mT5_T4_T7_jPT6_SO_bb.has_recursion, 0
	.set _ZN7rocprim6detail20lookback_scan_kernelILNS0_25lookback_scan_determinismE0ELb1ENS0_19wrapped_scan_configINS_14default_configElEEN6hipcub22TransformInputIteratorIiNS6_6CastOpIiEEPilEEPlNS6_3SumENS_12future_valueIlSC_EElNS0_19lookback_scan_stateIlLb1ELb1EEEEEvT2_T3_mT5_T4_T7_jPT6_SO_bb.has_indirect_call, 0
	.section	.AMDGPU.csdata,"",@progbits
; Kernel info:
; codeLenInByte = 4
; TotalNumSgprs: 4
; NumVgprs: 0
; ScratchSize: 0
; MemoryBound: 0
; FloatMode: 240
; IeeeMode: 1
; LDSByteSize: 0 bytes/workgroup (compile time only)
; SGPRBlocks: 0
; VGPRBlocks: 0
; NumSGPRsForWavesPerEU: 4
; NumVGPRsForWavesPerEU: 1
; Occupancy: 10
; WaveLimiterHint : 0
; COMPUTE_PGM_RSRC2:SCRATCH_EN: 0
; COMPUTE_PGM_RSRC2:USER_SGPR: 6
; COMPUTE_PGM_RSRC2:TRAP_HANDLER: 0
; COMPUTE_PGM_RSRC2:TGID_X_EN: 1
; COMPUTE_PGM_RSRC2:TGID_Y_EN: 0
; COMPUTE_PGM_RSRC2:TGID_Z_EN: 0
; COMPUTE_PGM_RSRC2:TIDIG_COMP_CNT: 0
	.section	.text._ZN7rocprim6detail20lookback_scan_kernelILNS0_25lookback_scan_determinismE0ELb1ENS0_19wrapped_scan_configINS_14default_configElEEN6hipcub22TransformInputIteratorIiNS6_6CastOpIiEEPilEEPlNS6_3SumENS_12future_valueIlSC_EElNS0_19lookback_scan_stateIlLb0ELb1EEEEEvT2_T3_mT5_T4_T7_jPT6_SO_bb,"axG",@progbits,_ZN7rocprim6detail20lookback_scan_kernelILNS0_25lookback_scan_determinismE0ELb1ENS0_19wrapped_scan_configINS_14default_configElEEN6hipcub22TransformInputIteratorIiNS6_6CastOpIiEEPilEEPlNS6_3SumENS_12future_valueIlSC_EElNS0_19lookback_scan_stateIlLb0ELb1EEEEEvT2_T3_mT5_T4_T7_jPT6_SO_bb,comdat
	.protected	_ZN7rocprim6detail20lookback_scan_kernelILNS0_25lookback_scan_determinismE0ELb1ENS0_19wrapped_scan_configINS_14default_configElEEN6hipcub22TransformInputIteratorIiNS6_6CastOpIiEEPilEEPlNS6_3SumENS_12future_valueIlSC_EElNS0_19lookback_scan_stateIlLb0ELb1EEEEEvT2_T3_mT5_T4_T7_jPT6_SO_bb ; -- Begin function _ZN7rocprim6detail20lookback_scan_kernelILNS0_25lookback_scan_determinismE0ELb1ENS0_19wrapped_scan_configINS_14default_configElEEN6hipcub22TransformInputIteratorIiNS6_6CastOpIiEEPilEEPlNS6_3SumENS_12future_valueIlSC_EElNS0_19lookback_scan_stateIlLb0ELb1EEEEEvT2_T3_mT5_T4_T7_jPT6_SO_bb
	.globl	_ZN7rocprim6detail20lookback_scan_kernelILNS0_25lookback_scan_determinismE0ELb1ENS0_19wrapped_scan_configINS_14default_configElEEN6hipcub22TransformInputIteratorIiNS6_6CastOpIiEEPilEEPlNS6_3SumENS_12future_valueIlSC_EElNS0_19lookback_scan_stateIlLb0ELb1EEEEEvT2_T3_mT5_T4_T7_jPT6_SO_bb
	.p2align	8
	.type	_ZN7rocprim6detail20lookback_scan_kernelILNS0_25lookback_scan_determinismE0ELb1ENS0_19wrapped_scan_configINS_14default_configElEEN6hipcub22TransformInputIteratorIiNS6_6CastOpIiEEPilEEPlNS6_3SumENS_12future_valueIlSC_EElNS0_19lookback_scan_stateIlLb0ELb1EEEEEvT2_T3_mT5_T4_T7_jPT6_SO_bb,@function
_ZN7rocprim6detail20lookback_scan_kernelILNS0_25lookback_scan_determinismE0ELb1ENS0_19wrapped_scan_configINS_14default_configElEEN6hipcub22TransformInputIteratorIiNS6_6CastOpIiEEPilEEPlNS6_3SumENS_12future_valueIlSC_EElNS0_19lookback_scan_stateIlLb0ELb1EEEEEvT2_T3_mT5_T4_T7_jPT6_SO_bb: ; @_ZN7rocprim6detail20lookback_scan_kernelILNS0_25lookback_scan_determinismE0ELb1ENS0_19wrapped_scan_configINS_14default_configElEEN6hipcub22TransformInputIteratorIiNS6_6CastOpIiEEPilEEPlNS6_3SumENS_12future_valueIlSC_EElNS0_19lookback_scan_stateIlLb0ELb1EEEEEvT2_T3_mT5_T4_T7_jPT6_SO_bb
; %bb.0:
	s_load_dwordx2 s[0:1], s[4:5], 0x20
	s_load_dword s2, s[4:5], 0x38
	s_load_dwordx2 s[14:15], s[4:5], 0x0
	s_load_dwordx4 s[8:11], s[4:5], 0x10
	s_mul_i32 s12, s6, 0x380
	s_waitcnt lgkmcnt(0)
	s_load_dwordx2 s[16:17], s[0:1], 0x0
	s_add_i32 s0, s2, -1
	s_mul_i32 s1, s0, 0x380
	s_sub_u32 s22, s10, s1
	s_subb_u32 s23, s11, 0
	s_mov_b32 s13, 0
	s_cmp_lg_u32 s6, s0
	s_cselect_b64 s[10:11], -1, 0
	s_lshl_b64 s[0:1], s[12:13], 2
	s_add_u32 s18, s14, s0
	s_addc_u32 s19, s15, s1
	s_mov_b64 s[0:1], -1
	s_and_b64 vcc, exec, s[10:11]
	v_lshlrev_b32_e32 v1, 2, v0
	v_lshlrev_b32_e32 v43, 3, v0
	s_cbranch_vccz .LBB128_2
; %bb.1:
	global_load_dword v2, v1, s[18:19]
	global_load_dword v4, v1, s[18:19] offset:256
	global_load_dword v6, v1, s[18:19] offset:512
	;; [unrolled: 1-line block ×13, first 2 shown]
	s_mov_b64 s[0:1], 0
	s_waitcnt vmcnt(13)
	v_ashrrev_i32_e32 v3, 31, v2
	s_waitcnt vmcnt(12)
	v_ashrrev_i32_e32 v5, 31, v4
	;; [unrolled: 2-line block ×14, first 2 shown]
	ds_write2st64_b64 v43, v[2:3], v[4:5] offset1:1
	ds_write2st64_b64 v43, v[6:7], v[8:9] offset0:2 offset1:3
	ds_write2st64_b64 v43, v[10:11], v[12:13] offset0:4 offset1:5
	;; [unrolled: 1-line block ×6, first 2 shown]
	s_waitcnt lgkmcnt(0)
	; wave barrier
.LBB128_2:
	s_andn2_b64 vcc, exec, s[0:1]
	v_cmp_gt_u32_e64 s[0:1], s22, v0
	s_cbranch_vccnz .LBB128_32
; %bb.3:
	s_load_dword s2, s[18:19], 0x0
	v_mov_b32_e32 v2, s19
	v_add_co_u32_e32 v3, vcc, s18, v1
	v_addc_co_u32_e32 v4, vcc, 0, v2, vcc
	s_waitcnt lgkmcnt(0)
	s_ashr_i32 s3, s2, 31
	v_mov_b32_e32 v1, s2
	v_mov_b32_e32 v2, s3
	s_and_saveexec_b64 s[18:19], s[0:1]
	s_cbranch_execz .LBB128_5
; %bb.4:
	global_load_dword v1, v[3:4], off
	s_waitcnt vmcnt(0)
	v_ashrrev_i32_e32 v2, 31, v1
.LBB128_5:
	s_or_b64 exec, exec, s[18:19]
	v_or_b32_e32 v5, 64, v0
	v_cmp_gt_u32_e32 vcc, s22, v5
	v_mov_b32_e32 v6, s3
	v_mov_b32_e32 v5, s2
	s_and_saveexec_b64 s[0:1], vcc
	s_cbranch_execz .LBB128_7
; %bb.6:
	global_load_dword v5, v[3:4], off offset:256
	s_waitcnt vmcnt(0)
	v_ashrrev_i32_e32 v6, 31, v5
.LBB128_7:
	s_or_b64 exec, exec, s[0:1]
	v_or_b32_e32 v7, 0x80, v0
	v_cmp_gt_u32_e32 vcc, s22, v7
	v_mov_b32_e32 v8, s3
	v_mov_b32_e32 v7, s2
	s_and_saveexec_b64 s[0:1], vcc
	s_cbranch_execz .LBB128_9
; %bb.8:
	global_load_dword v7, v[3:4], off offset:512
	s_waitcnt vmcnt(0)
	v_ashrrev_i32_e32 v8, 31, v7
.LBB128_9:
	;; [unrolled: 12-line block ×13, first 2 shown]
	s_or_b64 exec, exec, s[0:1]
	ds_write2st64_b64 v43, v[1:2], v[5:6] offset1:1
	ds_write2st64_b64 v43, v[7:8], v[9:10] offset0:2 offset1:3
	ds_write2st64_b64 v43, v[11:12], v[13:14] offset0:4 offset1:5
	;; [unrolled: 1-line block ×6, first 2 shown]
	s_waitcnt lgkmcnt(0)
	; wave barrier
.LBB128_32:
	v_mul_u32_u24_e32 v44, 0x70, v0
	s_waitcnt lgkmcnt(0)
	ds_read_b128 v[25:28], v44
	ds_read_b128 v[21:24], v44 offset:16
	ds_read_b128 v[17:20], v44 offset:32
	;; [unrolled: 1-line block ×6, first 2 shown]
	s_load_dwordx2 s[18:19], s[4:5], 0x30
	s_cmp_lg_u32 s6, 0
	v_mbcnt_lo_u32_b32 v45, -1, 0
	s_waitcnt lgkmcnt(0)
	; wave barrier
	s_cbranch_scc0 .LBB128_86
; %bb.33:
	v_add_co_u32_e32 v29, vcc, v27, v25
	v_addc_co_u32_e32 v30, vcc, v28, v26, vcc
	v_add_co_u32_e32 v29, vcc, v29, v21
	v_addc_co_u32_e32 v30, vcc, v30, v22, vcc
	;; [unrolled: 2-line block ×13, first 2 shown]
	v_mbcnt_hi_u32_b32 v40, -1, v45
	v_and_b32_e32 v33, 15, v40
	v_mov_b32_e32 v32, v30
	v_mov_b32_dpp v35, v29 row_shr:1 row_mask:0xf bank_mask:0xf
	v_mov_b32_dpp v34, v30 row_shr:1 row_mask:0xf bank_mask:0xf
	v_cmp_ne_u32_e32 vcc, 0, v33
	v_mov_b32_e32 v31, v29
	s_and_saveexec_b64 s[0:1], vcc
; %bb.34:
	v_add_co_u32_e32 v29, vcc, v29, v35
	v_addc_co_u32_e32 v30, vcc, 0, v30, vcc
	v_add_co_u32_e32 v31, vcc, 0, v29
	v_addc_co_u32_e32 v32, vcc, v34, v30, vcc
	v_mov_b32_e32 v30, v32
; %bb.35:
	s_or_b64 exec, exec, s[0:1]
	v_mov_b32_dpp v35, v29 row_shr:2 row_mask:0xf bank_mask:0xf
	v_mov_b32_dpp v34, v30 row_shr:2 row_mask:0xf bank_mask:0xf
	v_cmp_lt_u32_e32 vcc, 1, v33
	s_and_saveexec_b64 s[0:1], vcc
; %bb.36:
	v_add_co_u32_e32 v29, vcc, v31, v35
	v_addc_co_u32_e32 v30, vcc, 0, v32, vcc
	v_add_co_u32_e32 v31, vcc, 0, v29
	v_addc_co_u32_e32 v32, vcc, v34, v30, vcc
	v_mov_b32_e32 v30, v32
; %bb.37:
	s_or_b64 exec, exec, s[0:1]
	v_mov_b32_dpp v35, v29 row_shr:4 row_mask:0xf bank_mask:0xf
	v_mov_b32_dpp v34, v30 row_shr:4 row_mask:0xf bank_mask:0xf
	v_cmp_lt_u32_e32 vcc, 3, v33
	;; [unrolled: 12-line block ×3, first 2 shown]
	s_and_saveexec_b64 s[0:1], vcc
; %bb.40:
	v_add_co_u32_e32 v29, vcc, v31, v35
	v_addc_co_u32_e32 v30, vcc, 0, v32, vcc
	v_add_co_u32_e32 v31, vcc, 0, v29
	v_addc_co_u32_e32 v32, vcc, v34, v30, vcc
	v_mov_b32_e32 v30, v32
; %bb.41:
	s_or_b64 exec, exec, s[0:1]
	v_and_b32_e32 v35, 16, v40
	v_mov_b32_dpp v34, v29 row_bcast:15 row_mask:0xf bank_mask:0xf
	v_mov_b32_dpp v33, v30 row_bcast:15 row_mask:0xf bank_mask:0xf
	v_cmp_ne_u32_e32 vcc, 0, v35
	s_and_saveexec_b64 s[0:1], vcc
; %bb.42:
	v_add_co_u32_e32 v29, vcc, v31, v34
	v_addc_co_u32_e32 v30, vcc, 0, v32, vcc
	v_add_co_u32_e32 v31, vcc, 0, v29
	v_addc_co_u32_e32 v32, vcc, v33, v30, vcc
	v_mov_b32_e32 v30, v32
; %bb.43:
	s_or_b64 exec, exec, s[0:1]
	v_mov_b32_dpp v34, v29 row_bcast:31 row_mask:0xf bank_mask:0xf
	v_mov_b32_dpp v33, v30 row_bcast:31 row_mask:0xf bank_mask:0xf
	v_cmp_lt_u32_e32 vcc, 31, v40
	s_and_saveexec_b64 s[0:1], vcc
; %bb.44:
	v_add_co_u32_e32 v29, vcc, v31, v34
	v_addc_co_u32_e32 v30, vcc, 0, v32, vcc
	v_add_co_u32_e32 v31, vcc, 0, v29
	v_addc_co_u32_e32 v32, vcc, v33, v30, vcc
	v_mov_b32_e32 v30, v32
; %bb.45:
	s_or_b64 exec, exec, s[0:1]
	v_cmp_eq_u32_e32 vcc, 63, v0
	s_and_saveexec_b64 s[0:1], vcc
; %bb.46:
	v_mov_b32_e32 v33, 0
	ds_write_b64 v33, v[31:32]
; %bb.47:
	s_or_b64 exec, exec, s[0:1]
	v_subrev_co_u32_e64 v31, s[0:1], 1, v40
	v_and_b32_e32 v32, 64, v40
	v_cmp_lt_i32_e32 vcc, v31, v32
	v_cndmask_b32_e32 v31, v31, v40, vcc
	v_lshlrev_b32_e32 v31, 2, v31
	v_mov_b32_e32 v32, 0
	s_waitcnt lgkmcnt(0)
	; wave barrier
	ds_bpermute_b32 v46, v31, v29
	ds_bpermute_b32 v47, v31, v30
	ds_read_b64 v[29:30], v32
	s_and_saveexec_b64 s[2:3], s[0:1]
	s_cbranch_execz .LBB128_49
; %bb.48:
	s_add_i32 s20, s6, 64
	s_mov_b32 s21, 0
	s_lshl_b64 s[20:21], s[20:21], 4
	s_add_u32 s20, s18, s20
	s_addc_u32 s21, s19, s21
	v_mov_b32_e32 v34, s21
	v_mov_b32_e32 v31, 1
	;; [unrolled: 1-line block ×3, first 2 shown]
	s_waitcnt lgkmcnt(0)
	;;#ASMSTART
	global_store_dwordx4 v[33:34], v[29:32] off	
s_waitcnt vmcnt(0)
	;;#ASMEND
.LBB128_49:
	s_or_b64 exec, exec, s[2:3]
	v_xad_u32 v37, v40, -1, s6
	v_add_u32_e32 v31, 64, v37
	v_lshlrev_b64 v[33:34], 4, v[31:32]
	v_mov_b32_e32 v31, s19
	v_add_co_u32_e32 v38, vcc, s18, v33
	v_addc_co_u32_e32 v39, vcc, v31, v34, vcc
	;;#ASMSTART
	global_load_dwordx4 v[33:36], v[38:39] off glc	
s_waitcnt vmcnt(0)
	;;#ASMEND
	v_cmp_eq_u16_sdwa s[20:21], v35, v32 src0_sel:BYTE_0 src1_sel:DWORD
	s_and_saveexec_b64 s[2:3], s[20:21]
	s_cbranch_execz .LBB128_53
; %bb.50:
	s_mov_b64 s[20:21], 0
	v_mov_b32_e32 v31, 0
.LBB128_51:                             ; =>This Inner Loop Header: Depth=1
	;;#ASMSTART
	global_load_dwordx4 v[33:36], v[38:39] off glc	
s_waitcnt vmcnt(0)
	;;#ASMEND
	v_cmp_ne_u16_sdwa s[24:25], v35, v31 src0_sel:BYTE_0 src1_sel:DWORD
	s_or_b64 s[20:21], s[24:25], s[20:21]
	s_andn2_b64 exec, exec, s[20:21]
	s_cbranch_execnz .LBB128_51
; %bb.52:
	s_or_b64 exec, exec, s[20:21]
.LBB128_53:
	s_or_b64 exec, exec, s[2:3]
	v_and_b32_e32 v39, 63, v40
	v_mov_b32_e32 v36, 2
	v_lshlrev_b64 v[31:32], v40, -1
	v_cmp_ne_u32_e32 vcc, 63, v39
	v_cmp_eq_u16_sdwa s[2:3], v35, v36 src0_sel:BYTE_0 src1_sel:DWORD
	v_addc_co_u32_e32 v41, vcc, 0, v40, vcc
	v_and_b32_e32 v36, s3, v32
	v_lshlrev_b32_e32 v48, 2, v41
	v_or_b32_e32 v36, 0x80000000, v36
	ds_bpermute_b32 v42, v48, v33
	ds_bpermute_b32 v41, v48, v34
	v_and_b32_e32 v38, s2, v31
	v_ffbl_b32_e32 v36, v36
	v_add_u32_e32 v36, 32, v36
	v_ffbl_b32_e32 v38, v38
	v_min_u32_e32 v36, v38, v36
	v_add_u32_e32 v49, 1, v40
	v_cmp_le_u32_e32 vcc, v49, v36
	v_mov_b32_e32 v38, v33
	s_and_saveexec_b64 s[2:3], vcc
	s_cbranch_execz .LBB128_55
; %bb.54:
	s_waitcnt lgkmcnt(1)
	v_add_co_u32_e32 v38, vcc, v33, v42
	v_addc_co_u32_e32 v34, vcc, 0, v34, vcc
	v_add_co_u32_e32 v33, vcc, 0, v38
	s_waitcnt lgkmcnt(0)
	v_addc_co_u32_e32 v34, vcc, v41, v34, vcc
.LBB128_55:
	s_or_b64 exec, exec, s[2:3]
	v_cmp_gt_u32_e32 vcc, 62, v39
	s_waitcnt lgkmcnt(0)
	v_cndmask_b32_e64 v41, 0, 2, vcc
	v_add_lshl_u32 v50, v41, v40, 2
	ds_bpermute_b32 v42, v50, v38
	ds_bpermute_b32 v41, v50, v34
	v_add_u32_e32 v51, 2, v40
	v_cmp_le_u32_e32 vcc, v51, v36
	s_and_saveexec_b64 s[2:3], vcc
	s_cbranch_execz .LBB128_57
; %bb.56:
	s_waitcnt lgkmcnt(1)
	v_add_co_u32_e32 v38, vcc, v33, v42
	v_addc_co_u32_e32 v34, vcc, 0, v34, vcc
	v_add_co_u32_e32 v33, vcc, 0, v38
	s_waitcnt lgkmcnt(0)
	v_addc_co_u32_e32 v34, vcc, v41, v34, vcc
.LBB128_57:
	s_or_b64 exec, exec, s[2:3]
	v_cmp_gt_u32_e32 vcc, 60, v39
	s_waitcnt lgkmcnt(0)
	v_cndmask_b32_e64 v41, 0, 4, vcc
	v_add_lshl_u32 v52, v41, v40, 2
	ds_bpermute_b32 v42, v52, v38
	ds_bpermute_b32 v41, v52, v34
	v_add_u32_e32 v53, 4, v40
	v_cmp_le_u32_e32 vcc, v53, v36
	s_and_saveexec_b64 s[2:3], vcc
	s_cbranch_execz .LBB128_59
; %bb.58:
	s_waitcnt lgkmcnt(1)
	v_add_co_u32_e32 v38, vcc, v33, v42
	v_addc_co_u32_e32 v34, vcc, 0, v34, vcc
	v_add_co_u32_e32 v33, vcc, 0, v38
	s_waitcnt lgkmcnt(0)
	v_addc_co_u32_e32 v34, vcc, v41, v34, vcc
.LBB128_59:
	s_or_b64 exec, exec, s[2:3]
	v_cmp_gt_u32_e32 vcc, 56, v39
	s_waitcnt lgkmcnt(0)
	v_cndmask_b32_e64 v41, 0, 8, vcc
	v_add_lshl_u32 v54, v41, v40, 2
	ds_bpermute_b32 v42, v54, v38
	ds_bpermute_b32 v41, v54, v34
	v_add_u32_e32 v55, 8, v40
	v_cmp_le_u32_e32 vcc, v55, v36
	s_and_saveexec_b64 s[2:3], vcc
	s_cbranch_execz .LBB128_61
; %bb.60:
	s_waitcnt lgkmcnt(1)
	v_add_co_u32_e32 v38, vcc, v33, v42
	v_addc_co_u32_e32 v34, vcc, 0, v34, vcc
	v_add_co_u32_e32 v33, vcc, 0, v38
	s_waitcnt lgkmcnt(0)
	v_addc_co_u32_e32 v34, vcc, v41, v34, vcc
.LBB128_61:
	s_or_b64 exec, exec, s[2:3]
	v_cmp_gt_u32_e32 vcc, 48, v39
	v_cndmask_b32_e64 v39, 0, 16, vcc
	v_add_lshl_u32 v56, v39, v40, 2
	s_waitcnt lgkmcnt(0)
	ds_bpermute_b32 v41, v56, v38
	ds_bpermute_b32 v39, v56, v34
	v_add_u32_e32 v57, 16, v40
	v_cmp_le_u32_e32 vcc, v57, v36
	s_and_saveexec_b64 s[2:3], vcc
	s_cbranch_execz .LBB128_63
; %bb.62:
	s_waitcnt lgkmcnt(1)
	v_add_co_u32_e32 v38, vcc, v33, v41
	v_addc_co_u32_e32 v34, vcc, 0, v34, vcc
	v_add_co_u32_e32 v33, vcc, 0, v38
	s_waitcnt lgkmcnt(0)
	v_addc_co_u32_e32 v34, vcc, v39, v34, vcc
.LBB128_63:
	s_or_b64 exec, exec, s[2:3]
	s_waitcnt lgkmcnt(0)
	v_mov_b32_e32 v39, 0x80
	v_lshl_or_b32 v58, v40, 2, v39
	ds_bpermute_b32 v39, v58, v38
	v_add_u32_e32 v59, 32, v40
	ds_bpermute_b32 v40, v58, v34
	v_mov_b32_e32 v38, 0
	v_mov_b32_e32 v60, 2
	s_waitcnt lgkmcnt(1)
	v_add_co_u32_e32 v39, vcc, v33, v39
	v_addc_co_u32_e32 v41, vcc, 0, v34, vcc
	v_add_co_u32_e32 v39, vcc, 0, v39
	s_waitcnt lgkmcnt(0)
	v_addc_co_u32_e32 v40, vcc, v41, v40, vcc
	v_cmp_gt_u32_e32 vcc, v59, v36
	v_cndmask_b32_e32 v34, v40, v34, vcc
	v_cndmask_b32_e32 v33, v39, v33, vcc
	s_branch .LBB128_66
.LBB128_64:                             ;   in Loop: Header=BB128_66 Depth=1
	s_or_b64 exec, exec, s[2:3]
	ds_bpermute_b32 v41, v58, v41
	s_waitcnt lgkmcnt(1)
	ds_bpermute_b32 v42, v58, v34
	v_subrev_u32_e32 v37, 64, v37
	s_mov_b64 s[2:3], 0
	s_waitcnt lgkmcnt(1)
	v_add_co_u32_e32 v41, vcc, v33, v41
	v_addc_co_u32_e32 v61, vcc, 0, v34, vcc
	v_add_co_u32_e32 v41, vcc, 0, v41
	s_waitcnt lgkmcnt(0)
	v_addc_co_u32_e32 v42, vcc, v61, v42, vcc
	v_cmp_gt_u32_e32 vcc, v59, v36
	v_cndmask_b32_e32 v33, v41, v33, vcc
	v_cndmask_b32_e32 v34, v42, v34, vcc
	v_add_co_u32_e32 v33, vcc, v33, v39
	v_addc_co_u32_e32 v34, vcc, v34, v40, vcc
.LBB128_65:                             ;   in Loop: Header=BB128_66 Depth=1
	s_and_b64 vcc, exec, s[2:3]
	s_cbranch_vccnz .LBB128_81
.LBB128_66:                             ; =>This Loop Header: Depth=1
                                        ;     Child Loop BB128_69 Depth 2
	v_mov_b32_e32 v40, v34
	v_cmp_ne_u16_sdwa s[2:3], v35, v60 src0_sel:BYTE_0 src1_sel:DWORD
	v_mov_b32_e32 v39, v33
	s_cmp_lg_u64 s[2:3], exec
	s_mov_b64 s[2:3], -1
                                        ; implicit-def: $vgpr33_vgpr34
                                        ; implicit-def: $vgpr35
	s_cbranch_scc1 .LBB128_65
; %bb.67:                               ;   in Loop: Header=BB128_66 Depth=1
	v_lshlrev_b64 v[33:34], 4, v[37:38]
	v_mov_b32_e32 v35, s19
	v_add_co_u32_e32 v41, vcc, s18, v33
	v_addc_co_u32_e32 v42, vcc, v35, v34, vcc
	;;#ASMSTART
	global_load_dwordx4 v[33:36], v[41:42] off glc	
s_waitcnt vmcnt(0)
	;;#ASMEND
	v_cmp_eq_u16_sdwa s[20:21], v35, v38 src0_sel:BYTE_0 src1_sel:DWORD
	s_and_saveexec_b64 s[2:3], s[20:21]
	s_cbranch_execz .LBB128_71
; %bb.68:                               ;   in Loop: Header=BB128_66 Depth=1
	s_mov_b64 s[20:21], 0
.LBB128_69:                             ;   Parent Loop BB128_66 Depth=1
                                        ; =>  This Inner Loop Header: Depth=2
	;;#ASMSTART
	global_load_dwordx4 v[33:36], v[41:42] off glc	
s_waitcnt vmcnt(0)
	;;#ASMEND
	v_cmp_ne_u16_sdwa s[24:25], v35, v38 src0_sel:BYTE_0 src1_sel:DWORD
	s_or_b64 s[20:21], s[24:25], s[20:21]
	s_andn2_b64 exec, exec, s[20:21]
	s_cbranch_execnz .LBB128_69
; %bb.70:                               ;   in Loop: Header=BB128_66 Depth=1
	s_or_b64 exec, exec, s[20:21]
.LBB128_71:                             ;   in Loop: Header=BB128_66 Depth=1
	s_or_b64 exec, exec, s[2:3]
	v_cmp_eq_u16_sdwa s[2:3], v35, v60 src0_sel:BYTE_0 src1_sel:DWORD
	v_and_b32_e32 v36, s3, v32
	v_or_b32_e32 v36, 0x80000000, v36
	ds_bpermute_b32 v61, v48, v33
	ds_bpermute_b32 v42, v48, v34
	v_and_b32_e32 v41, s2, v31
	v_ffbl_b32_e32 v36, v36
	v_add_u32_e32 v36, 32, v36
	v_ffbl_b32_e32 v41, v41
	v_min_u32_e32 v36, v41, v36
	v_cmp_le_u32_e32 vcc, v49, v36
	v_mov_b32_e32 v41, v33
	s_and_saveexec_b64 s[2:3], vcc
	s_cbranch_execz .LBB128_73
; %bb.72:                               ;   in Loop: Header=BB128_66 Depth=1
	s_waitcnt lgkmcnt(1)
	v_add_co_u32_e32 v41, vcc, v33, v61
	v_addc_co_u32_e32 v34, vcc, 0, v34, vcc
	v_add_co_u32_e32 v33, vcc, 0, v41
	s_waitcnt lgkmcnt(0)
	v_addc_co_u32_e32 v34, vcc, v42, v34, vcc
.LBB128_73:                             ;   in Loop: Header=BB128_66 Depth=1
	s_or_b64 exec, exec, s[2:3]
	s_waitcnt lgkmcnt(1)
	ds_bpermute_b32 v61, v50, v41
	s_waitcnt lgkmcnt(1)
	ds_bpermute_b32 v42, v50, v34
	v_cmp_le_u32_e32 vcc, v51, v36
	s_and_saveexec_b64 s[2:3], vcc
	s_cbranch_execz .LBB128_75
; %bb.74:                               ;   in Loop: Header=BB128_66 Depth=1
	s_waitcnt lgkmcnt(1)
	v_add_co_u32_e32 v41, vcc, v33, v61
	v_addc_co_u32_e32 v34, vcc, 0, v34, vcc
	v_add_co_u32_e32 v33, vcc, 0, v41
	s_waitcnt lgkmcnt(0)
	v_addc_co_u32_e32 v34, vcc, v42, v34, vcc
.LBB128_75:                             ;   in Loop: Header=BB128_66 Depth=1
	s_or_b64 exec, exec, s[2:3]
	s_waitcnt lgkmcnt(1)
	ds_bpermute_b32 v61, v52, v41
	s_waitcnt lgkmcnt(1)
	ds_bpermute_b32 v42, v52, v34
	v_cmp_le_u32_e32 vcc, v53, v36
	s_and_saveexec_b64 s[2:3], vcc
	s_cbranch_execz .LBB128_77
; %bb.76:                               ;   in Loop: Header=BB128_66 Depth=1
	s_waitcnt lgkmcnt(1)
	v_add_co_u32_e32 v41, vcc, v33, v61
	v_addc_co_u32_e32 v34, vcc, 0, v34, vcc
	v_add_co_u32_e32 v33, vcc, 0, v41
	s_waitcnt lgkmcnt(0)
	v_addc_co_u32_e32 v34, vcc, v42, v34, vcc
.LBB128_77:                             ;   in Loop: Header=BB128_66 Depth=1
	s_or_b64 exec, exec, s[2:3]
	s_waitcnt lgkmcnt(1)
	ds_bpermute_b32 v61, v54, v41
	s_waitcnt lgkmcnt(1)
	ds_bpermute_b32 v42, v54, v34
	v_cmp_le_u32_e32 vcc, v55, v36
	s_and_saveexec_b64 s[2:3], vcc
	s_cbranch_execz .LBB128_79
; %bb.78:                               ;   in Loop: Header=BB128_66 Depth=1
	s_waitcnt lgkmcnt(1)
	v_add_co_u32_e32 v41, vcc, v33, v61
	v_addc_co_u32_e32 v34, vcc, 0, v34, vcc
	v_add_co_u32_e32 v33, vcc, 0, v41
	s_waitcnt lgkmcnt(0)
	v_addc_co_u32_e32 v34, vcc, v42, v34, vcc
.LBB128_79:                             ;   in Loop: Header=BB128_66 Depth=1
	s_or_b64 exec, exec, s[2:3]
	s_waitcnt lgkmcnt(1)
	ds_bpermute_b32 v61, v56, v41
	s_waitcnt lgkmcnt(1)
	ds_bpermute_b32 v42, v56, v34
	v_cmp_le_u32_e32 vcc, v57, v36
	s_and_saveexec_b64 s[2:3], vcc
	s_cbranch_execz .LBB128_64
; %bb.80:                               ;   in Loop: Header=BB128_66 Depth=1
	s_waitcnt lgkmcnt(1)
	v_add_co_u32_e32 v41, vcc, v33, v61
	v_addc_co_u32_e32 v34, vcc, 0, v34, vcc
	v_add_co_u32_e32 v33, vcc, 0, v41
	s_waitcnt lgkmcnt(0)
	v_addc_co_u32_e32 v34, vcc, v42, v34, vcc
	s_branch .LBB128_64
.LBB128_81:
	s_and_saveexec_b64 s[2:3], s[0:1]
	s_cbranch_execz .LBB128_83
; %bb.82:
	s_add_i32 s0, s6, 64
	s_mov_b32 s1, 0
	s_lshl_b64 s[0:1], s[0:1], 4
	s_add_u32 s0, s18, s0
	s_addc_u32 s1, s19, s1
	v_add_co_u32_e32 v29, vcc, v39, v29
	v_mov_b32_e32 v34, s1
	v_addc_co_u32_e32 v30, vcc, v40, v30, vcc
	v_mov_b32_e32 v31, 2
	v_mov_b32_e32 v32, 0
	;; [unrolled: 1-line block ×3, first 2 shown]
	;;#ASMSTART
	global_store_dwordx4 v[33:34], v[29:32] off	
s_waitcnt vmcnt(0)
	;;#ASMEND
.LBB128_83:
	s_or_b64 exec, exec, s[2:3]
	v_cmp_eq_u32_e32 vcc, 0, v0
	s_and_saveexec_b64 s[0:1], vcc
; %bb.84:
	v_mov_b32_e32 v29, 0
	ds_write_b64 v29, v[39:40]
; %bb.85:
	s_or_b64 exec, exec, s[0:1]
	v_mov_b32_e32 v29, 0
	s_waitcnt lgkmcnt(0)
	; wave barrier
	ds_read_b64 v[29:30], v29
	v_cndmask_b32_e64 v32, v46, 0, vcc
	v_cndmask_b32_e64 v31, v47, 0, vcc
	s_waitcnt lgkmcnt(0)
	v_add_co_u32_e32 v29, vcc, v29, v32
	v_addc_co_u32_e32 v30, vcc, v30, v31, vcc
	s_load_dwordx4 s[0:3], s[4:5], 0x40
	s_branch .LBB128_104
.LBB128_86:
                                        ; implicit-def: $vgpr29_vgpr30
	s_load_dwordx4 s[0:3], s[4:5], 0x40
	s_cbranch_execz .LBB128_104
; %bb.87:
	s_load_dword s6, s[4:5], 0x50
	v_mov_b32_e32 v32, s17
	v_mov_b32_e32 v31, s16
	s_waitcnt lgkmcnt(0)
	s_bitcmp0_b32 s6, 0
	s_cbranch_scc1 .LBB128_89
; %bb.88:
	v_mov_b32_e32 v31, 0
	global_load_dword v32, v31, s[14:15] offset:-4
	global_load_dwordx2 v[29:30], v31, s[0:1]
	s_waitcnt vmcnt(1)
	v_ashrrev_i32_e32 v33, 31, v32
	s_waitcnt vmcnt(0)
	v_add_co_u32_e32 v31, vcc, v29, v32
	v_addc_co_u32_e32 v32, vcc, v30, v33, vcc
.LBB128_89:
	v_add_co_u32_e32 v29, vcc, v27, v25
	v_addc_co_u32_e32 v30, vcc, v28, v26, vcc
	v_add_co_u32_e32 v29, vcc, v29, v21
	v_addc_co_u32_e32 v30, vcc, v30, v22, vcc
	;; [unrolled: 2-line block ×12, first 2 shown]
	v_add_co_u32_e32 v3, vcc, v29, v3
	v_mbcnt_hi_u32_b32 v29, -1, v45
	v_addc_co_u32_e32 v4, vcc, v30, v4, vcc
	v_and_b32_e32 v33, 15, v29
	v_mov_b32_dpp v35, v3 row_shr:1 row_mask:0xf bank_mask:0xf
	v_mov_b32_dpp v34, v4 row_shr:1 row_mask:0xf bank_mask:0xf
	v_cmp_ne_u32_e32 vcc, 0, v33
	v_mov_b32_e32 v30, v3
	s_and_saveexec_b64 s[0:1], vcc
; %bb.90:
	v_add_co_u32_e32 v30, vcc, v3, v35
	v_addc_co_u32_e32 v4, vcc, 0, v4, vcc
	v_add_co_u32_e32 v3, vcc, 0, v30
	v_addc_co_u32_e32 v4, vcc, v34, v4, vcc
; %bb.91:
	s_or_b64 exec, exec, s[0:1]
	v_mov_b32_dpp v35, v30 row_shr:2 row_mask:0xf bank_mask:0xf
	v_mov_b32_dpp v34, v4 row_shr:2 row_mask:0xf bank_mask:0xf
	v_cmp_lt_u32_e32 vcc, 1, v33
	s_and_saveexec_b64 s[0:1], vcc
; %bb.92:
	v_add_co_u32_e32 v30, vcc, v3, v35
	v_addc_co_u32_e32 v4, vcc, 0, v4, vcc
	v_add_co_u32_e32 v3, vcc, 0, v30
	v_addc_co_u32_e32 v4, vcc, v34, v4, vcc
; %bb.93:
	s_or_b64 exec, exec, s[0:1]
	v_mov_b32_dpp v35, v30 row_shr:4 row_mask:0xf bank_mask:0xf
	v_mov_b32_dpp v34, v4 row_shr:4 row_mask:0xf bank_mask:0xf
	v_cmp_lt_u32_e32 vcc, 3, v33
	;; [unrolled: 11-line block ×3, first 2 shown]
	s_and_saveexec_b64 s[0:1], vcc
; %bb.96:
	v_add_co_u32_e32 v30, vcc, v3, v35
	v_addc_co_u32_e32 v4, vcc, 0, v4, vcc
	v_add_co_u32_e32 v3, vcc, 0, v30
	v_addc_co_u32_e32 v4, vcc, v34, v4, vcc
; %bb.97:
	s_or_b64 exec, exec, s[0:1]
	v_and_b32_e32 v35, 16, v29
	v_mov_b32_dpp v34, v30 row_bcast:15 row_mask:0xf bank_mask:0xf
	v_mov_b32_dpp v33, v4 row_bcast:15 row_mask:0xf bank_mask:0xf
	v_cmp_ne_u32_e32 vcc, 0, v35
	s_and_saveexec_b64 s[0:1], vcc
; %bb.98:
	v_add_co_u32_e32 v30, vcc, v3, v34
	v_addc_co_u32_e32 v4, vcc, 0, v4, vcc
	v_add_co_u32_e32 v3, vcc, 0, v30
	v_addc_co_u32_e32 v4, vcc, v33, v4, vcc
; %bb.99:
	s_or_b64 exec, exec, s[0:1]
	v_mov_b32_dpp v33, v30 row_bcast:31 row_mask:0xf bank_mask:0xf
	v_add_co_u32_e32 v33, vcc, v3, v33
	v_addc_co_u32_e32 v35, vcc, 0, v4, vcc
	v_mov_b32_dpp v34, v4 row_bcast:31 row_mask:0xf bank_mask:0xf
	v_add_co_u32_e32 v33, vcc, 0, v33
	v_addc_co_u32_e32 v34, vcc, v35, v34, vcc
	v_cmp_lt_u32_e32 vcc, 31, v29
	v_mov_b32_e32 v30, 0
	v_cndmask_b32_e32 v4, v4, v34, vcc
	v_cndmask_b32_e32 v3, v3, v33, vcc
	v_cmp_eq_u32_e32 vcc, 63, v0
	s_and_saveexec_b64 s[0:1], vcc
; %bb.100:
	ds_write_b64 v30, v[3:4]
; %bb.101:
	s_or_b64 exec, exec, s[0:1]
	v_add_co_u32_e32 v3, vcc, v3, v31
	v_addc_co_u32_e32 v4, vcc, v4, v32, vcc
	v_subrev_co_u32_e32 v30, vcc, 1, v29
	v_and_b32_e32 v33, 64, v29
	v_cmp_lt_i32_e64 s[0:1], v30, v33
	v_cndmask_b32_e64 v29, v30, v29, s[0:1]
	v_lshlrev_b32_e32 v29, 2, v29
	ds_bpermute_b32 v4, v29, v4
	ds_bpermute_b32 v3, v29, v3
	v_cmp_eq_u32_e64 s[0:1], 0, v0
	s_or_b64 vcc, s[0:1], vcc
	s_waitcnt lgkmcnt(0)
	v_cndmask_b32_e32 v30, v4, v32, vcc
	v_cndmask_b32_e32 v29, v3, v31, vcc
	; wave barrier
	s_and_saveexec_b64 s[6:7], s[0:1]
	s_cbranch_execz .LBB128_103
; %bb.102:
	v_mov_b32_e32 v36, 0
	ds_read_b64 v[3:4], v36
	s_add_u32 s0, s18, 0x400
	s_addc_u32 s1, s19, 0
	v_mov_b32_e32 v35, 2
	v_mov_b32_e32 v29, v31
	s_waitcnt lgkmcnt(0)
	v_add_co_u32_e32 v33, vcc, v3, v31
	v_addc_co_u32_e32 v34, vcc, v4, v32, vcc
	v_mov_b32_e32 v4, s1
	v_mov_b32_e32 v3, s0
	;;#ASMSTART
	global_store_dwordx4 v[3:4], v[33:36] off	
s_waitcnt vmcnt(0)
	;;#ASMEND
	v_mov_b32_e32 v30, v32
.LBB128_103:
	s_or_b64 exec, exec, s[6:7]
.LBB128_104:
	v_add_co_u32_e32 v31, vcc, v29, v25
	v_addc_co_u32_e32 v32, vcc, v30, v26, vcc
	v_add_co_u32_e32 v25, vcc, v31, v27
	v_addc_co_u32_e32 v26, vcc, v32, v28, vcc
	;; [unrolled: 2-line block ×12, first 2 shown]
	v_add_co_u32_e32 v5, vcc, v3, v1
	s_waitcnt lgkmcnt(0)
	s_lshl_b64 s[0:1], s[12:13], 3
	v_addc_co_u32_e32 v6, vcc, v4, v2, vcc
	s_add_u32 s0, s8, s0
	s_addc_u32 s1, s9, s1
	s_mov_b64 s[6:7], -1
	s_and_b64 vcc, exec, s[10:11]
	; wave barrier
	s_cbranch_vccz .LBB128_106
; %bb.105:
	ds_write_b128 v44, v[29:32]
	ds_write_b128 v44, v[25:28] offset:16
	ds_write_b128 v44, v[21:24] offset:32
	;; [unrolled: 1-line block ×6, first 2 shown]
	s_waitcnt lgkmcnt(0)
	; wave barrier
	ds_read2st64_b64 v[33:36], v43 offset1:1
	ds_read2st64_b64 v[37:40], v43 offset0:2 offset1:3
	ds_read2st64_b64 v[45:48], v43 offset0:4 offset1:5
	;; [unrolled: 1-line block ×6, first 2 shown]
	v_mov_b32_e32 v1, s1
	v_add_co_u32_e32 v2, vcc, s0, v43
	v_addc_co_u32_e32 v7, vcc, 0, v1, vcc
	v_add_co_u32_e32 v1, vcc, 0x1000, v2
	v_addc_co_u32_e32 v2, vcc, 0, v7, vcc
	s_waitcnt lgkmcnt(6)
	global_store_dwordx2 v43, v[33:34], s[0:1]
	global_store_dwordx2 v43, v[35:36], s[0:1] offset:512
	s_waitcnt lgkmcnt(5)
	global_store_dwordx2 v43, v[37:38], s[0:1] offset:1024
	global_store_dwordx2 v43, v[39:40], s[0:1] offset:1536
	s_waitcnt lgkmcnt(4)
	global_store_dwordx2 v43, v[45:46], s[0:1] offset:2048
	;; [unrolled: 3-line block ×3, first 2 shown]
	global_store_dwordx2 v43, v[51:52], s[0:1] offset:3584
	s_waitcnt lgkmcnt(2)
	global_store_dwordx2 v[1:2], v[53:54], off
	global_store_dwordx2 v[1:2], v[55:56], off offset:512
	s_waitcnt lgkmcnt(1)
	global_store_dwordx2 v[1:2], v[57:58], off offset:1024
	global_store_dwordx2 v[1:2], v[59:60], off offset:1536
	s_waitcnt lgkmcnt(0)
	global_store_dwordx2 v[1:2], v[61:62], off offset:2048
	global_store_dwordx2 v[1:2], v[63:64], off offset:2560
	s_mov_b64 s[6:7], 0
.LBB128_106:
	s_andn2_b64 vcc, exec, s[6:7]
	s_cbranch_vccnz .LBB128_186
; %bb.107:
	ds_write_b128 v44, v[29:32]
	ds_write_b128 v44, v[25:28] offset:16
	ds_write_b128 v44, v[21:24] offset:32
	ds_write_b128 v44, v[17:20] offset:48
	ds_write_b128 v44, v[13:16] offset:64
	ds_write_b128 v44, v[9:12] offset:80
	ds_write_b128 v44, v[3:6] offset:96
	s_waitcnt lgkmcnt(0)
	; wave barrier
	ds_read2st64_b64 v[6:9], v43 offset1:1
	ds_read2st64_b64 v[10:13], v43 offset0:2 offset1:3
	ds_read2st64_b64 v[14:17], v43 offset0:4 offset1:5
	;; [unrolled: 1-line block ×6, first 2 shown]
	v_mov_b32_e32 v31, s1
	v_add_co_u32_e32 v30, vcc, s0, v43
	v_addc_co_u32_e32 v31, vcc, 0, v31, vcc
	v_mov_b32_e32 v1, 0
	v_cmp_gt_u32_e32 vcc, s22, v0
	s_and_saveexec_b64 s[0:1], vcc
	s_cbranch_execz .LBB128_109
; %bb.108:
	s_waitcnt lgkmcnt(6)
	global_store_dwordx2 v[30:31], v[6:7], off
.LBB128_109:
	s_or_b64 exec, exec, s[0:1]
	v_or_b32_e32 v32, 64, v0
	v_cmp_gt_u32_e32 vcc, s22, v32
	s_and_saveexec_b64 s[0:1], vcc
	s_cbranch_execz .LBB128_111
; %bb.110:
	s_waitcnt lgkmcnt(6)
	global_store_dwordx2 v[30:31], v[8:9], off offset:512
.LBB128_111:
	s_or_b64 exec, exec, s[0:1]
	v_or_b32_e32 v32, 0x80, v0
	v_cmp_gt_u32_e32 vcc, s22, v32
	s_and_saveexec_b64 s[0:1], vcc
	s_cbranch_execz .LBB128_113
; %bb.112:
	s_waitcnt lgkmcnt(5)
	global_store_dwordx2 v[30:31], v[10:11], off offset:1024
.LBB128_113:
	s_or_b64 exec, exec, s[0:1]
	v_or_b32_e32 v32, 0xc0, v0
	v_cmp_gt_u32_e32 vcc, s22, v32
	s_and_saveexec_b64 s[0:1], vcc
	s_cbranch_execz .LBB128_115
; %bb.114:
	s_waitcnt lgkmcnt(5)
	global_store_dwordx2 v[30:31], v[12:13], off offset:1536
.LBB128_115:
	s_or_b64 exec, exec, s[0:1]
	v_or_b32_e32 v32, 0x100, v0
	v_cmp_gt_u32_e32 vcc, s22, v32
	s_and_saveexec_b64 s[0:1], vcc
	s_cbranch_execz .LBB128_117
; %bb.116:
	s_waitcnt lgkmcnt(4)
	global_store_dwordx2 v[30:31], v[14:15], off offset:2048
.LBB128_117:
	s_or_b64 exec, exec, s[0:1]
	v_or_b32_e32 v32, 0x140, v0
	v_cmp_gt_u32_e32 vcc, s22, v32
	s_and_saveexec_b64 s[0:1], vcc
	s_cbranch_execz .LBB128_119
; %bb.118:
	s_waitcnt lgkmcnt(4)
	global_store_dwordx2 v[30:31], v[16:17], off offset:2560
.LBB128_119:
	s_or_b64 exec, exec, s[0:1]
	v_or_b32_e32 v32, 0x180, v0
	v_cmp_gt_u32_e32 vcc, s22, v32
	s_and_saveexec_b64 s[0:1], vcc
	s_cbranch_execz .LBB128_121
; %bb.120:
	s_waitcnt lgkmcnt(3)
	global_store_dwordx2 v[30:31], v[2:3], off offset:3072
.LBB128_121:
	s_or_b64 exec, exec, s[0:1]
	v_or_b32_e32 v32, 0x1c0, v0
	v_cmp_gt_u32_e32 vcc, s22, v32
	s_and_saveexec_b64 s[0:1], vcc
	s_cbranch_execz .LBB128_123
; %bb.122:
	s_waitcnt lgkmcnt(3)
	global_store_dwordx2 v[30:31], v[4:5], off offset:3584
.LBB128_123:
	s_or_b64 exec, exec, s[0:1]
	v_or_b32_e32 v32, 0x200, v0
	v_cmp_gt_u32_e32 vcc, s22, v32
	s_and_saveexec_b64 s[0:1], vcc
	s_cbranch_execz .LBB128_125
; %bb.124:
	v_add_co_u32_e32 v32, vcc, 0x1000, v30
	v_addc_co_u32_e32 v33, vcc, 0, v31, vcc
	s_waitcnt lgkmcnt(2)
	global_store_dwordx2 v[32:33], v[22:23], off
.LBB128_125:
	s_or_b64 exec, exec, s[0:1]
	v_or_b32_e32 v32, 0x240, v0
	v_cmp_gt_u32_e32 vcc, s22, v32
	s_and_saveexec_b64 s[0:1], vcc
	s_cbranch_execz .LBB128_127
; %bb.126:
	v_add_co_u32_e32 v32, vcc, 0x1000, v30
	v_addc_co_u32_e32 v33, vcc, 0, v31, vcc
	s_waitcnt lgkmcnt(2)
	global_store_dwordx2 v[32:33], v[24:25], off offset:512
.LBB128_127:
	s_or_b64 exec, exec, s[0:1]
	v_or_b32_e32 v32, 0x280, v0
	v_cmp_gt_u32_e32 vcc, s22, v32
	s_and_saveexec_b64 s[0:1], vcc
	s_cbranch_execz .LBB128_129
; %bb.128:
	v_add_co_u32_e32 v32, vcc, 0x1000, v30
	v_addc_co_u32_e32 v33, vcc, 0, v31, vcc
	s_waitcnt lgkmcnt(1)
	global_store_dwordx2 v[32:33], v[18:19], off offset:1024
.LBB128_129:
	;; [unrolled: 11-line block ×5, first 2 shown]
	s_or_b64 exec, exec, s[0:1]
	s_load_dword s0, s[4:5], 0x50
	s_waitcnt lgkmcnt(0)
	s_bfe_u32 s0, s0, 0x10008
	s_cmp_eq_u32 s0, 0
	s_cbranch_scc1 .LBB128_186
; %bb.136:
	s_add_u32 s0, s22, -1
	s_addc_u32 s1, s23, -1
	s_lshr_b64 s[4:5], s[0:1], 1
	s_lshr_b32 s7, s1, 1
	s_mul_hi_u32 s5, s4, 0x49249249
	s_mul_i32 s6, s4, 0x49249249
	s_mul_i32 s9, s7, 0x24924925
	s_mul_hi_u32 s4, s4, 0x24924925
	s_mul_hi_u32 s8, s7, 0x24924925
	s_add_u32 s4, s9, s4
	s_addc_u32 s8, s8, 0
	s_add_u32 s4, s6, s4
	s_addc_u32 s4, s5, 0
	;; [unrolled: 2-line block ×3, first 2 shown]
	s_mul_hi_u32 s6, s7, 0x49249249
	s_mul_i32 s7, s7, 0x49249249
	s_add_u32 s4, s7, s4
	s_addc_u32 s5, s6, s5
	s_lshr_b64 s[4:5], s[4:5], 1
	v_cmp_eq_u64_e32 vcc, s[4:5], v[0:1]
	s_and_saveexec_b64 s[4:5], vcc
	s_cbranch_execz .LBB128_186
; %bb.137:
	v_mul_hi_u32_u24_e32 v1, 14, v0
	v_mul_u32_u24_e32 v0, 14, v0
	v_mov_b32_e32 v30, s1
	v_sub_co_u32_e32 v0, vcc, s0, v0
	v_subb_co_u32_e32 v1, vcc, v30, v1, vcc
	v_cmp_lt_i64_e32 vcc, 6, v[0:1]
	s_and_saveexec_b64 s[0:1], vcc
	s_xor_b64 s[0:1], exec, s[0:1]
	s_cbranch_execz .LBB128_163
; %bb.138:
	v_cmp_lt_i64_e32 vcc, 9, v[0:1]
	s_and_saveexec_b64 s[4:5], vcc
	s_xor_b64 s[4:5], exec, s[4:5]
	s_cbranch_execz .LBB128_152
; %bb.139:
	v_cmp_lt_i64_e32 vcc, 11, v[0:1]
	s_and_saveexec_b64 s[6:7], vcc
	s_xor_b64 s[6:7], exec, s[6:7]
	s_cbranch_execz .LBB128_145
; %bb.140:
	v_cmp_lt_i64_e32 vcc, 12, v[0:1]
	s_and_saveexec_b64 s[8:9], vcc
	s_xor_b64 s[8:9], exec, s[8:9]
	s_cbranch_execz .LBB128_142
; %bb.141:
	v_mov_b32_e32 v0, 0
	global_store_dwordx2 v0, v[28:29], s[2:3]
                                        ; implicit-def: $vgpr26_vgpr27_vgpr28_vgpr29
.LBB128_142:
	s_andn2_saveexec_b64 s[8:9], s[8:9]
	s_cbranch_execz .LBB128_144
; %bb.143:
	v_mov_b32_e32 v0, 0
	global_store_dwordx2 v0, v[26:27], s[2:3]
.LBB128_144:
	s_or_b64 exec, exec, s[8:9]
                                        ; implicit-def: $vgpr18_vgpr19_vgpr20_vgpr21
                                        ; implicit-def: $vgpr0_vgpr1
.LBB128_145:
	s_andn2_saveexec_b64 s[6:7], s[6:7]
	s_cbranch_execz .LBB128_151
; %bb.146:
	v_cmp_lt_i64_e32 vcc, 10, v[0:1]
	s_and_saveexec_b64 s[8:9], vcc
	s_xor_b64 s[8:9], exec, s[8:9]
	s_cbranch_execz .LBB128_148
; %bb.147:
	v_mov_b32_e32 v0, 0
	global_store_dwordx2 v0, v[20:21], s[2:3]
                                        ; implicit-def: $vgpr18_vgpr19_vgpr20_vgpr21
.LBB128_148:
	s_andn2_saveexec_b64 s[8:9], s[8:9]
	s_cbranch_execz .LBB128_150
; %bb.149:
	v_mov_b32_e32 v0, 0
	global_store_dwordx2 v0, v[18:19], s[2:3]
.LBB128_150:
	s_or_b64 exec, exec, s[8:9]
.LBB128_151:
	s_or_b64 exec, exec, s[6:7]
                                        ; implicit-def: $vgpr2_vgpr3_vgpr4_vgpr5
                                        ; implicit-def: $vgpr0_vgpr1
                                        ; implicit-def: $vgpr22_vgpr23_vgpr24_vgpr25
.LBB128_152:
	s_andn2_saveexec_b64 s[4:5], s[4:5]
	s_cbranch_execz .LBB128_162
; %bb.153:
	v_cmp_lt_i64_e32 vcc, 7, v[0:1]
	s_and_saveexec_b64 s[6:7], vcc
	s_xor_b64 s[6:7], exec, s[6:7]
	s_cbranch_execz .LBB128_159
; %bb.154:
	v_cmp_lt_i64_e32 vcc, 8, v[0:1]
	s_and_saveexec_b64 s[8:9], vcc
	s_xor_b64 s[8:9], exec, s[8:9]
	s_cbranch_execz .LBB128_156
; %bb.155:
	v_mov_b32_e32 v0, 0
	global_store_dwordx2 v0, v[24:25], s[2:3]
                                        ; implicit-def: $vgpr22_vgpr23_vgpr24_vgpr25
.LBB128_156:
	s_andn2_saveexec_b64 s[8:9], s[8:9]
	s_cbranch_execz .LBB128_158
; %bb.157:
	v_mov_b32_e32 v0, 0
	global_store_dwordx2 v0, v[22:23], s[2:3]
.LBB128_158:
	s_or_b64 exec, exec, s[8:9]
                                        ; implicit-def: $vgpr2_vgpr3_vgpr4_vgpr5
.LBB128_159:
	s_andn2_saveexec_b64 s[6:7], s[6:7]
	s_cbranch_execz .LBB128_161
; %bb.160:
	v_mov_b32_e32 v0, 0
	global_store_dwordx2 v0, v[4:5], s[2:3]
.LBB128_161:
	s_or_b64 exec, exec, s[6:7]
.LBB128_162:
	s_or_b64 exec, exec, s[4:5]
                                        ; implicit-def: $vgpr0_vgpr1
                                        ; implicit-def: $vgpr14_vgpr15_vgpr16_vgpr17
                                        ; implicit-def: $vgpr6_vgpr7_vgpr8_vgpr9
                                        ; implicit-def: $vgpr10_vgpr11_vgpr12_vgpr13
                                        ; implicit-def: $vgpr2_vgpr3_vgpr4_vgpr5
.LBB128_163:
	s_andn2_saveexec_b64 s[0:1], s[0:1]
	s_cbranch_execz .LBB128_186
; %bb.164:
	v_cmp_lt_i64_e32 vcc, 3, v[0:1]
	s_and_saveexec_b64 s[0:1], vcc
	s_xor_b64 s[0:1], exec, s[0:1]
	s_cbranch_execz .LBB128_174
; %bb.165:
	v_cmp_lt_i64_e32 vcc, 4, v[0:1]
	s_and_saveexec_b64 s[4:5], vcc
	s_xor_b64 s[4:5], exec, s[4:5]
	;; [unrolled: 5-line block ×3, first 2 shown]
	s_cbranch_execz .LBB128_168
; %bb.167:
	v_mov_b32_e32 v0, 0
	global_store_dwordx2 v0, v[2:3], s[2:3]
                                        ; implicit-def: $vgpr14_vgpr15_vgpr16_vgpr17
.LBB128_168:
	s_andn2_saveexec_b64 s[6:7], s[6:7]
	s_cbranch_execz .LBB128_170
; %bb.169:
	v_mov_b32_e32 v0, 0
	global_store_dwordx2 v0, v[16:17], s[2:3]
.LBB128_170:
	s_or_b64 exec, exec, s[6:7]
                                        ; implicit-def: $vgpr14_vgpr15_vgpr16_vgpr17
.LBB128_171:
	s_andn2_saveexec_b64 s[4:5], s[4:5]
	s_cbranch_execz .LBB128_173
; %bb.172:
	v_mov_b32_e32 v0, 0
	global_store_dwordx2 v0, v[14:15], s[2:3]
.LBB128_173:
	s_or_b64 exec, exec, s[4:5]
                                        ; implicit-def: $vgpr0_vgpr1
                                        ; implicit-def: $vgpr6_vgpr7_vgpr8_vgpr9
                                        ; implicit-def: $vgpr10_vgpr11_vgpr12_vgpr13
.LBB128_174:
	s_andn2_saveexec_b64 s[0:1], s[0:1]
	s_cbranch_execz .LBB128_186
; %bb.175:
	v_cmp_lt_i64_e32 vcc, 1, v[0:1]
	s_and_saveexec_b64 s[0:1], vcc
	s_xor_b64 s[0:1], exec, s[0:1]
	s_cbranch_execz .LBB128_181
; %bb.176:
	v_cmp_lt_i64_e32 vcc, 2, v[0:1]
	s_and_saveexec_b64 s[4:5], vcc
	s_xor_b64 s[4:5], exec, s[4:5]
	s_cbranch_execz .LBB128_178
; %bb.177:
	v_mov_b32_e32 v0, 0
	global_store_dwordx2 v0, v[12:13], s[2:3]
                                        ; implicit-def: $vgpr10_vgpr11_vgpr12_vgpr13
.LBB128_178:
	s_andn2_saveexec_b64 s[4:5], s[4:5]
	s_cbranch_execz .LBB128_180
; %bb.179:
	v_mov_b32_e32 v0, 0
	global_store_dwordx2 v0, v[10:11], s[2:3]
.LBB128_180:
	s_or_b64 exec, exec, s[4:5]
                                        ; implicit-def: $vgpr6_vgpr7_vgpr8_vgpr9
                                        ; implicit-def: $vgpr0_vgpr1
.LBB128_181:
	s_andn2_saveexec_b64 s[0:1], s[0:1]
	s_cbranch_execz .LBB128_186
; %bb.182:
	v_cmp_ne_u64_e32 vcc, 1, v[0:1]
	s_and_saveexec_b64 s[0:1], vcc
	s_xor_b64 s[0:1], exec, s[0:1]
	s_cbranch_execz .LBB128_184
; %bb.183:
	v_mov_b32_e32 v0, 0
	global_store_dwordx2 v0, v[6:7], s[2:3]
                                        ; implicit-def: $vgpr6_vgpr7_vgpr8_vgpr9
.LBB128_184:
	s_andn2_saveexec_b64 s[0:1], s[0:1]
	s_cbranch_execz .LBB128_186
; %bb.185:
	v_mov_b32_e32 v0, 0
	global_store_dwordx2 v0, v[8:9], s[2:3]
.LBB128_186:
	s_endpgm
	.section	.rodata,"a",@progbits
	.p2align	6, 0x0
	.amdhsa_kernel _ZN7rocprim6detail20lookback_scan_kernelILNS0_25lookback_scan_determinismE0ELb1ENS0_19wrapped_scan_configINS_14default_configElEEN6hipcub22TransformInputIteratorIiNS6_6CastOpIiEEPilEEPlNS6_3SumENS_12future_valueIlSC_EElNS0_19lookback_scan_stateIlLb0ELb1EEEEEvT2_T3_mT5_T4_T7_jPT6_SO_bb
		.amdhsa_group_segment_fixed_size 7168
		.amdhsa_private_segment_fixed_size 0
		.amdhsa_kernarg_size 84
		.amdhsa_user_sgpr_count 6
		.amdhsa_user_sgpr_private_segment_buffer 1
		.amdhsa_user_sgpr_dispatch_ptr 0
		.amdhsa_user_sgpr_queue_ptr 0
		.amdhsa_user_sgpr_kernarg_segment_ptr 1
		.amdhsa_user_sgpr_dispatch_id 0
		.amdhsa_user_sgpr_flat_scratch_init 0
		.amdhsa_user_sgpr_private_segment_size 0
		.amdhsa_uses_dynamic_stack 0
		.amdhsa_system_sgpr_private_segment_wavefront_offset 0
		.amdhsa_system_sgpr_workgroup_id_x 1
		.amdhsa_system_sgpr_workgroup_id_y 0
		.amdhsa_system_sgpr_workgroup_id_z 0
		.amdhsa_system_sgpr_workgroup_info 0
		.amdhsa_system_vgpr_workitem_id 0
		.amdhsa_next_free_vgpr 65
		.amdhsa_next_free_sgpr 98
		.amdhsa_reserve_vcc 1
		.amdhsa_reserve_flat_scratch 0
		.amdhsa_float_round_mode_32 0
		.amdhsa_float_round_mode_16_64 0
		.amdhsa_float_denorm_mode_32 3
		.amdhsa_float_denorm_mode_16_64 3
		.amdhsa_dx10_clamp 1
		.amdhsa_ieee_mode 1
		.amdhsa_fp16_overflow 0
		.amdhsa_exception_fp_ieee_invalid_op 0
		.amdhsa_exception_fp_denorm_src 0
		.amdhsa_exception_fp_ieee_div_zero 0
		.amdhsa_exception_fp_ieee_overflow 0
		.amdhsa_exception_fp_ieee_underflow 0
		.amdhsa_exception_fp_ieee_inexact 0
		.amdhsa_exception_int_div_zero 0
	.end_amdhsa_kernel
	.section	.text._ZN7rocprim6detail20lookback_scan_kernelILNS0_25lookback_scan_determinismE0ELb1ENS0_19wrapped_scan_configINS_14default_configElEEN6hipcub22TransformInputIteratorIiNS6_6CastOpIiEEPilEEPlNS6_3SumENS_12future_valueIlSC_EElNS0_19lookback_scan_stateIlLb0ELb1EEEEEvT2_T3_mT5_T4_T7_jPT6_SO_bb,"axG",@progbits,_ZN7rocprim6detail20lookback_scan_kernelILNS0_25lookback_scan_determinismE0ELb1ENS0_19wrapped_scan_configINS_14default_configElEEN6hipcub22TransformInputIteratorIiNS6_6CastOpIiEEPilEEPlNS6_3SumENS_12future_valueIlSC_EElNS0_19lookback_scan_stateIlLb0ELb1EEEEEvT2_T3_mT5_T4_T7_jPT6_SO_bb,comdat
.Lfunc_end128:
	.size	_ZN7rocprim6detail20lookback_scan_kernelILNS0_25lookback_scan_determinismE0ELb1ENS0_19wrapped_scan_configINS_14default_configElEEN6hipcub22TransformInputIteratorIiNS6_6CastOpIiEEPilEEPlNS6_3SumENS_12future_valueIlSC_EElNS0_19lookback_scan_stateIlLb0ELb1EEEEEvT2_T3_mT5_T4_T7_jPT6_SO_bb, .Lfunc_end128-_ZN7rocprim6detail20lookback_scan_kernelILNS0_25lookback_scan_determinismE0ELb1ENS0_19wrapped_scan_configINS_14default_configElEEN6hipcub22TransformInputIteratorIiNS6_6CastOpIiEEPilEEPlNS6_3SumENS_12future_valueIlSC_EElNS0_19lookback_scan_stateIlLb0ELb1EEEEEvT2_T3_mT5_T4_T7_jPT6_SO_bb
                                        ; -- End function
	.set _ZN7rocprim6detail20lookback_scan_kernelILNS0_25lookback_scan_determinismE0ELb1ENS0_19wrapped_scan_configINS_14default_configElEEN6hipcub22TransformInputIteratorIiNS6_6CastOpIiEEPilEEPlNS6_3SumENS_12future_valueIlSC_EElNS0_19lookback_scan_stateIlLb0ELb1EEEEEvT2_T3_mT5_T4_T7_jPT6_SO_bb.num_vgpr, 65
	.set _ZN7rocprim6detail20lookback_scan_kernelILNS0_25lookback_scan_determinismE0ELb1ENS0_19wrapped_scan_configINS_14default_configElEEN6hipcub22TransformInputIteratorIiNS6_6CastOpIiEEPilEEPlNS6_3SumENS_12future_valueIlSC_EElNS0_19lookback_scan_stateIlLb0ELb1EEEEEvT2_T3_mT5_T4_T7_jPT6_SO_bb.num_agpr, 0
	.set _ZN7rocprim6detail20lookback_scan_kernelILNS0_25lookback_scan_determinismE0ELb1ENS0_19wrapped_scan_configINS_14default_configElEEN6hipcub22TransformInputIteratorIiNS6_6CastOpIiEEPilEEPlNS6_3SumENS_12future_valueIlSC_EElNS0_19lookback_scan_stateIlLb0ELb1EEEEEvT2_T3_mT5_T4_T7_jPT6_SO_bb.numbered_sgpr, 26
	.set _ZN7rocprim6detail20lookback_scan_kernelILNS0_25lookback_scan_determinismE0ELb1ENS0_19wrapped_scan_configINS_14default_configElEEN6hipcub22TransformInputIteratorIiNS6_6CastOpIiEEPilEEPlNS6_3SumENS_12future_valueIlSC_EElNS0_19lookback_scan_stateIlLb0ELb1EEEEEvT2_T3_mT5_T4_T7_jPT6_SO_bb.num_named_barrier, 0
	.set _ZN7rocprim6detail20lookback_scan_kernelILNS0_25lookback_scan_determinismE0ELb1ENS0_19wrapped_scan_configINS_14default_configElEEN6hipcub22TransformInputIteratorIiNS6_6CastOpIiEEPilEEPlNS6_3SumENS_12future_valueIlSC_EElNS0_19lookback_scan_stateIlLb0ELb1EEEEEvT2_T3_mT5_T4_T7_jPT6_SO_bb.private_seg_size, 0
	.set _ZN7rocprim6detail20lookback_scan_kernelILNS0_25lookback_scan_determinismE0ELb1ENS0_19wrapped_scan_configINS_14default_configElEEN6hipcub22TransformInputIteratorIiNS6_6CastOpIiEEPilEEPlNS6_3SumENS_12future_valueIlSC_EElNS0_19lookback_scan_stateIlLb0ELb1EEEEEvT2_T3_mT5_T4_T7_jPT6_SO_bb.uses_vcc, 1
	.set _ZN7rocprim6detail20lookback_scan_kernelILNS0_25lookback_scan_determinismE0ELb1ENS0_19wrapped_scan_configINS_14default_configElEEN6hipcub22TransformInputIteratorIiNS6_6CastOpIiEEPilEEPlNS6_3SumENS_12future_valueIlSC_EElNS0_19lookback_scan_stateIlLb0ELb1EEEEEvT2_T3_mT5_T4_T7_jPT6_SO_bb.uses_flat_scratch, 0
	.set _ZN7rocprim6detail20lookback_scan_kernelILNS0_25lookback_scan_determinismE0ELb1ENS0_19wrapped_scan_configINS_14default_configElEEN6hipcub22TransformInputIteratorIiNS6_6CastOpIiEEPilEEPlNS6_3SumENS_12future_valueIlSC_EElNS0_19lookback_scan_stateIlLb0ELb1EEEEEvT2_T3_mT5_T4_T7_jPT6_SO_bb.has_dyn_sized_stack, 0
	.set _ZN7rocprim6detail20lookback_scan_kernelILNS0_25lookback_scan_determinismE0ELb1ENS0_19wrapped_scan_configINS_14default_configElEEN6hipcub22TransformInputIteratorIiNS6_6CastOpIiEEPilEEPlNS6_3SumENS_12future_valueIlSC_EElNS0_19lookback_scan_stateIlLb0ELb1EEEEEvT2_T3_mT5_T4_T7_jPT6_SO_bb.has_recursion, 0
	.set _ZN7rocprim6detail20lookback_scan_kernelILNS0_25lookback_scan_determinismE0ELb1ENS0_19wrapped_scan_configINS_14default_configElEEN6hipcub22TransformInputIteratorIiNS6_6CastOpIiEEPilEEPlNS6_3SumENS_12future_valueIlSC_EElNS0_19lookback_scan_stateIlLb0ELb1EEEEEvT2_T3_mT5_T4_T7_jPT6_SO_bb.has_indirect_call, 0
	.section	.AMDGPU.csdata,"",@progbits
; Kernel info:
; codeLenInByte = 5672
; TotalNumSgprs: 30
; NumVgprs: 65
; ScratchSize: 0
; MemoryBound: 0
; FloatMode: 240
; IeeeMode: 1
; LDSByteSize: 7168 bytes/workgroup (compile time only)
; SGPRBlocks: 12
; VGPRBlocks: 16
; NumSGPRsForWavesPerEU: 102
; NumVGPRsForWavesPerEU: 65
; Occupancy: 3
; WaveLimiterHint : 1
; COMPUTE_PGM_RSRC2:SCRATCH_EN: 0
; COMPUTE_PGM_RSRC2:USER_SGPR: 6
; COMPUTE_PGM_RSRC2:TRAP_HANDLER: 0
; COMPUTE_PGM_RSRC2:TGID_X_EN: 1
; COMPUTE_PGM_RSRC2:TGID_Y_EN: 0
; COMPUTE_PGM_RSRC2:TGID_Z_EN: 0
; COMPUTE_PGM_RSRC2:TIDIG_COMP_CNT: 0
	.section	.text._ZN7rocprim6detail16transform_kernelINS0_24wrapped_transform_configINS_14default_configElEElPlS5_NS_8identityIlEEEEvT1_mT2_T3_,"axG",@progbits,_ZN7rocprim6detail16transform_kernelINS0_24wrapped_transform_configINS_14default_configElEElPlS5_NS_8identityIlEEEEvT1_mT2_T3_,comdat
	.protected	_ZN7rocprim6detail16transform_kernelINS0_24wrapped_transform_configINS_14default_configElEElPlS5_NS_8identityIlEEEEvT1_mT2_T3_ ; -- Begin function _ZN7rocprim6detail16transform_kernelINS0_24wrapped_transform_configINS_14default_configElEElPlS5_NS_8identityIlEEEEvT1_mT2_T3_
	.globl	_ZN7rocprim6detail16transform_kernelINS0_24wrapped_transform_configINS_14default_configElEElPlS5_NS_8identityIlEEEEvT1_mT2_T3_
	.p2align	8
	.type	_ZN7rocprim6detail16transform_kernelINS0_24wrapped_transform_configINS_14default_configElEElPlS5_NS_8identityIlEEEEvT1_mT2_T3_,@function
_ZN7rocprim6detail16transform_kernelINS0_24wrapped_transform_configINS_14default_configElEElPlS5_NS_8identityIlEEEEvT1_mT2_T3_: ; @_ZN7rocprim6detail16transform_kernelINS0_24wrapped_transform_configINS_14default_configElEElPlS5_NS_8identityIlEEEEvT1_mT2_T3_
; %bb.0:
	s_load_dword s7, s[4:5], 0x20
	s_load_dwordx4 s[0:3], s[4:5], 0x0
	s_lshl_b32 s8, s6, 9
	s_waitcnt lgkmcnt(0)
	s_add_i32 s7, s7, -1
	s_cmp_lg_u32 s6, s7
	s_cselect_b64 s[6:7], -1, 0
	s_sub_i32 s2, s2, s8
	v_cmp_gt_u32_e32 vcc, s2, v0
	s_or_b64 s[2:3], vcc, s[6:7]
	s_and_saveexec_b64 s[6:7], s[2:3]
	s_cbranch_execz .LBB129_2
; %bb.1:
	s_load_dwordx2 s[2:3], s[4:5], 0x10
	s_mov_b32 s9, 0
	s_lshl_b64 s[4:5], s[8:9], 3
	v_lshlrev_b32_e32 v2, 3, v0
	s_waitcnt lgkmcnt(0)
	s_add_u32 s2, s2, s4
	s_addc_u32 s3, s3, s5
	s_add_u32 s0, s0, s4
	s_addc_u32 s1, s1, s5
	global_load_dwordx2 v[0:1], v2, s[0:1]
	s_waitcnt vmcnt(0)
	global_store_dwordx2 v2, v[0:1], s[2:3]
.LBB129_2:
	s_endpgm
	.section	.rodata,"a",@progbits
	.p2align	6, 0x0
	.amdhsa_kernel _ZN7rocprim6detail16transform_kernelINS0_24wrapped_transform_configINS_14default_configElEElPlS5_NS_8identityIlEEEEvT1_mT2_T3_
		.amdhsa_group_segment_fixed_size 0
		.amdhsa_private_segment_fixed_size 0
		.amdhsa_kernarg_size 288
		.amdhsa_user_sgpr_count 6
		.amdhsa_user_sgpr_private_segment_buffer 1
		.amdhsa_user_sgpr_dispatch_ptr 0
		.amdhsa_user_sgpr_queue_ptr 0
		.amdhsa_user_sgpr_kernarg_segment_ptr 1
		.amdhsa_user_sgpr_dispatch_id 0
		.amdhsa_user_sgpr_flat_scratch_init 0
		.amdhsa_user_sgpr_private_segment_size 0
		.amdhsa_uses_dynamic_stack 0
		.amdhsa_system_sgpr_private_segment_wavefront_offset 0
		.amdhsa_system_sgpr_workgroup_id_x 1
		.amdhsa_system_sgpr_workgroup_id_y 0
		.amdhsa_system_sgpr_workgroup_id_z 0
		.amdhsa_system_sgpr_workgroup_info 0
		.amdhsa_system_vgpr_workitem_id 0
		.amdhsa_next_free_vgpr 3
		.amdhsa_next_free_sgpr 10
		.amdhsa_reserve_vcc 1
		.amdhsa_reserve_flat_scratch 0
		.amdhsa_float_round_mode_32 0
		.amdhsa_float_round_mode_16_64 0
		.amdhsa_float_denorm_mode_32 3
		.amdhsa_float_denorm_mode_16_64 3
		.amdhsa_dx10_clamp 1
		.amdhsa_ieee_mode 1
		.amdhsa_fp16_overflow 0
		.amdhsa_exception_fp_ieee_invalid_op 0
		.amdhsa_exception_fp_denorm_src 0
		.amdhsa_exception_fp_ieee_div_zero 0
		.amdhsa_exception_fp_ieee_overflow 0
		.amdhsa_exception_fp_ieee_underflow 0
		.amdhsa_exception_fp_ieee_inexact 0
		.amdhsa_exception_int_div_zero 0
	.end_amdhsa_kernel
	.section	.text._ZN7rocprim6detail16transform_kernelINS0_24wrapped_transform_configINS_14default_configElEElPlS5_NS_8identityIlEEEEvT1_mT2_T3_,"axG",@progbits,_ZN7rocprim6detail16transform_kernelINS0_24wrapped_transform_configINS_14default_configElEElPlS5_NS_8identityIlEEEEvT1_mT2_T3_,comdat
.Lfunc_end129:
	.size	_ZN7rocprim6detail16transform_kernelINS0_24wrapped_transform_configINS_14default_configElEElPlS5_NS_8identityIlEEEEvT1_mT2_T3_, .Lfunc_end129-_ZN7rocprim6detail16transform_kernelINS0_24wrapped_transform_configINS_14default_configElEElPlS5_NS_8identityIlEEEEvT1_mT2_T3_
                                        ; -- End function
	.set _ZN7rocprim6detail16transform_kernelINS0_24wrapped_transform_configINS_14default_configElEElPlS5_NS_8identityIlEEEEvT1_mT2_T3_.num_vgpr, 3
	.set _ZN7rocprim6detail16transform_kernelINS0_24wrapped_transform_configINS_14default_configElEElPlS5_NS_8identityIlEEEEvT1_mT2_T3_.num_agpr, 0
	.set _ZN7rocprim6detail16transform_kernelINS0_24wrapped_transform_configINS_14default_configElEElPlS5_NS_8identityIlEEEEvT1_mT2_T3_.numbered_sgpr, 10
	.set _ZN7rocprim6detail16transform_kernelINS0_24wrapped_transform_configINS_14default_configElEElPlS5_NS_8identityIlEEEEvT1_mT2_T3_.num_named_barrier, 0
	.set _ZN7rocprim6detail16transform_kernelINS0_24wrapped_transform_configINS_14default_configElEElPlS5_NS_8identityIlEEEEvT1_mT2_T3_.private_seg_size, 0
	.set _ZN7rocprim6detail16transform_kernelINS0_24wrapped_transform_configINS_14default_configElEElPlS5_NS_8identityIlEEEEvT1_mT2_T3_.uses_vcc, 1
	.set _ZN7rocprim6detail16transform_kernelINS0_24wrapped_transform_configINS_14default_configElEElPlS5_NS_8identityIlEEEEvT1_mT2_T3_.uses_flat_scratch, 0
	.set _ZN7rocprim6detail16transform_kernelINS0_24wrapped_transform_configINS_14default_configElEElPlS5_NS_8identityIlEEEEvT1_mT2_T3_.has_dyn_sized_stack, 0
	.set _ZN7rocprim6detail16transform_kernelINS0_24wrapped_transform_configINS_14default_configElEElPlS5_NS_8identityIlEEEEvT1_mT2_T3_.has_recursion, 0
	.set _ZN7rocprim6detail16transform_kernelINS0_24wrapped_transform_configINS_14default_configElEElPlS5_NS_8identityIlEEEEvT1_mT2_T3_.has_indirect_call, 0
	.section	.AMDGPU.csdata,"",@progbits
; Kernel info:
; codeLenInByte = 120
; TotalNumSgprs: 14
; NumVgprs: 3
; ScratchSize: 0
; MemoryBound: 0
; FloatMode: 240
; IeeeMode: 1
; LDSByteSize: 0 bytes/workgroup (compile time only)
; SGPRBlocks: 1
; VGPRBlocks: 0
; NumSGPRsForWavesPerEU: 14
; NumVGPRsForWavesPerEU: 3
; Occupancy: 10
; WaveLimiterHint : 0
; COMPUTE_PGM_RSRC2:SCRATCH_EN: 0
; COMPUTE_PGM_RSRC2:USER_SGPR: 6
; COMPUTE_PGM_RSRC2:TRAP_HANDLER: 0
; COMPUTE_PGM_RSRC2:TGID_X_EN: 1
; COMPUTE_PGM_RSRC2:TGID_Y_EN: 0
; COMPUTE_PGM_RSRC2:TGID_Z_EN: 0
; COMPUTE_PGM_RSRC2:TIDIG_COMP_CNT: 0
	.section	.text._ZN7rocprim6detail18single_scan_kernelILb1ENS0_19wrapped_scan_configINS_14default_configElEEN6hipcub22TransformInputIteratorIiNS5_6CastOpIiEEPilEEPlNS5_3SumENS_12future_valueIlSB_EElEEvT1_mT4_T2_T3_,"axG",@progbits,_ZN7rocprim6detail18single_scan_kernelILb1ENS0_19wrapped_scan_configINS_14default_configElEEN6hipcub22TransformInputIteratorIiNS5_6CastOpIiEEPilEEPlNS5_3SumENS_12future_valueIlSB_EElEEvT1_mT4_T2_T3_,comdat
	.protected	_ZN7rocprim6detail18single_scan_kernelILb1ENS0_19wrapped_scan_configINS_14default_configElEEN6hipcub22TransformInputIteratorIiNS5_6CastOpIiEEPilEEPlNS5_3SumENS_12future_valueIlSB_EElEEvT1_mT4_T2_T3_ ; -- Begin function _ZN7rocprim6detail18single_scan_kernelILb1ENS0_19wrapped_scan_configINS_14default_configElEEN6hipcub22TransformInputIteratorIiNS5_6CastOpIiEEPilEEPlNS5_3SumENS_12future_valueIlSB_EElEEvT1_mT4_T2_T3_
	.globl	_ZN7rocprim6detail18single_scan_kernelILb1ENS0_19wrapped_scan_configINS_14default_configElEEN6hipcub22TransformInputIteratorIiNS5_6CastOpIiEEPilEEPlNS5_3SumENS_12future_valueIlSB_EElEEvT1_mT4_T2_T3_
	.p2align	8
	.type	_ZN7rocprim6detail18single_scan_kernelILb1ENS0_19wrapped_scan_configINS_14default_configElEEN6hipcub22TransformInputIteratorIiNS5_6CastOpIiEEPilEEPlNS5_3SumENS_12future_valueIlSB_EElEEvT1_mT4_T2_T3_,@function
_ZN7rocprim6detail18single_scan_kernelILb1ENS0_19wrapped_scan_configINS_14default_configElEEN6hipcub22TransformInputIteratorIiNS5_6CastOpIiEEPilEEPlNS5_3SumENS_12future_valueIlSB_EElEEvT1_mT4_T2_T3_: ; @_ZN7rocprim6detail18single_scan_kernelILb1ENS0_19wrapped_scan_configINS_14default_configElEEN6hipcub22TransformInputIteratorIiNS5_6CastOpIiEEPilEEPlNS5_3SumENS_12future_valueIlSB_EElEEvT1_mT4_T2_T3_
; %bb.0:
	s_load_dwordx2 s[0:1], s[4:5], 0x0
	s_load_dwordx4 s[28:31], s[4:5], 0x10
	v_lshlrev_b32_e32 v1, 2, v0
	s_waitcnt lgkmcnt(0)
	s_load_dword s34, s[0:1], 0x0
	v_mov_b32_e32 v2, s1
	v_add_co_u32_e32 v3, vcc, s0, v1
	v_addc_co_u32_e32 v4, vcc, 0, v2, vcc
	s_waitcnt lgkmcnt(0)
	s_ashr_i32 s35, s34, 31
	v_mov_b32_e32 v1, s34
	v_cmp_gt_u32_e32 vcc, s28, v0
	v_mov_b32_e32 v2, s35
	s_and_saveexec_b64 s[0:1], vcc
	s_cbranch_execz .LBB130_2
; %bb.1:
	global_load_dword v1, v[3:4], off
	s_waitcnt vmcnt(0)
	v_ashrrev_i32_e32 v2, 31, v1
.LBB130_2:
	s_or_b64 exec, exec, s[0:1]
	v_or_b32_e32 v5, 64, v0
	v_cmp_gt_u32_e64 s[0:1], s28, v5
	v_mov_b32_e32 v5, s34
	v_mov_b32_e32 v6, s35
	s_and_saveexec_b64 s[2:3], s[0:1]
	s_cbranch_execz .LBB130_4
; %bb.3:
	global_load_dword v5, v[3:4], off offset:256
	s_waitcnt vmcnt(0)
	v_ashrrev_i32_e32 v6, 31, v5
.LBB130_4:
	s_or_b64 exec, exec, s[2:3]
	v_or_b32_e32 v7, 0x80, v0
	v_cmp_gt_u32_e64 s[2:3], s28, v7
	v_mov_b32_e32 v7, s34
	v_mov_b32_e32 v8, s35
	s_and_saveexec_b64 s[6:7], s[2:3]
	s_cbranch_execz .LBB130_6
; %bb.5:
	global_load_dword v7, v[3:4], off offset:512
	s_waitcnt vmcnt(0)
	v_ashrrev_i32_e32 v8, 31, v7
.LBB130_6:
	;; [unrolled: 12-line block ×13, first 2 shown]
	s_or_b64 exec, exec, s[28:29]
	v_lshlrev_b32_e32 v31, 3, v0
	s_movk_i32 s28, 0x68
	s_load_dwordx2 s[30:31], s[30:31], 0x0
	ds_write2st64_b64 v31, v[1:2], v[5:6] offset1:1
	ds_write2st64_b64 v31, v[7:8], v[9:10] offset0:2 offset1:3
	ds_write2st64_b64 v31, v[11:12], v[13:14] offset0:4 offset1:5
	;; [unrolled: 1-line block ×6, first 2 shown]
	v_mad_u32_u24 v25, v0, s28, v31
	s_waitcnt lgkmcnt(0)
	; wave barrier
	ds_read_b128 v[13:16], v25
	ds_read_b128 v[9:12], v25 offset:16
	ds_read_b128 v[5:8], v25 offset:32
	;; [unrolled: 1-line block ×6, first 2 shown]
	s_waitcnt lgkmcnt(6)
	v_add_co_u32_e64 v29, s[28:29], v15, v13
	v_addc_co_u32_e64 v30, s[28:29], v16, v14, s[28:29]
	s_waitcnt lgkmcnt(5)
	v_add_co_u32_e64 v29, s[28:29], v29, v9
	v_addc_co_u32_e64 v30, s[28:29], v30, v10, s[28:29]
	v_add_co_u32_e64 v29, s[28:29], v29, v11
	v_addc_co_u32_e64 v30, s[28:29], v30, v12, s[28:29]
	s_waitcnt lgkmcnt(4)
	v_add_co_u32_e64 v29, s[28:29], v29, v5
	v_addc_co_u32_e64 v30, s[28:29], v30, v6, s[28:29]
	;; [unrolled: 5-line block ×6, first 2 shown]
	v_add_co_u32_e64 v27, s[28:29], v29, v27
	v_mbcnt_lo_u32_b32 v29, -1, 0
	v_mbcnt_hi_u32_b32 v29, -1, v29
	v_addc_co_u32_e64 v28, s[28:29], v30, v28, s[28:29]
	v_and_b32_e32 v32, 15, v29
	v_mov_b32_dpp v34, v27 row_shr:1 row_mask:0xf bank_mask:0xf
	v_mov_b32_dpp v33, v28 row_shr:1 row_mask:0xf bank_mask:0xf
	v_cmp_ne_u32_e64 s[28:29], 0, v32
	v_mov_b32_e32 v30, v27
	; wave barrier
	s_and_saveexec_b64 s[34:35], s[28:29]
; %bb.29:
	v_add_co_u32_e64 v30, s[28:29], v27, v34
	v_addc_co_u32_e64 v28, s[28:29], 0, v28, s[28:29]
	v_add_co_u32_e64 v27, s[28:29], 0, v30
	v_addc_co_u32_e64 v28, s[28:29], v33, v28, s[28:29]
; %bb.30:
	s_or_b64 exec, exec, s[34:35]
	v_mov_b32_dpp v34, v30 row_shr:2 row_mask:0xf bank_mask:0xf
	v_mov_b32_dpp v33, v28 row_shr:2 row_mask:0xf bank_mask:0xf
	v_cmp_lt_u32_e64 s[28:29], 1, v32
	s_and_saveexec_b64 s[34:35], s[28:29]
; %bb.31:
	v_add_co_u32_e64 v30, s[28:29], v27, v34
	v_addc_co_u32_e64 v28, s[28:29], 0, v28, s[28:29]
	v_add_co_u32_e64 v27, s[28:29], 0, v30
	v_addc_co_u32_e64 v28, s[28:29], v33, v28, s[28:29]
; %bb.32:
	s_or_b64 exec, exec, s[34:35]
	v_mov_b32_dpp v34, v30 row_shr:4 row_mask:0xf bank_mask:0xf
	v_mov_b32_dpp v33, v28 row_shr:4 row_mask:0xf bank_mask:0xf
	v_cmp_lt_u32_e64 s[28:29], 3, v32
	s_and_saveexec_b64 s[34:35], s[28:29]
; %bb.33:
	v_add_co_u32_e64 v30, s[28:29], v27, v34
	v_addc_co_u32_e64 v28, s[28:29], 0, v28, s[28:29]
	v_add_co_u32_e64 v27, s[28:29], 0, v30
	v_addc_co_u32_e64 v28, s[28:29], v33, v28, s[28:29]
; %bb.34:
	s_or_b64 exec, exec, s[34:35]
	s_load_dwordx2 s[34:35], s[4:5], 0x20
	v_mov_b32_dpp v34, v30 row_shr:8 row_mask:0xf bank_mask:0xf
	v_mov_b32_dpp v33, v28 row_shr:8 row_mask:0xf bank_mask:0xf
	v_cmp_lt_u32_e64 s[4:5], 7, v32
	s_and_saveexec_b64 s[28:29], s[4:5]
; %bb.35:
	v_add_co_u32_e64 v30, s[4:5], v27, v34
	v_addc_co_u32_e64 v28, s[4:5], 0, v28, s[4:5]
	v_add_co_u32_e64 v27, s[4:5], 0, v30
	v_addc_co_u32_e64 v28, s[4:5], v33, v28, s[4:5]
; %bb.36:
	s_or_b64 exec, exec, s[28:29]
	v_and_b32_e32 v34, 16, v29
	v_mov_b32_dpp v33, v30 row_bcast:15 row_mask:0xf bank_mask:0xf
	v_mov_b32_dpp v32, v28 row_bcast:15 row_mask:0xf bank_mask:0xf
	v_cmp_ne_u32_e64 s[4:5], 0, v34
	s_and_saveexec_b64 s[28:29], s[4:5]
; %bb.37:
	v_add_co_u32_e64 v30, s[4:5], v27, v33
	v_addc_co_u32_e64 v28, s[4:5], 0, v28, s[4:5]
	v_add_co_u32_e64 v27, s[4:5], 0, v30
	v_addc_co_u32_e64 v28, s[4:5], v32, v28, s[4:5]
; %bb.38:
	s_or_b64 exec, exec, s[28:29]
	v_mov_b32_dpp v33, v30 row_bcast:31 row_mask:0xf bank_mask:0xf
	v_add_co_u32_e64 v33, s[4:5], v27, v33
	v_addc_co_u32_e64 v35, s[4:5], 0, v28, s[4:5]
	v_mov_b32_dpp v34, v28 row_bcast:31 row_mask:0xf bank_mask:0xf
	v_add_co_u32_e64 v33, s[4:5], 0, v33
	v_addc_co_u32_e64 v34, s[4:5], v35, v34, s[4:5]
	v_cmp_lt_u32_e64 s[4:5], 31, v29
	v_mul_u32_u24_e32 v32, 0x68, v0
	v_mov_b32_e32 v30, 0
	v_cndmask_b32_e64 v28, v28, v34, s[4:5]
	v_cndmask_b32_e64 v27, v27, v33, s[4:5]
	v_cmp_eq_u32_e64 s[4:5], 63, v0
	s_and_saveexec_b64 s[28:29], s[4:5]
; %bb.39:
	ds_write_b64 v30, v[27:28]
; %bb.40:
	s_or_b64 exec, exec, s[28:29]
	v_mov_b32_e32 v30, s31
	v_add_co_u32_e64 v27, s[4:5], s30, v27
	v_addc_co_u32_e64 v28, s[4:5], v28, v30, s[4:5]
	v_subrev_co_u32_e64 v30, s[4:5], 1, v29
	v_and_b32_e32 v33, 64, v29
	v_cmp_lt_i32_e64 s[28:29], v30, v33
	v_cndmask_b32_e64 v29, v30, v29, s[28:29]
	v_lshlrev_b32_e32 v29, 2, v29
	ds_bpermute_b32 v28, v29, v28
	ds_bpermute_b32 v27, v29, v27
	v_cmp_eq_u32_e64 s[28:29], 0, v0
	v_mov_b32_e32 v0, s31
	s_or_b64 s[4:5], s[28:29], s[4:5]
	s_waitcnt lgkmcnt(0)
	v_cndmask_b32_e64 v28, v28, v0, s[4:5]
	v_mov_b32_e32 v0, s30
	v_cndmask_b32_e64 v27, v27, v0, s[4:5]
	v_add_co_u32_e64 v29, s[4:5], v27, v13
	v_addc_co_u32_e64 v30, s[4:5], v28, v14, s[4:5]
	v_add_co_u32_e64 v13, s[4:5], v29, v15
	v_addc_co_u32_e64 v14, s[4:5], v30, v16, s[4:5]
	;; [unrolled: 2-line block ×13, first 2 shown]
	v_add_u32_e32 v4, v31, v32
	; wave barrier
	; wave barrier
	ds_write_b128 v4, v[27:30]
	ds_write_b128 v4, v[13:16] offset:16
	ds_write_b128 v4, v[9:12] offset:32
	;; [unrolled: 1-line block ×6, first 2 shown]
	s_waitcnt lgkmcnt(0)
	; wave barrier
	ds_read2st64_b64 v[20:23], v31 offset0:1 offset1:2
	ds_read2st64_b64 v[16:19], v31 offset0:3 offset1:4
	;; [unrolled: 1-line block ×6, first 2 shown]
	ds_read_b64 v[24:25], v31 offset:6656
	v_mov_b32_e32 v27, s35
	v_add_co_u32_e64 v26, s[4:5], s34, v31
	v_addc_co_u32_e64 v27, s[4:5], 0, v27, s[4:5]
	s_and_saveexec_b64 s[4:5], vcc
	s_cbranch_execnz .LBB130_55
; %bb.41:
	s_or_b64 exec, exec, s[4:5]
	s_and_saveexec_b64 s[4:5], s[0:1]
	s_cbranch_execnz .LBB130_56
.LBB130_42:
	s_or_b64 exec, exec, s[4:5]
	s_and_saveexec_b64 s[0:1], s[2:3]
	s_cbranch_execnz .LBB130_57
.LBB130_43:
	s_or_b64 exec, exec, s[0:1]
	s_and_saveexec_b64 s[0:1], s[26:27]
	s_cbranch_execnz .LBB130_58
.LBB130_44:
	s_or_b64 exec, exec, s[0:1]
	s_and_saveexec_b64 s[0:1], s[6:7]
	s_cbranch_execnz .LBB130_59
.LBB130_45:
	s_or_b64 exec, exec, s[0:1]
	s_and_saveexec_b64 s[0:1], s[8:9]
	s_cbranch_execnz .LBB130_60
.LBB130_46:
	s_or_b64 exec, exec, s[0:1]
	s_and_saveexec_b64 s[0:1], s[10:11]
	s_cbranch_execnz .LBB130_61
.LBB130_47:
	s_or_b64 exec, exec, s[0:1]
	s_and_saveexec_b64 s[0:1], s[12:13]
	s_cbranch_execnz .LBB130_62
.LBB130_48:
	s_or_b64 exec, exec, s[0:1]
	s_and_saveexec_b64 s[0:1], s[14:15]
	s_cbranch_execnz .LBB130_63
.LBB130_49:
	s_or_b64 exec, exec, s[0:1]
	s_and_saveexec_b64 s[0:1], s[16:17]
	s_cbranch_execnz .LBB130_64
.LBB130_50:
	s_or_b64 exec, exec, s[0:1]
	s_and_saveexec_b64 s[0:1], s[18:19]
	s_cbranch_execnz .LBB130_65
.LBB130_51:
	s_or_b64 exec, exec, s[0:1]
	s_and_saveexec_b64 s[0:1], s[20:21]
	s_cbranch_execnz .LBB130_66
.LBB130_52:
	s_or_b64 exec, exec, s[0:1]
	s_and_saveexec_b64 s[0:1], s[22:23]
	s_cbranch_execnz .LBB130_67
.LBB130_53:
	s_or_b64 exec, exec, s[0:1]
	s_and_saveexec_b64 s[0:1], s[24:25]
	s_cbranch_execnz .LBB130_68
.LBB130_54:
	s_endpgm
.LBB130_55:
	ds_read_b64 v[28:29], v31
	s_waitcnt lgkmcnt(0)
	global_store_dwordx2 v[26:27], v[28:29], off
	s_or_b64 exec, exec, s[4:5]
	s_and_saveexec_b64 s[4:5], s[0:1]
	s_cbranch_execz .LBB130_42
.LBB130_56:
	s_waitcnt lgkmcnt(6)
	global_store_dwordx2 v[26:27], v[20:21], off offset:512
	s_or_b64 exec, exec, s[4:5]
	s_and_saveexec_b64 s[0:1], s[2:3]
	s_cbranch_execz .LBB130_43
.LBB130_57:
	s_waitcnt lgkmcnt(6)
	global_store_dwordx2 v[26:27], v[22:23], off offset:1024
	s_or_b64 exec, exec, s[0:1]
	s_and_saveexec_b64 s[0:1], s[26:27]
	s_cbranch_execz .LBB130_44
.LBB130_58:
	s_waitcnt lgkmcnt(5)
	global_store_dwordx2 v[26:27], v[16:17], off offset:1536
	s_or_b64 exec, exec, s[0:1]
	s_and_saveexec_b64 s[0:1], s[6:7]
	s_cbranch_execz .LBB130_45
.LBB130_59:
	s_waitcnt lgkmcnt(5)
	global_store_dwordx2 v[26:27], v[18:19], off offset:2048
	s_or_b64 exec, exec, s[0:1]
	s_and_saveexec_b64 s[0:1], s[8:9]
	s_cbranch_execz .LBB130_46
.LBB130_60:
	s_waitcnt lgkmcnt(4)
	global_store_dwordx2 v[26:27], v[12:13], off offset:2560
	s_or_b64 exec, exec, s[0:1]
	s_and_saveexec_b64 s[0:1], s[10:11]
	s_cbranch_execz .LBB130_47
.LBB130_61:
	s_waitcnt lgkmcnt(4)
	global_store_dwordx2 v[26:27], v[14:15], off offset:3072
	s_or_b64 exec, exec, s[0:1]
	s_and_saveexec_b64 s[0:1], s[12:13]
	s_cbranch_execz .LBB130_48
.LBB130_62:
	s_waitcnt lgkmcnt(3)
	global_store_dwordx2 v[26:27], v[8:9], off offset:3584
	s_or_b64 exec, exec, s[0:1]
	s_and_saveexec_b64 s[0:1], s[14:15]
	s_cbranch_execz .LBB130_49
.LBB130_63:
	s_waitcnt lgkmcnt(3)
	v_add_co_u32_e32 v8, vcc, 0x1000, v26
	v_addc_co_u32_e32 v9, vcc, 0, v27, vcc
	global_store_dwordx2 v[8:9], v[10:11], off
	s_or_b64 exec, exec, s[0:1]
	s_and_saveexec_b64 s[0:1], s[16:17]
	s_cbranch_execz .LBB130_50
.LBB130_64:
	s_waitcnt lgkmcnt(3)
	v_add_co_u32_e32 v8, vcc, 0x1000, v26
	v_addc_co_u32_e32 v9, vcc, 0, v27, vcc
	s_waitcnt lgkmcnt(2)
	global_store_dwordx2 v[8:9], v[4:5], off offset:512
	s_or_b64 exec, exec, s[0:1]
	s_and_saveexec_b64 s[0:1], s[18:19]
	s_cbranch_execz .LBB130_51
.LBB130_65:
	s_waitcnt lgkmcnt(2)
	v_add_co_u32_e32 v4, vcc, 0x1000, v26
	v_addc_co_u32_e32 v5, vcc, 0, v27, vcc
	global_store_dwordx2 v[4:5], v[6:7], off offset:1024
	s_or_b64 exec, exec, s[0:1]
	s_and_saveexec_b64 s[0:1], s[20:21]
	s_cbranch_execz .LBB130_52
.LBB130_66:
	s_waitcnt lgkmcnt(2)
	v_add_co_u32_e32 v4, vcc, 0x1000, v26
	v_addc_co_u32_e32 v5, vcc, 0, v27, vcc
	s_waitcnt lgkmcnt(1)
	global_store_dwordx2 v[4:5], v[0:1], off offset:1536
	s_or_b64 exec, exec, s[0:1]
	s_and_saveexec_b64 s[0:1], s[22:23]
	s_cbranch_execz .LBB130_53
.LBB130_67:
	s_waitcnt lgkmcnt(1)
	v_add_co_u32_e32 v0, vcc, 0x1000, v26
	v_addc_co_u32_e32 v1, vcc, 0, v27, vcc
	global_store_dwordx2 v[0:1], v[2:3], off offset:2048
	s_or_b64 exec, exec, s[0:1]
	s_and_saveexec_b64 s[0:1], s[24:25]
	s_cbranch_execz .LBB130_54
.LBB130_68:
	s_waitcnt lgkmcnt(1)
	v_add_co_u32_e32 v0, vcc, 0x1000, v26
	v_addc_co_u32_e32 v1, vcc, 0, v27, vcc
	s_waitcnt lgkmcnt(0)
	global_store_dwordx2 v[0:1], v[24:25], off offset:2560
	s_endpgm
	.section	.rodata,"a",@progbits
	.p2align	6, 0x0
	.amdhsa_kernel _ZN7rocprim6detail18single_scan_kernelILb1ENS0_19wrapped_scan_configINS_14default_configElEEN6hipcub22TransformInputIteratorIiNS5_6CastOpIiEEPilEEPlNS5_3SumENS_12future_valueIlSB_EElEEvT1_mT4_T2_T3_
		.amdhsa_group_segment_fixed_size 7168
		.amdhsa_private_segment_fixed_size 0
		.amdhsa_kernarg_size 44
		.amdhsa_user_sgpr_count 6
		.amdhsa_user_sgpr_private_segment_buffer 1
		.amdhsa_user_sgpr_dispatch_ptr 0
		.amdhsa_user_sgpr_queue_ptr 0
		.amdhsa_user_sgpr_kernarg_segment_ptr 1
		.amdhsa_user_sgpr_dispatch_id 0
		.amdhsa_user_sgpr_flat_scratch_init 0
		.amdhsa_user_sgpr_private_segment_size 0
		.amdhsa_uses_dynamic_stack 0
		.amdhsa_system_sgpr_private_segment_wavefront_offset 0
		.amdhsa_system_sgpr_workgroup_id_x 1
		.amdhsa_system_sgpr_workgroup_id_y 0
		.amdhsa_system_sgpr_workgroup_id_z 0
		.amdhsa_system_sgpr_workgroup_info 0
		.amdhsa_system_vgpr_workitem_id 0
		.amdhsa_next_free_vgpr 65
		.amdhsa_next_free_sgpr 98
		.amdhsa_reserve_vcc 1
		.amdhsa_reserve_flat_scratch 0
		.amdhsa_float_round_mode_32 0
		.amdhsa_float_round_mode_16_64 0
		.amdhsa_float_denorm_mode_32 3
		.amdhsa_float_denorm_mode_16_64 3
		.amdhsa_dx10_clamp 1
		.amdhsa_ieee_mode 1
		.amdhsa_fp16_overflow 0
		.amdhsa_exception_fp_ieee_invalid_op 0
		.amdhsa_exception_fp_denorm_src 0
		.amdhsa_exception_fp_ieee_div_zero 0
		.amdhsa_exception_fp_ieee_overflow 0
		.amdhsa_exception_fp_ieee_underflow 0
		.amdhsa_exception_fp_ieee_inexact 0
		.amdhsa_exception_int_div_zero 0
	.end_amdhsa_kernel
	.section	.text._ZN7rocprim6detail18single_scan_kernelILb1ENS0_19wrapped_scan_configINS_14default_configElEEN6hipcub22TransformInputIteratorIiNS5_6CastOpIiEEPilEEPlNS5_3SumENS_12future_valueIlSB_EElEEvT1_mT4_T2_T3_,"axG",@progbits,_ZN7rocprim6detail18single_scan_kernelILb1ENS0_19wrapped_scan_configINS_14default_configElEEN6hipcub22TransformInputIteratorIiNS5_6CastOpIiEEPilEEPlNS5_3SumENS_12future_valueIlSB_EElEEvT1_mT4_T2_T3_,comdat
.Lfunc_end130:
	.size	_ZN7rocprim6detail18single_scan_kernelILb1ENS0_19wrapped_scan_configINS_14default_configElEEN6hipcub22TransformInputIteratorIiNS5_6CastOpIiEEPilEEPlNS5_3SumENS_12future_valueIlSB_EElEEvT1_mT4_T2_T3_, .Lfunc_end130-_ZN7rocprim6detail18single_scan_kernelILb1ENS0_19wrapped_scan_configINS_14default_configElEEN6hipcub22TransformInputIteratorIiNS5_6CastOpIiEEPilEEPlNS5_3SumENS_12future_valueIlSB_EElEEvT1_mT4_T2_T3_
                                        ; -- End function
	.set _ZN7rocprim6detail18single_scan_kernelILb1ENS0_19wrapped_scan_configINS_14default_configElEEN6hipcub22TransformInputIteratorIiNS5_6CastOpIiEEPilEEPlNS5_3SumENS_12future_valueIlSB_EElEEvT1_mT4_T2_T3_.num_vgpr, 36
	.set _ZN7rocprim6detail18single_scan_kernelILb1ENS0_19wrapped_scan_configINS_14default_configElEEN6hipcub22TransformInputIteratorIiNS5_6CastOpIiEEPilEEPlNS5_3SumENS_12future_valueIlSB_EElEEvT1_mT4_T2_T3_.num_agpr, 0
	.set _ZN7rocprim6detail18single_scan_kernelILb1ENS0_19wrapped_scan_configINS_14default_configElEEN6hipcub22TransformInputIteratorIiNS5_6CastOpIiEEPilEEPlNS5_3SumENS_12future_valueIlSB_EElEEvT1_mT4_T2_T3_.numbered_sgpr, 36
	.set _ZN7rocprim6detail18single_scan_kernelILb1ENS0_19wrapped_scan_configINS_14default_configElEEN6hipcub22TransformInputIteratorIiNS5_6CastOpIiEEPilEEPlNS5_3SumENS_12future_valueIlSB_EElEEvT1_mT4_T2_T3_.num_named_barrier, 0
	.set _ZN7rocprim6detail18single_scan_kernelILb1ENS0_19wrapped_scan_configINS_14default_configElEEN6hipcub22TransformInputIteratorIiNS5_6CastOpIiEEPilEEPlNS5_3SumENS_12future_valueIlSB_EElEEvT1_mT4_T2_T3_.private_seg_size, 0
	.set _ZN7rocprim6detail18single_scan_kernelILb1ENS0_19wrapped_scan_configINS_14default_configElEEN6hipcub22TransformInputIteratorIiNS5_6CastOpIiEEPilEEPlNS5_3SumENS_12future_valueIlSB_EElEEvT1_mT4_T2_T3_.uses_vcc, 1
	.set _ZN7rocprim6detail18single_scan_kernelILb1ENS0_19wrapped_scan_configINS_14default_configElEEN6hipcub22TransformInputIteratorIiNS5_6CastOpIiEEPilEEPlNS5_3SumENS_12future_valueIlSB_EElEEvT1_mT4_T2_T3_.uses_flat_scratch, 0
	.set _ZN7rocprim6detail18single_scan_kernelILb1ENS0_19wrapped_scan_configINS_14default_configElEEN6hipcub22TransformInputIteratorIiNS5_6CastOpIiEEPilEEPlNS5_3SumENS_12future_valueIlSB_EElEEvT1_mT4_T2_T3_.has_dyn_sized_stack, 0
	.set _ZN7rocprim6detail18single_scan_kernelILb1ENS0_19wrapped_scan_configINS_14default_configElEEN6hipcub22TransformInputIteratorIiNS5_6CastOpIiEEPilEEPlNS5_3SumENS_12future_valueIlSB_EElEEvT1_mT4_T2_T3_.has_recursion, 0
	.set _ZN7rocprim6detail18single_scan_kernelILb1ENS0_19wrapped_scan_configINS_14default_configElEEN6hipcub22TransformInputIteratorIiNS5_6CastOpIiEEPilEEPlNS5_3SumENS_12future_valueIlSB_EElEEvT1_mT4_T2_T3_.has_indirect_call, 0
	.section	.AMDGPU.csdata,"",@progbits
; Kernel info:
; codeLenInByte = 2648
; TotalNumSgprs: 40
; NumVgprs: 36
; ScratchSize: 0
; MemoryBound: 0
; FloatMode: 240
; IeeeMode: 1
; LDSByteSize: 7168 bytes/workgroup (compile time only)
; SGPRBlocks: 12
; VGPRBlocks: 16
; NumSGPRsForWavesPerEU: 102
; NumVGPRsForWavesPerEU: 65
; Occupancy: 3
; WaveLimiterHint : 0
; COMPUTE_PGM_RSRC2:SCRATCH_EN: 0
; COMPUTE_PGM_RSRC2:USER_SGPR: 6
; COMPUTE_PGM_RSRC2:TRAP_HANDLER: 0
; COMPUTE_PGM_RSRC2:TGID_X_EN: 1
; COMPUTE_PGM_RSRC2:TGID_Y_EN: 0
; COMPUTE_PGM_RSRC2:TGID_Z_EN: 0
; COMPUTE_PGM_RSRC2:TIDIG_COMP_CNT: 0
	.section	.text._ZL18fill_initial_valueIlEvPT_S0_,"axG",@progbits,_ZL18fill_initial_valueIlEvPT_S0_,comdat
	.globl	_ZL18fill_initial_valueIlEvPT_S0_ ; -- Begin function _ZL18fill_initial_valueIlEvPT_S0_
	.p2align	8
	.type	_ZL18fill_initial_valueIlEvPT_S0_,@function
_ZL18fill_initial_valueIlEvPT_S0_:      ; @_ZL18fill_initial_valueIlEvPT_S0_
; %bb.0:
	s_load_dwordx4 s[0:3], s[4:5], 0x0
	v_mov_b32_e32 v2, 0
	s_waitcnt lgkmcnt(0)
	v_mov_b32_e32 v0, s2
	v_mov_b32_e32 v1, s3
	global_store_dwordx2 v2, v[0:1], s[0:1]
	s_endpgm
	.section	.rodata,"a",@progbits
	.p2align	6, 0x0
	.amdhsa_kernel _ZL18fill_initial_valueIlEvPT_S0_
		.amdhsa_group_segment_fixed_size 0
		.amdhsa_private_segment_fixed_size 0
		.amdhsa_kernarg_size 16
		.amdhsa_user_sgpr_count 6
		.amdhsa_user_sgpr_private_segment_buffer 1
		.amdhsa_user_sgpr_dispatch_ptr 0
		.amdhsa_user_sgpr_queue_ptr 0
		.amdhsa_user_sgpr_kernarg_segment_ptr 1
		.amdhsa_user_sgpr_dispatch_id 0
		.amdhsa_user_sgpr_flat_scratch_init 0
		.amdhsa_user_sgpr_private_segment_size 0
		.amdhsa_uses_dynamic_stack 0
		.amdhsa_system_sgpr_private_segment_wavefront_offset 0
		.amdhsa_system_sgpr_workgroup_id_x 1
		.amdhsa_system_sgpr_workgroup_id_y 0
		.amdhsa_system_sgpr_workgroup_id_z 0
		.amdhsa_system_sgpr_workgroup_info 0
		.amdhsa_system_vgpr_workitem_id 0
		.amdhsa_next_free_vgpr 3
		.amdhsa_next_free_sgpr 6
		.amdhsa_reserve_vcc 0
		.amdhsa_reserve_flat_scratch 0
		.amdhsa_float_round_mode_32 0
		.amdhsa_float_round_mode_16_64 0
		.amdhsa_float_denorm_mode_32 3
		.amdhsa_float_denorm_mode_16_64 3
		.amdhsa_dx10_clamp 1
		.amdhsa_ieee_mode 1
		.amdhsa_fp16_overflow 0
		.amdhsa_exception_fp_ieee_invalid_op 0
		.amdhsa_exception_fp_denorm_src 0
		.amdhsa_exception_fp_ieee_div_zero 0
		.amdhsa_exception_fp_ieee_overflow 0
		.amdhsa_exception_fp_ieee_underflow 0
		.amdhsa_exception_fp_ieee_inexact 0
		.amdhsa_exception_int_div_zero 0
	.end_amdhsa_kernel
	.section	.text._ZL18fill_initial_valueIlEvPT_S0_,"axG",@progbits,_ZL18fill_initial_valueIlEvPT_S0_,comdat
.Lfunc_end131:
	.size	_ZL18fill_initial_valueIlEvPT_S0_, .Lfunc_end131-_ZL18fill_initial_valueIlEvPT_S0_
                                        ; -- End function
	.set _ZL18fill_initial_valueIlEvPT_S0_.num_vgpr, 3
	.set _ZL18fill_initial_valueIlEvPT_S0_.num_agpr, 0
	.set _ZL18fill_initial_valueIlEvPT_S0_.numbered_sgpr, 6
	.set _ZL18fill_initial_valueIlEvPT_S0_.num_named_barrier, 0
	.set _ZL18fill_initial_valueIlEvPT_S0_.private_seg_size, 0
	.set _ZL18fill_initial_valueIlEvPT_S0_.uses_vcc, 0
	.set _ZL18fill_initial_valueIlEvPT_S0_.uses_flat_scratch, 0
	.set _ZL18fill_initial_valueIlEvPT_S0_.has_dyn_sized_stack, 0
	.set _ZL18fill_initial_valueIlEvPT_S0_.has_recursion, 0
	.set _ZL18fill_initial_valueIlEvPT_S0_.has_indirect_call, 0
	.section	.AMDGPU.csdata,"",@progbits
; Kernel info:
; codeLenInByte = 36
; TotalNumSgprs: 10
; NumVgprs: 3
; ScratchSize: 0
; MemoryBound: 0
; FloatMode: 240
; IeeeMode: 1
; LDSByteSize: 0 bytes/workgroup (compile time only)
; SGPRBlocks: 1
; VGPRBlocks: 0
; NumSGPRsForWavesPerEU: 10
; NumVGPRsForWavesPerEU: 3
; Occupancy: 10
; WaveLimiterHint : 0
; COMPUTE_PGM_RSRC2:SCRATCH_EN: 0
; COMPUTE_PGM_RSRC2:USER_SGPR: 6
; COMPUTE_PGM_RSRC2:TRAP_HANDLER: 0
; COMPUTE_PGM_RSRC2:TGID_X_EN: 1
; COMPUTE_PGM_RSRC2:TGID_Y_EN: 0
; COMPUTE_PGM_RSRC2:TGID_Z_EN: 0
; COMPUTE_PGM_RSRC2:TIDIG_COMP_CNT: 0
	.section	.text._ZN7rocprim6detail20lookback_scan_kernelILNS0_25lookback_scan_determinismE0ELb1ENS0_19wrapped_scan_configINS_14default_configE6__halfEEN6hipcub22TransformInputIteratorIS5_NS7_6CastOpIS5_EEPS5_lEESB_NS7_3MaxENS_12future_valueIS5_SB_EES5_NS0_19lookback_scan_stateIS5_Lb1ELb1EEEEEvT2_T3_mT5_T4_T7_jPT6_SO_bb,"axG",@progbits,_ZN7rocprim6detail20lookback_scan_kernelILNS0_25lookback_scan_determinismE0ELb1ENS0_19wrapped_scan_configINS_14default_configE6__halfEEN6hipcub22TransformInputIteratorIS5_NS7_6CastOpIS5_EEPS5_lEESB_NS7_3MaxENS_12future_valueIS5_SB_EES5_NS0_19lookback_scan_stateIS5_Lb1ELb1EEEEEvT2_T3_mT5_T4_T7_jPT6_SO_bb,comdat
	.protected	_ZN7rocprim6detail20lookback_scan_kernelILNS0_25lookback_scan_determinismE0ELb1ENS0_19wrapped_scan_configINS_14default_configE6__halfEEN6hipcub22TransformInputIteratorIS5_NS7_6CastOpIS5_EEPS5_lEESB_NS7_3MaxENS_12future_valueIS5_SB_EES5_NS0_19lookback_scan_stateIS5_Lb1ELb1EEEEEvT2_T3_mT5_T4_T7_jPT6_SO_bb ; -- Begin function _ZN7rocprim6detail20lookback_scan_kernelILNS0_25lookback_scan_determinismE0ELb1ENS0_19wrapped_scan_configINS_14default_configE6__halfEEN6hipcub22TransformInputIteratorIS5_NS7_6CastOpIS5_EEPS5_lEESB_NS7_3MaxENS_12future_valueIS5_SB_EES5_NS0_19lookback_scan_stateIS5_Lb1ELb1EEEEEvT2_T3_mT5_T4_T7_jPT6_SO_bb
	.globl	_ZN7rocprim6detail20lookback_scan_kernelILNS0_25lookback_scan_determinismE0ELb1ENS0_19wrapped_scan_configINS_14default_configE6__halfEEN6hipcub22TransformInputIteratorIS5_NS7_6CastOpIS5_EEPS5_lEESB_NS7_3MaxENS_12future_valueIS5_SB_EES5_NS0_19lookback_scan_stateIS5_Lb1ELb1EEEEEvT2_T3_mT5_T4_T7_jPT6_SO_bb
	.p2align	8
	.type	_ZN7rocprim6detail20lookback_scan_kernelILNS0_25lookback_scan_determinismE0ELb1ENS0_19wrapped_scan_configINS_14default_configE6__halfEEN6hipcub22TransformInputIteratorIS5_NS7_6CastOpIS5_EEPS5_lEESB_NS7_3MaxENS_12future_valueIS5_SB_EES5_NS0_19lookback_scan_stateIS5_Lb1ELb1EEEEEvT2_T3_mT5_T4_T7_jPT6_SO_bb,@function
_ZN7rocprim6detail20lookback_scan_kernelILNS0_25lookback_scan_determinismE0ELb1ENS0_19wrapped_scan_configINS_14default_configE6__halfEEN6hipcub22TransformInputIteratorIS5_NS7_6CastOpIS5_EEPS5_lEESB_NS7_3MaxENS_12future_valueIS5_SB_EES5_NS0_19lookback_scan_stateIS5_Lb1ELb1EEEEEvT2_T3_mT5_T4_T7_jPT6_SO_bb: ; @_ZN7rocprim6detail20lookback_scan_kernelILNS0_25lookback_scan_determinismE0ELb1ENS0_19wrapped_scan_configINS_14default_configE6__halfEEN6hipcub22TransformInputIteratorIS5_NS7_6CastOpIS5_EEPS5_lEESB_NS7_3MaxENS_12future_valueIS5_SB_EES5_NS0_19lookback_scan_stateIS5_Lb1ELb1EEEEEvT2_T3_mT5_T4_T7_jPT6_SO_bb
; %bb.0:
	s_endpgm
	.section	.rodata,"a",@progbits
	.p2align	6, 0x0
	.amdhsa_kernel _ZN7rocprim6detail20lookback_scan_kernelILNS0_25lookback_scan_determinismE0ELb1ENS0_19wrapped_scan_configINS_14default_configE6__halfEEN6hipcub22TransformInputIteratorIS5_NS7_6CastOpIS5_EEPS5_lEESB_NS7_3MaxENS_12future_valueIS5_SB_EES5_NS0_19lookback_scan_stateIS5_Lb1ELb1EEEEEvT2_T3_mT5_T4_T7_jPT6_SO_bb
		.amdhsa_group_segment_fixed_size 0
		.amdhsa_private_segment_fixed_size 0
		.amdhsa_kernarg_size 84
		.amdhsa_user_sgpr_count 6
		.amdhsa_user_sgpr_private_segment_buffer 1
		.amdhsa_user_sgpr_dispatch_ptr 0
		.amdhsa_user_sgpr_queue_ptr 0
		.amdhsa_user_sgpr_kernarg_segment_ptr 1
		.amdhsa_user_sgpr_dispatch_id 0
		.amdhsa_user_sgpr_flat_scratch_init 0
		.amdhsa_user_sgpr_private_segment_size 0
		.amdhsa_uses_dynamic_stack 0
		.amdhsa_system_sgpr_private_segment_wavefront_offset 0
		.amdhsa_system_sgpr_workgroup_id_x 1
		.amdhsa_system_sgpr_workgroup_id_y 0
		.amdhsa_system_sgpr_workgroup_id_z 0
		.amdhsa_system_sgpr_workgroup_info 0
		.amdhsa_system_vgpr_workitem_id 0
		.amdhsa_next_free_vgpr 1
		.amdhsa_next_free_sgpr 0
		.amdhsa_reserve_vcc 0
		.amdhsa_reserve_flat_scratch 0
		.amdhsa_float_round_mode_32 0
		.amdhsa_float_round_mode_16_64 0
		.amdhsa_float_denorm_mode_32 3
		.amdhsa_float_denorm_mode_16_64 3
		.amdhsa_dx10_clamp 1
		.amdhsa_ieee_mode 1
		.amdhsa_fp16_overflow 0
		.amdhsa_exception_fp_ieee_invalid_op 0
		.amdhsa_exception_fp_denorm_src 0
		.amdhsa_exception_fp_ieee_div_zero 0
		.amdhsa_exception_fp_ieee_overflow 0
		.amdhsa_exception_fp_ieee_underflow 0
		.amdhsa_exception_fp_ieee_inexact 0
		.amdhsa_exception_int_div_zero 0
	.end_amdhsa_kernel
	.section	.text._ZN7rocprim6detail20lookback_scan_kernelILNS0_25lookback_scan_determinismE0ELb1ENS0_19wrapped_scan_configINS_14default_configE6__halfEEN6hipcub22TransformInputIteratorIS5_NS7_6CastOpIS5_EEPS5_lEESB_NS7_3MaxENS_12future_valueIS5_SB_EES5_NS0_19lookback_scan_stateIS5_Lb1ELb1EEEEEvT2_T3_mT5_T4_T7_jPT6_SO_bb,"axG",@progbits,_ZN7rocprim6detail20lookback_scan_kernelILNS0_25lookback_scan_determinismE0ELb1ENS0_19wrapped_scan_configINS_14default_configE6__halfEEN6hipcub22TransformInputIteratorIS5_NS7_6CastOpIS5_EEPS5_lEESB_NS7_3MaxENS_12future_valueIS5_SB_EES5_NS0_19lookback_scan_stateIS5_Lb1ELb1EEEEEvT2_T3_mT5_T4_T7_jPT6_SO_bb,comdat
.Lfunc_end132:
	.size	_ZN7rocprim6detail20lookback_scan_kernelILNS0_25lookback_scan_determinismE0ELb1ENS0_19wrapped_scan_configINS_14default_configE6__halfEEN6hipcub22TransformInputIteratorIS5_NS7_6CastOpIS5_EEPS5_lEESB_NS7_3MaxENS_12future_valueIS5_SB_EES5_NS0_19lookback_scan_stateIS5_Lb1ELb1EEEEEvT2_T3_mT5_T4_T7_jPT6_SO_bb, .Lfunc_end132-_ZN7rocprim6detail20lookback_scan_kernelILNS0_25lookback_scan_determinismE0ELb1ENS0_19wrapped_scan_configINS_14default_configE6__halfEEN6hipcub22TransformInputIteratorIS5_NS7_6CastOpIS5_EEPS5_lEESB_NS7_3MaxENS_12future_valueIS5_SB_EES5_NS0_19lookback_scan_stateIS5_Lb1ELb1EEEEEvT2_T3_mT5_T4_T7_jPT6_SO_bb
                                        ; -- End function
	.set _ZN7rocprim6detail20lookback_scan_kernelILNS0_25lookback_scan_determinismE0ELb1ENS0_19wrapped_scan_configINS_14default_configE6__halfEEN6hipcub22TransformInputIteratorIS5_NS7_6CastOpIS5_EEPS5_lEESB_NS7_3MaxENS_12future_valueIS5_SB_EES5_NS0_19lookback_scan_stateIS5_Lb1ELb1EEEEEvT2_T3_mT5_T4_T7_jPT6_SO_bb.num_vgpr, 0
	.set _ZN7rocprim6detail20lookback_scan_kernelILNS0_25lookback_scan_determinismE0ELb1ENS0_19wrapped_scan_configINS_14default_configE6__halfEEN6hipcub22TransformInputIteratorIS5_NS7_6CastOpIS5_EEPS5_lEESB_NS7_3MaxENS_12future_valueIS5_SB_EES5_NS0_19lookback_scan_stateIS5_Lb1ELb1EEEEEvT2_T3_mT5_T4_T7_jPT6_SO_bb.num_agpr, 0
	.set _ZN7rocprim6detail20lookback_scan_kernelILNS0_25lookback_scan_determinismE0ELb1ENS0_19wrapped_scan_configINS_14default_configE6__halfEEN6hipcub22TransformInputIteratorIS5_NS7_6CastOpIS5_EEPS5_lEESB_NS7_3MaxENS_12future_valueIS5_SB_EES5_NS0_19lookback_scan_stateIS5_Lb1ELb1EEEEEvT2_T3_mT5_T4_T7_jPT6_SO_bb.numbered_sgpr, 0
	.set _ZN7rocprim6detail20lookback_scan_kernelILNS0_25lookback_scan_determinismE0ELb1ENS0_19wrapped_scan_configINS_14default_configE6__halfEEN6hipcub22TransformInputIteratorIS5_NS7_6CastOpIS5_EEPS5_lEESB_NS7_3MaxENS_12future_valueIS5_SB_EES5_NS0_19lookback_scan_stateIS5_Lb1ELb1EEEEEvT2_T3_mT5_T4_T7_jPT6_SO_bb.num_named_barrier, 0
	.set _ZN7rocprim6detail20lookback_scan_kernelILNS0_25lookback_scan_determinismE0ELb1ENS0_19wrapped_scan_configINS_14default_configE6__halfEEN6hipcub22TransformInputIteratorIS5_NS7_6CastOpIS5_EEPS5_lEESB_NS7_3MaxENS_12future_valueIS5_SB_EES5_NS0_19lookback_scan_stateIS5_Lb1ELb1EEEEEvT2_T3_mT5_T4_T7_jPT6_SO_bb.private_seg_size, 0
	.set _ZN7rocprim6detail20lookback_scan_kernelILNS0_25lookback_scan_determinismE0ELb1ENS0_19wrapped_scan_configINS_14default_configE6__halfEEN6hipcub22TransformInputIteratorIS5_NS7_6CastOpIS5_EEPS5_lEESB_NS7_3MaxENS_12future_valueIS5_SB_EES5_NS0_19lookback_scan_stateIS5_Lb1ELb1EEEEEvT2_T3_mT5_T4_T7_jPT6_SO_bb.uses_vcc, 0
	.set _ZN7rocprim6detail20lookback_scan_kernelILNS0_25lookback_scan_determinismE0ELb1ENS0_19wrapped_scan_configINS_14default_configE6__halfEEN6hipcub22TransformInputIteratorIS5_NS7_6CastOpIS5_EEPS5_lEESB_NS7_3MaxENS_12future_valueIS5_SB_EES5_NS0_19lookback_scan_stateIS5_Lb1ELb1EEEEEvT2_T3_mT5_T4_T7_jPT6_SO_bb.uses_flat_scratch, 0
	.set _ZN7rocprim6detail20lookback_scan_kernelILNS0_25lookback_scan_determinismE0ELb1ENS0_19wrapped_scan_configINS_14default_configE6__halfEEN6hipcub22TransformInputIteratorIS5_NS7_6CastOpIS5_EEPS5_lEESB_NS7_3MaxENS_12future_valueIS5_SB_EES5_NS0_19lookback_scan_stateIS5_Lb1ELb1EEEEEvT2_T3_mT5_T4_T7_jPT6_SO_bb.has_dyn_sized_stack, 0
	.set _ZN7rocprim6detail20lookback_scan_kernelILNS0_25lookback_scan_determinismE0ELb1ENS0_19wrapped_scan_configINS_14default_configE6__halfEEN6hipcub22TransformInputIteratorIS5_NS7_6CastOpIS5_EEPS5_lEESB_NS7_3MaxENS_12future_valueIS5_SB_EES5_NS0_19lookback_scan_stateIS5_Lb1ELb1EEEEEvT2_T3_mT5_T4_T7_jPT6_SO_bb.has_recursion, 0
	.set _ZN7rocprim6detail20lookback_scan_kernelILNS0_25lookback_scan_determinismE0ELb1ENS0_19wrapped_scan_configINS_14default_configE6__halfEEN6hipcub22TransformInputIteratorIS5_NS7_6CastOpIS5_EEPS5_lEESB_NS7_3MaxENS_12future_valueIS5_SB_EES5_NS0_19lookback_scan_stateIS5_Lb1ELb1EEEEEvT2_T3_mT5_T4_T7_jPT6_SO_bb.has_indirect_call, 0
	.section	.AMDGPU.csdata,"",@progbits
; Kernel info:
; codeLenInByte = 4
; TotalNumSgprs: 4
; NumVgprs: 0
; ScratchSize: 0
; MemoryBound: 0
; FloatMode: 240
; IeeeMode: 1
; LDSByteSize: 0 bytes/workgroup (compile time only)
; SGPRBlocks: 0
; VGPRBlocks: 0
; NumSGPRsForWavesPerEU: 4
; NumVGPRsForWavesPerEU: 1
; Occupancy: 10
; WaveLimiterHint : 0
; COMPUTE_PGM_RSRC2:SCRATCH_EN: 0
; COMPUTE_PGM_RSRC2:USER_SGPR: 6
; COMPUTE_PGM_RSRC2:TRAP_HANDLER: 0
; COMPUTE_PGM_RSRC2:TGID_X_EN: 1
; COMPUTE_PGM_RSRC2:TGID_Y_EN: 0
; COMPUTE_PGM_RSRC2:TGID_Z_EN: 0
; COMPUTE_PGM_RSRC2:TIDIG_COMP_CNT: 0
	.section	.text._ZN7rocprim6detail20lookback_scan_kernelILNS0_25lookback_scan_determinismE0ELb1ENS0_19wrapped_scan_configINS_14default_configE6__halfEEN6hipcub22TransformInputIteratorIS5_NS7_6CastOpIS5_EEPS5_lEESB_NS7_3MaxENS_12future_valueIS5_SB_EES5_NS0_19lookback_scan_stateIS5_Lb0ELb1EEEEEvT2_T3_mT5_T4_T7_jPT6_SO_bb,"axG",@progbits,_ZN7rocprim6detail20lookback_scan_kernelILNS0_25lookback_scan_determinismE0ELb1ENS0_19wrapped_scan_configINS_14default_configE6__halfEEN6hipcub22TransformInputIteratorIS5_NS7_6CastOpIS5_EEPS5_lEESB_NS7_3MaxENS_12future_valueIS5_SB_EES5_NS0_19lookback_scan_stateIS5_Lb0ELb1EEEEEvT2_T3_mT5_T4_T7_jPT6_SO_bb,comdat
	.protected	_ZN7rocprim6detail20lookback_scan_kernelILNS0_25lookback_scan_determinismE0ELb1ENS0_19wrapped_scan_configINS_14default_configE6__halfEEN6hipcub22TransformInputIteratorIS5_NS7_6CastOpIS5_EEPS5_lEESB_NS7_3MaxENS_12future_valueIS5_SB_EES5_NS0_19lookback_scan_stateIS5_Lb0ELb1EEEEEvT2_T3_mT5_T4_T7_jPT6_SO_bb ; -- Begin function _ZN7rocprim6detail20lookback_scan_kernelILNS0_25lookback_scan_determinismE0ELb1ENS0_19wrapped_scan_configINS_14default_configE6__halfEEN6hipcub22TransformInputIteratorIS5_NS7_6CastOpIS5_EEPS5_lEESB_NS7_3MaxENS_12future_valueIS5_SB_EES5_NS0_19lookback_scan_stateIS5_Lb0ELb1EEEEEvT2_T3_mT5_T4_T7_jPT6_SO_bb
	.globl	_ZN7rocprim6detail20lookback_scan_kernelILNS0_25lookback_scan_determinismE0ELb1ENS0_19wrapped_scan_configINS_14default_configE6__halfEEN6hipcub22TransformInputIteratorIS5_NS7_6CastOpIS5_EEPS5_lEESB_NS7_3MaxENS_12future_valueIS5_SB_EES5_NS0_19lookback_scan_stateIS5_Lb0ELb1EEEEEvT2_T3_mT5_T4_T7_jPT6_SO_bb
	.p2align	8
	.type	_ZN7rocprim6detail20lookback_scan_kernelILNS0_25lookback_scan_determinismE0ELb1ENS0_19wrapped_scan_configINS_14default_configE6__halfEEN6hipcub22TransformInputIteratorIS5_NS7_6CastOpIS5_EEPS5_lEESB_NS7_3MaxENS_12future_valueIS5_SB_EES5_NS0_19lookback_scan_stateIS5_Lb0ELb1EEEEEvT2_T3_mT5_T4_T7_jPT6_SO_bb,@function
_ZN7rocprim6detail20lookback_scan_kernelILNS0_25lookback_scan_determinismE0ELb1ENS0_19wrapped_scan_configINS_14default_configE6__halfEEN6hipcub22TransformInputIteratorIS5_NS7_6CastOpIS5_EEPS5_lEESB_NS7_3MaxENS_12future_valueIS5_SB_EES5_NS0_19lookback_scan_stateIS5_Lb0ELb1EEEEEvT2_T3_mT5_T4_T7_jPT6_SO_bb: ; @_ZN7rocprim6detail20lookback_scan_kernelILNS0_25lookback_scan_determinismE0ELb1ENS0_19wrapped_scan_configINS_14default_configE6__halfEEN6hipcub22TransformInputIteratorIS5_NS7_6CastOpIS5_EEPS5_lEESB_NS7_3MaxENS_12future_valueIS5_SB_EES5_NS0_19lookback_scan_stateIS5_Lb0ELb1EEEEEvT2_T3_mT5_T4_T7_jPT6_SO_bb
; %bb.0:
	s_load_dwordx2 s[0:1], s[4:5], 0x20
	s_load_dword s2, s[4:5], 0x38
	v_mov_b32_e32 v1, 0
	v_lshlrev_b32_e32 v19, 1, v0
	s_waitcnt lgkmcnt(0)
	global_load_ushort v20, v1, s[0:1]
	s_load_dwordx2 s[14:15], s[4:5], 0x0
	s_load_dwordx4 s[8:11], s[4:5], 0x10
	s_add_i32 s2, s2, -1
	s_mul_i32 s3, s2, 0x1800
	s_mul_i32 s0, s6, 0x1800
	s_mov_b32 s1, 0
	s_waitcnt lgkmcnt(0)
	s_sub_u32 s22, s10, s3
	s_subb_u32 s23, s11, 0
	s_cmp_lg_u32 s6, s2
	s_cselect_b64 s[10:11], -1, 0
	s_lshl_b64 s[12:13], s[0:1], 1
	s_add_u32 s2, s14, s12
	s_addc_u32 s3, s15, s13
	s_mov_b64 s[0:1], -1
	s_and_b64 vcc, exec, s[10:11]
	s_cbranch_vccz .LBB133_2
; %bb.1:
	v_mov_b32_e32 v1, s3
	v_add_co_u32_e32 v3, vcc, s2, v19
	v_addc_co_u32_e32 v4, vcc, 0, v1, vcc
	v_add_co_u32_e32 v1, vcc, 0x1000, v3
	v_addc_co_u32_e32 v2, vcc, 0, v4, vcc
	global_load_ushort v5, v19, s[2:3]
	global_load_ushort v6, v19, s[2:3] offset:512
	global_load_ushort v7, v19, s[2:3] offset:1024
	;; [unrolled: 1-line block ×7, first 2 shown]
	global_load_ushort v13, v[1:2], off
	global_load_ushort v14, v[1:2], off offset:512
	global_load_ushort v15, v[1:2], off offset:1024
	;; [unrolled: 1-line block ×7, first 2 shown]
	v_add_co_u32_e32 v1, vcc, 0x2000, v3
	v_addc_co_u32_e32 v2, vcc, 0, v4, vcc
	global_load_ushort v3, v[1:2], off
	global_load_ushort v4, v[1:2], off offset:512
	global_load_ushort v23, v[1:2], off offset:1024
	;; [unrolled: 1-line block ×7, first 2 shown]
	s_mov_b64 s[0:1], 0
	s_waitcnt vmcnt(23)
	ds_write_b16 v19, v5
	s_waitcnt vmcnt(22)
	ds_write_b16 v19, v6 offset:512
	s_waitcnt vmcnt(21)
	ds_write_b16 v19, v7 offset:1024
	;; [unrolled: 2-line block ×23, first 2 shown]
	s_waitcnt lgkmcnt(0)
	s_barrier
.LBB133_2:
	s_andn2_b64 vcc, exec, s[0:1]
	v_cmp_gt_u32_e64 s[0:1], s22, v0
	s_cbranch_vccnz .LBB133_52
; %bb.3:
	v_mov_b32_e32 v1, 0
	global_load_ushort v3, v1, s[2:3]
	v_mov_b32_e32 v2, s3
	v_add_co_u32_e32 v1, vcc, s2, v19
	v_addc_co_u32_e32 v2, vcc, 0, v2, vcc
	s_waitcnt vmcnt(0)
	v_mov_b32_e32 v4, v3
	s_and_saveexec_b64 s[2:3], s[0:1]
	s_cbranch_execz .LBB133_5
; %bb.4:
	global_load_ushort v4, v[1:2], off
.LBB133_5:
	s_or_b64 exec, exec, s[2:3]
	v_or_b32_e32 v5, 0x100, v0
	v_cmp_gt_u32_e32 vcc, s22, v5
	v_mov_b32_e32 v5, v3
	s_and_saveexec_b64 s[0:1], vcc
	s_cbranch_execz .LBB133_7
; %bb.6:
	global_load_ushort v5, v[1:2], off offset:512
.LBB133_7:
	s_or_b64 exec, exec, s[0:1]
	v_or_b32_e32 v6, 0x200, v0
	v_cmp_gt_u32_e32 vcc, s22, v6
	v_mov_b32_e32 v6, v3
	s_and_saveexec_b64 s[0:1], vcc
	s_cbranch_execz .LBB133_9
; %bb.8:
	global_load_ushort v6, v[1:2], off offset:1024
.LBB133_9:
	;; [unrolled: 9-line block ×7, first 2 shown]
	s_or_b64 exec, exec, s[0:1]
	v_or_b32_e32 v12, 0x800, v0
	v_cmp_gt_u32_e32 vcc, s22, v12
	v_mov_b32_e32 v12, v3
	s_and_saveexec_b64 s[0:1], vcc
	s_cbranch_execz .LBB133_21
; %bb.20:
	v_add_co_u32_e32 v12, vcc, 0x1000, v1
	v_addc_co_u32_e32 v13, vcc, 0, v2, vcc
	global_load_ushort v12, v[12:13], off
.LBB133_21:
	s_or_b64 exec, exec, s[0:1]
	v_or_b32_e32 v13, 0x900, v0
	v_cmp_gt_u32_e32 vcc, s22, v13
	v_mov_b32_e32 v13, v3
	s_and_saveexec_b64 s[0:1], vcc
	s_cbranch_execz .LBB133_23
; %bb.22:
	v_add_co_u32_e32 v13, vcc, 0x1000, v1
	v_addc_co_u32_e32 v14, vcc, 0, v2, vcc
	global_load_ushort v13, v[13:14], off offset:512
.LBB133_23:
	s_or_b64 exec, exec, s[0:1]
	v_or_b32_e32 v14, 0xa00, v0
	v_cmp_gt_u32_e32 vcc, s22, v14
	v_mov_b32_e32 v14, v3
	s_and_saveexec_b64 s[0:1], vcc
	s_cbranch_execz .LBB133_25
; %bb.24:
	v_add_co_u32_e32 v14, vcc, 0x1000, v1
	v_addc_co_u32_e32 v15, vcc, 0, v2, vcc
	global_load_ushort v14, v[14:15], off offset:1024
.LBB133_25:
	;; [unrolled: 11-line block ×7, first 2 shown]
	s_or_b64 exec, exec, s[0:1]
	v_or_b32_e32 v22, 0x1000, v0
	v_cmp_gt_u32_e32 vcc, s22, v22
	v_mov_b32_e32 v22, v3
	s_and_saveexec_b64 s[0:1], vcc
	s_cbranch_execz .LBB133_37
; %bb.36:
	v_add_co_u32_e32 v22, vcc, 0x2000, v1
	v_addc_co_u32_e32 v23, vcc, 0, v2, vcc
	global_load_ushort v22, v[22:23], off
.LBB133_37:
	s_or_b64 exec, exec, s[0:1]
	v_or_b32_e32 v23, 0x1100, v0
	v_cmp_gt_u32_e32 vcc, s22, v23
	v_mov_b32_e32 v23, v3
	s_and_saveexec_b64 s[0:1], vcc
	s_cbranch_execz .LBB133_39
; %bb.38:
	v_add_co_u32_e32 v23, vcc, 0x2000, v1
	v_addc_co_u32_e32 v24, vcc, 0, v2, vcc
	global_load_ushort v23, v[23:24], off offset:512
.LBB133_39:
	s_or_b64 exec, exec, s[0:1]
	v_or_b32_e32 v24, 0x1200, v0
	v_cmp_gt_u32_e32 vcc, s22, v24
	v_mov_b32_e32 v24, v3
	s_and_saveexec_b64 s[0:1], vcc
	s_cbranch_execz .LBB133_41
; %bb.40:
	v_add_co_u32_e32 v24, vcc, 0x2000, v1
	v_addc_co_u32_e32 v25, vcc, 0, v2, vcc
	global_load_ushort v24, v[24:25], off offset:1024
.LBB133_41:
	;; [unrolled: 11-line block ×6, first 2 shown]
	s_or_b64 exec, exec, s[0:1]
	v_or_b32_e32 v29, 0x1700, v0
	v_cmp_gt_u32_e32 vcc, s22, v29
	s_and_saveexec_b64 s[0:1], vcc
	s_cbranch_execz .LBB133_51
; %bb.50:
	v_add_co_u32_e32 v1, vcc, 0x2000, v1
	v_addc_co_u32_e32 v2, vcc, 0, v2, vcc
	global_load_ushort v3, v[1:2], off offset:3584
.LBB133_51:
	s_or_b64 exec, exec, s[0:1]
	s_waitcnt vmcnt(0)
	ds_write_b16 v19, v4
	ds_write_b16 v19, v5 offset:512
	ds_write_b16 v19, v6 offset:1024
	;; [unrolled: 1-line block ×23, first 2 shown]
	s_waitcnt lgkmcnt(0)
	s_barrier
.LBB133_52:
	v_mul_u32_u24_e32 v21, 48, v0
	ds_read_b128 v[9:12], v21
	ds_read_b128 v[5:8], v21 offset:16
	ds_read_b128 v[1:4], v21 offset:32
	s_load_dwordx2 s[16:17], s[4:5], 0x30
	s_cmp_lg_u32 s6, 0
	v_mbcnt_lo_u32_b32 v36, -1, 0
	s_waitcnt lgkmcnt(0)
	v_lshrrev_b32_e32 v32, 16, v9
	v_lshrrev_b32_e32 v31, 16, v10
	;; [unrolled: 1-line block ×12, first 2 shown]
	v_cmp_lt_f16_e32 vcc, v9, v32
	v_lshrrev_b32_e32 v33, 6, v0
	v_or_b32_e32 v34, 63, v0
	s_waitcnt vmcnt(0)
	s_barrier
	s_cbranch_scc0 .LBB133_74
; %bb.53:
	v_cndmask_b32_e32 v13, v9, v32, vcc
	v_cmp_lt_f16_e32 vcc, v13, v10
	v_cndmask_b32_e32 v13, v13, v10, vcc
	v_cmp_lt_f16_e32 vcc, v13, v31
	;; [unrolled: 2-line block ×22, first 2 shown]
	v_cndmask_b32_e32 v13, v13, v35, vcc
	v_mbcnt_hi_u32_b32 v18, -1, v36
	v_and_b32_e32 v15, 0xffff, v13
	v_and_b32_e32 v14, 15, v18
	v_cmp_eq_u32_e32 vcc, 0, v14
	v_mov_b32_dpp v15, v15 row_shr:1 row_mask:0xf bank_mask:0xf
	v_cmp_gt_f16_e64 s[0:1], v13, v15
	s_or_b64 vcc, vcc, s[0:1]
	v_cndmask_b32_e32 v13, v15, v13, vcc
	v_and_b32_e32 v15, 0xffff, v13
	s_nop 1
	v_mov_b32_dpp v15, v15 row_shr:2 row_mask:0xf bank_mask:0xf
	v_cmp_gt_f16_e32 vcc, v13, v15
	v_cndmask_b32_e32 v15, v15, v13, vcc
	v_cmp_lt_u32_e32 vcc, 1, v14
	v_cndmask_b32_e32 v13, v13, v15, vcc
	v_and_b32_e32 v15, 0xffff, v13
	s_nop 1
	v_mov_b32_dpp v15, v15 row_shr:4 row_mask:0xf bank_mask:0xf
	v_cmp_gt_f16_e32 vcc, v13, v15
	v_cndmask_b32_e32 v15, v15, v13, vcc
	v_cmp_lt_u32_e32 vcc, 3, v14
	;; [unrolled: 7-line block ×3, first 2 shown]
	v_cndmask_b32_e32 v13, v13, v15, vcc
	v_and_b32_e32 v14, 0xffff, v13
	v_and_b32_e32 v15, 16, v18
	v_cmp_eq_u32_e32 vcc, 0, v15
	v_mov_b32_dpp v14, v14 row_bcast:15 row_mask:0xf bank_mask:0xf
	v_cmp_gt_f16_e64 s[0:1], v13, v14
	s_or_b64 vcc, vcc, s[0:1]
	v_cndmask_b32_e32 v13, v14, v13, vcc
	v_and_b32_e32 v14, 0xffff, v13
	s_nop 1
	v_mov_b32_dpp v14, v14 row_bcast:31 row_mask:0xf bank_mask:0xf
	v_cmp_gt_f16_e32 vcc, v13, v14
	v_cndmask_b32_e32 v14, v14, v13, vcc
	v_cmp_lt_u32_e32 vcc, 31, v18
	v_cndmask_b32_e32 v13, v13, v14, vcc
	v_cmp_eq_u32_e32 vcc, v0, v34
	s_and_saveexec_b64 s[0:1], vcc
; %bb.54:
	v_lshlrev_b32_e32 v14, 1, v33
	ds_write_b16 v14, v13
; %bb.55:
	s_or_b64 exec, exec, s[0:1]
	v_cmp_gt_u32_e32 vcc, 4, v0
	s_waitcnt lgkmcnt(0)
	s_barrier
	s_and_saveexec_b64 s[2:3], vcc
	s_cbranch_execz .LBB133_57
; %bb.56:
	ds_read_u16 v14, v19
	v_and_b32_e32 v15, 3, v18
	v_cmp_eq_u32_e32 vcc, 0, v15
	s_waitcnt lgkmcnt(0)
	v_and_b32_e32 v16, 0xffff, v14
	s_nop 1
	v_mov_b32_dpp v16, v16 row_shr:1 row_mask:0xf bank_mask:0xf
	v_cmp_lt_f16_e64 s[0:1], v16, v14
	s_or_b64 vcc, vcc, s[0:1]
	v_cndmask_b32_e32 v14, v16, v14, vcc
	v_and_b32_e32 v16, 0xffff, v14
	s_nop 1
	v_mov_b32_dpp v16, v16 row_shr:2 row_mask:0xf bank_mask:0xf
	v_cmp_gt_f16_e32 vcc, v14, v16
	v_cndmask_b32_e32 v16, v16, v14, vcc
	v_cmp_lt_u32_e32 vcc, 1, v15
	v_cndmask_b32_e32 v14, v14, v16, vcc
	ds_write_b16 v19, v14
.LBB133_57:
	s_or_b64 exec, exec, s[2:3]
	v_cmp_gt_u32_e32 vcc, 64, v0
	v_cmp_lt_u32_e64 s[0:1], 63, v0
	s_waitcnt lgkmcnt(0)
	s_barrier
                                        ; implicit-def: $vgpr37
	s_and_saveexec_b64 s[2:3], s[0:1]
	s_cbranch_execz .LBB133_59
; %bb.58:
	v_lshl_add_u32 v14, v33, 1, -2
	ds_read_u16 v37, v14
	s_waitcnt lgkmcnt(0)
	v_cmp_lt_f16_e64 s[0:1], v37, v13
	v_cndmask_b32_e64 v13, v37, v13, s[0:1]
.LBB133_59:
	s_or_b64 exec, exec, s[2:3]
	v_subrev_co_u32_e64 v14, s[0:1], 1, v18
	v_and_b32_e32 v15, 64, v18
	v_cmp_lt_i32_e64 s[2:3], v14, v15
	v_cndmask_b32_e64 v14, v14, v18, s[2:3]
	v_lshlrev_b32_e32 v14, 2, v14
	v_and_b32_e32 v13, 0xffff, v13
	ds_bpermute_b32 v38, v14, v13
	s_and_saveexec_b64 s[18:19], vcc
	s_cbranch_execz .LBB133_79
; %bb.60:
	v_mov_b32_e32 v15, 0
	ds_read_u16 v39, v15 offset:6
	s_and_saveexec_b64 s[2:3], s[0:1]
	s_cbranch_execz .LBB133_62
; %bb.61:
	s_add_i32 s20, s6, 64
	s_mov_b32 s21, 0
	s_lshl_b64 s[20:21], s[20:21], 2
	s_mov_b32 s7, 0x10000
	s_add_u32 s20, s16, s20
	s_waitcnt lgkmcnt(0)
	v_or_b32_sdwa v13, v39, s7 dst_sel:DWORD dst_unused:UNUSED_PAD src0_sel:WORD_0 src1_sel:DWORD
	s_addc_u32 s21, s17, s21
	global_store_dword v15, v13, s[20:21]
.LBB133_62:
	s_or_b64 exec, exec, s[2:3]
	v_xad_u32 v13, v18, -1, s6
	v_add_u32_e32 v14, 64, v13
	v_lshlrev_b64 v[16:17], 2, v[14:15]
	v_mov_b32_e32 v14, s17
	v_add_co_u32_e32 v16, vcc, s16, v16
	v_addc_co_u32_e32 v17, vcc, v14, v17, vcc
	global_load_dword v14, v[16:17], off glc
	s_waitcnt vmcnt(0)
	v_lshrrev_b32_e32 v40, 16, v14
	v_cmp_eq_u16_sdwa s[20:21], v40, v15 src0_sel:BYTE_0 src1_sel:DWORD
	s_and_saveexec_b64 s[2:3], s[20:21]
	s_cbranch_execz .LBB133_66
; %bb.63:
	s_mov_b64 s[20:21], 0
	v_mov_b32_e32 v15, 0
.LBB133_64:                             ; =>This Inner Loop Header: Depth=1
	global_load_dword v14, v[16:17], off glc
	s_waitcnt vmcnt(0)
	v_lshrrev_b32_e32 v40, 16, v14
	v_cmp_ne_u16_sdwa s[24:25], v40, v15 src0_sel:BYTE_0 src1_sel:DWORD
	s_or_b64 s[20:21], s[24:25], s[20:21]
	s_andn2_b64 exec, exec, s[20:21]
	s_cbranch_execnz .LBB133_64
; %bb.65:
	s_or_b64 exec, exec, s[20:21]
.LBB133_66:
	s_or_b64 exec, exec, s[2:3]
	v_and_b32_e32 v49, 63, v18
	v_cmp_ne_u32_e32 vcc, 63, v49
	v_addc_co_u32_e32 v42, vcc, 0, v18, vcc
	v_lshlrev_b32_e32 v42, 2, v42
	v_and_b32_e32 v44, 0xffff, v14
	v_mov_b32_e32 v41, 2
	v_lshlrev_b64 v[15:16], v18, -1
	ds_bpermute_b32 v45, v42, v44
	v_cmp_eq_u16_sdwa s[2:3], v40, v41 src0_sel:BYTE_0 src1_sel:DWORD
	v_and_b32_e32 v17, s3, v16
	v_or_b32_e32 v17, 0x80000000, v17
	v_and_b32_e32 v43, s2, v15
	v_ffbl_b32_e32 v17, v17
	v_add_u32_e32 v17, 32, v17
	v_ffbl_b32_e32 v43, v43
	s_waitcnt lgkmcnt(0)
	v_cmp_gt_f16_e32 vcc, v14, v45
	v_min_u32_e32 v17, v43, v17
	v_add_u32_e32 v43, 1, v18
	v_cndmask_b32_e32 v45, v45, v14, vcc
	v_and_b32_e32 v46, 0xffff, v45
	v_cmp_gt_u32_e32 vcc, v43, v17
	v_cmp_gt_u32_e64 s[2:3], 62, v49
	v_cndmask_b32_e32 v46, v46, v44, vcc
	v_cndmask_b32_e64 v44, 0, 2, s[2:3]
	v_add_lshl_u32 v44, v44, v18, 2
	ds_bpermute_b32 v47, v44, v46
	v_cndmask_b32_e32 v14, v45, v14, vcc
	v_add_u32_e32 v45, 2, v18
	v_cmp_gt_u32_e64 s[2:3], 60, v49
	s_waitcnt lgkmcnt(0)
	v_cmp_gt_f16_e32 vcc, v14, v47
	v_cndmask_b32_e32 v47, v47, v14, vcc
	v_and_b32_e32 v48, 0xffff, v47
	v_cmp_gt_u32_e32 vcc, v45, v17
	v_cndmask_b32_e32 v48, v48, v46, vcc
	v_cndmask_b32_e64 v46, 0, 4, s[2:3]
	v_add_lshl_u32 v46, v46, v18, 2
	ds_bpermute_b32 v50, v46, v48
	v_cndmask_b32_e32 v14, v47, v14, vcc
	v_add_u32_e32 v47, 4, v18
	v_cmp_gt_u32_e64 s[2:3], 56, v49
	s_waitcnt lgkmcnt(0)
	v_cmp_gt_f16_e32 vcc, v14, v50
	v_cndmask_b32_e32 v50, v50, v14, vcc
	v_and_b32_e32 v51, 0xffff, v50
	v_cmp_gt_u32_e32 vcc, v47, v17
	v_cndmask_b32_e32 v51, v51, v48, vcc
	v_cndmask_b32_e64 v48, 0, 8, s[2:3]
	v_add_lshl_u32 v48, v48, v18, 2
	ds_bpermute_b32 v52, v48, v51
	v_cndmask_b32_e32 v14, v50, v14, vcc
	v_add_u32_e32 v50, 8, v18
	v_cmp_gt_u32_e64 s[2:3], 48, v49
	v_cndmask_b32_e64 v49, 0, 16, s[2:3]
	s_waitcnt lgkmcnt(0)
	v_cmp_gt_f16_e32 vcc, v14, v52
	v_cndmask_b32_e32 v52, v52, v14, vcc
	v_and_b32_e32 v53, 0xffff, v52
	v_cmp_gt_u32_e32 vcc, v50, v17
	v_cndmask_b32_e32 v53, v53, v51, vcc
	v_add_lshl_u32 v51, v49, v18, 2
	ds_bpermute_b32 v49, v51, v53
	v_cndmask_b32_e32 v14, v52, v14, vcc
	v_add_u32_e32 v52, 16, v18
	s_waitcnt lgkmcnt(0)
	v_cmp_gt_f16_e32 vcc, v14, v49
	v_cndmask_b32_e32 v49, v49, v14, vcc
	v_and_b32_e32 v54, 0xffff, v49
	v_cmp_gt_u32_e32 vcc, v52, v17
	v_cndmask_b32_e32 v54, v54, v53, vcc
	v_mov_b32_e32 v53, 0x80
	v_lshl_or_b32 v53, v18, 2, v53
	ds_bpermute_b32 v55, v53, v54
	v_add_u32_e32 v54, 32, v18
	v_cndmask_b32_e32 v14, v49, v14, vcc
	v_cmp_gt_u32_e64 s[2:3], v54, v17
	s_waitcnt lgkmcnt(0)
	v_cmp_gt_f16_e32 vcc, v14, v55
	s_or_b64 vcc, s[2:3], vcc
	v_cndmask_b32_e32 v17, v55, v14, vcc
	v_mov_b32_e32 v14, 0
	s_branch .LBB133_70
.LBB133_67:                             ;   in Loop: Header=BB133_70 Depth=1
	s_or_b64 exec, exec, s[20:21]
.LBB133_68:                             ;   in Loop: Header=BB133_70 Depth=1
	s_or_b64 exec, exec, s[2:3]
	v_and_b32_e32 v56, 0xffff, v55
	ds_bpermute_b32 v57, v42, v56
	v_cmp_eq_u16_sdwa s[2:3], v40, v41 src0_sel:BYTE_0 src1_sel:DWORD
	v_and_b32_e32 v17, s3, v16
	v_or_b32_e32 v17, 0x80000000, v17
	v_and_b32_e32 v18, s2, v15
	v_ffbl_b32_e32 v17, v17
	v_add_u32_e32 v17, 32, v17
	v_ffbl_b32_e32 v18, v18
	s_waitcnt lgkmcnt(0)
	v_cmp_gt_f16_e32 vcc, v55, v57
	v_min_u32_e32 v17, v18, v17
	v_cndmask_b32_e32 v18, v57, v55, vcc
	v_and_b32_e32 v57, 0xffff, v18
	v_cmp_gt_u32_e32 vcc, v43, v17
	v_cndmask_b32_e32 v56, v57, v56, vcc
	ds_bpermute_b32 v57, v44, v56
	v_cndmask_b32_e32 v18, v18, v55, vcc
	v_cmp_gt_u32_e64 s[2:3], v54, v17
	v_subrev_u32_e32 v13, 64, v13
	s_waitcnt lgkmcnt(0)
	v_cmp_gt_f16_e32 vcc, v18, v57
	v_cndmask_b32_e32 v55, v57, v18, vcc
	v_and_b32_e32 v57, 0xffff, v55
	v_cmp_gt_u32_e32 vcc, v45, v17
	v_cndmask_b32_e32 v56, v57, v56, vcc
	ds_bpermute_b32 v57, v46, v56
	v_cndmask_b32_e32 v18, v55, v18, vcc
	s_waitcnt lgkmcnt(0)
	v_cmp_gt_f16_e32 vcc, v18, v57
	v_cndmask_b32_e32 v55, v57, v18, vcc
	v_and_b32_e32 v57, 0xffff, v55
	v_cmp_gt_u32_e32 vcc, v47, v17
	v_cndmask_b32_e32 v56, v57, v56, vcc
	ds_bpermute_b32 v57, v48, v56
	v_cndmask_b32_e32 v18, v55, v18, vcc
	;; [unrolled: 8-line block ×4, first 2 shown]
	s_waitcnt lgkmcnt(0)
	v_cmp_gt_f16_e32 vcc, v17, v56
	s_or_b64 vcc, s[2:3], vcc
	v_cndmask_b32_e32 v17, v56, v17, vcc
	v_cmp_lt_f16_e32 vcc, v17, v49
	v_cndmask_b32_e32 v17, v17, v49, vcc
	s_mov_b64 s[2:3], 0
.LBB133_69:                             ;   in Loop: Header=BB133_70 Depth=1
	s_and_b64 vcc, exec, s[2:3]
	s_cbranch_vccnz .LBB133_75
.LBB133_70:                             ; =>This Loop Header: Depth=1
                                        ;     Child Loop BB133_73 Depth 2
	v_cmp_ne_u16_sdwa s[2:3], v40, v41 src0_sel:BYTE_0 src1_sel:DWORD
	v_mov_b32_e32 v49, v17
	s_cmp_lg_u64 s[2:3], exec
	s_mov_b64 s[2:3], -1
                                        ; implicit-def: $vgpr17
                                        ; implicit-def: $vgpr40
	s_cbranch_scc1 .LBB133_69
; %bb.71:                               ;   in Loop: Header=BB133_70 Depth=1
	v_lshlrev_b64 v[17:18], 2, v[13:14]
	v_mov_b32_e32 v40, s17
	v_add_co_u32_e32 v17, vcc, s16, v17
	v_addc_co_u32_e32 v18, vcc, v40, v18, vcc
	global_load_dword v55, v[17:18], off glc
	s_waitcnt vmcnt(0)
	v_lshrrev_b32_e32 v40, 16, v55
	v_cmp_eq_u16_sdwa s[20:21], v40, v14 src0_sel:BYTE_0 src1_sel:DWORD
	s_and_saveexec_b64 s[2:3], s[20:21]
	s_cbranch_execz .LBB133_68
; %bb.72:                               ;   in Loop: Header=BB133_70 Depth=1
	s_mov_b64 s[20:21], 0
.LBB133_73:                             ;   Parent Loop BB133_70 Depth=1
                                        ; =>  This Inner Loop Header: Depth=2
	global_load_dword v55, v[17:18], off glc
	s_waitcnt vmcnt(0)
	v_lshrrev_b32_e32 v40, 16, v55
	v_cmp_ne_u16_sdwa s[24:25], v40, v14 src0_sel:BYTE_0 src1_sel:DWORD
	s_or_b64 s[20:21], s[24:25], s[20:21]
	s_andn2_b64 exec, exec, s[20:21]
	s_cbranch_execnz .LBB133_73
	s_branch .LBB133_67
.LBB133_74:
                                        ; implicit-def: $vgpr14
                                        ; implicit-def: $vgpr13
                                        ; implicit-def: $vgpr15
                                        ; implicit-def: $vgpr16
                                        ; implicit-def: $vgpr17
                                        ; implicit-def: $vgpr18
                                        ; implicit-def: $vgpr38
                                        ; implicit-def: $vgpr40
                                        ; implicit-def: $vgpr37
                                        ; implicit-def: $vgpr39
                                        ; implicit-def: $vgpr41
                                        ; implicit-def: $vgpr42
                                        ; implicit-def: $vgpr43
                                        ; implicit-def: $vgpr44
                                        ; implicit-def: $vgpr46
                                        ; implicit-def: $vgpr48
                                        ; implicit-def: $vgpr45
                                        ; implicit-def: $vgpr47
                                        ; implicit-def: $vgpr49
                                        ; implicit-def: $vgpr50
                                        ; implicit-def: $vgpr51
                                        ; implicit-def: $vgpr52
                                        ; implicit-def: $vgpr53
                                        ; implicit-def: $vgpr54
	s_load_dwordx4 s[0:3], s[4:5], 0x40
	s_cbranch_execnz .LBB133_80
	s_branch .LBB133_91
.LBB133_75:
	s_and_saveexec_b64 s[2:3], s[0:1]
	s_cbranch_execz .LBB133_77
; %bb.76:
	v_cmp_lt_f16_e32 vcc, v49, v39
	v_cndmask_b32_e32 v13, v49, v39, vcc
	s_mov_b32 s7, 0x20000
	v_or_b32_sdwa v13, v13, s7 dst_sel:DWORD dst_unused:UNUSED_PAD src0_sel:WORD_0 src1_sel:DWORD
	s_add_i32 s6, s6, 64
	s_mov_b32 s7, 0
	s_lshl_b64 s[6:7], s[6:7], 2
	s_add_u32 s6, s16, s6
	s_addc_u32 s7, s17, s7
	v_mov_b32_e32 v14, 0
	global_store_dword v14, v13, s[6:7]
.LBB133_77:
	s_or_b64 exec, exec, s[2:3]
	v_cmp_eq_u32_e32 vcc, 0, v0
	s_and_b64 exec, exec, vcc
; %bb.78:
	v_mov_b32_e32 v13, 0
	ds_write_b16 v13, v49 offset:6
.LBB133_79:
	s_or_b64 exec, exec, s[18:19]
	v_mov_b32_e32 v13, 0
	s_waitcnt vmcnt(0) lgkmcnt(0)
	s_barrier
	ds_read_u16 v13, v13 offset:6
	v_cndmask_b32_e64 v14, v38, v37, s[0:1]
	s_waitcnt lgkmcnt(0)
	v_cmp_lt_f16_e32 vcc, v13, v14
	v_cndmask_b32_e32 v14, v13, v14, vcc
	v_cmp_eq_u32_e32 vcc, 0, v0
	v_cndmask_b32_e32 v14, v14, v13, vcc
	v_cmp_lt_f16_e32 vcc, v14, v9
	v_cndmask_b32_e32 v13, v14, v9, vcc
	v_cmp_lt_f16_e32 vcc, v13, v32
	v_cndmask_b32_e32 v15, v13, v32, vcc
	v_cmp_lt_f16_e32 vcc, v15, v10
	v_cndmask_b32_e32 v16, v15, v10, vcc
	v_cmp_lt_f16_e32 vcc, v16, v31
	v_cndmask_b32_e32 v17, v16, v31, vcc
	v_cmp_lt_f16_e32 vcc, v17, v11
	v_cndmask_b32_e32 v18, v17, v11, vcc
	v_cmp_lt_f16_e32 vcc, v18, v30
	v_cndmask_b32_e32 v38, v18, v30, vcc
	v_cmp_lt_f16_e32 vcc, v38, v12
	v_cndmask_b32_e32 v40, v38, v12, vcc
	v_cmp_lt_f16_e32 vcc, v40, v29
	v_cndmask_b32_e32 v37, v40, v29, vcc
	v_cmp_lt_f16_e32 vcc, v37, v5
	v_cndmask_b32_e32 v39, v37, v5, vcc
	v_cmp_lt_f16_e32 vcc, v39, v28
	v_cndmask_b32_e32 v41, v39, v28, vcc
	v_cmp_lt_f16_e32 vcc, v41, v6
	v_cndmask_b32_e32 v42, v41, v6, vcc
	v_cmp_lt_f16_e32 vcc, v42, v27
	v_cndmask_b32_e32 v43, v42, v27, vcc
	v_cmp_lt_f16_e32 vcc, v43, v7
	v_cndmask_b32_e32 v44, v43, v7, vcc
	v_cmp_lt_f16_e32 vcc, v44, v26
	v_cndmask_b32_e32 v46, v44, v26, vcc
	v_cmp_lt_f16_e32 vcc, v46, v8
	v_cndmask_b32_e32 v48, v46, v8, vcc
	v_cmp_lt_f16_e32 vcc, v48, v25
	v_cndmask_b32_e32 v45, v48, v25, vcc
	v_cmp_lt_f16_e32 vcc, v45, v1
	v_cndmask_b32_e32 v47, v45, v1, vcc
	v_cmp_lt_f16_e32 vcc, v47, v24
	v_cndmask_b32_e32 v49, v47, v24, vcc
	v_cmp_lt_f16_e32 vcc, v49, v2
	v_cndmask_b32_e32 v50, v49, v2, vcc
	v_cmp_lt_f16_e32 vcc, v50, v23
	v_cndmask_b32_e32 v51, v50, v23, vcc
	v_cmp_lt_f16_e32 vcc, v51, v3
	v_cndmask_b32_e32 v52, v51, v3, vcc
	v_cmp_lt_f16_e32 vcc, v52, v22
	v_cndmask_b32_e32 v53, v52, v22, vcc
	v_cmp_lt_f16_e32 vcc, v53, v4
	v_cndmask_b32_e32 v54, v53, v4, vcc
	s_load_dwordx4 s[0:3], s[4:5], 0x40
	s_branch .LBB133_91
.LBB133_80:
	s_load_dword s6, s[4:5], 0x50
	s_waitcnt lgkmcnt(0)
	s_bitcmp0_b32 s6, 0
	s_cbranch_scc1 .LBB133_82
; %bb.81:
	v_mov_b32_e32 v13, 0
	global_load_ushort v14, v13, s[14:15] offset:-2
	global_load_ushort v15, v13, s[0:1]
	s_waitcnt vmcnt(0)
	v_cmp_lt_f16_e32 vcc, v15, v14
	v_cndmask_b32_e32 v20, v15, v14, vcc
.LBB133_82:
	v_cmp_lt_f16_e32 vcc, v9, v32
	v_cndmask_b32_e32 v13, v9, v32, vcc
	v_cmp_lt_f16_e32 vcc, v13, v10
	v_cndmask_b32_e32 v13, v13, v10, vcc
	;; [unrolled: 2-line block ×23, first 2 shown]
	v_mbcnt_hi_u32_b32 v13, -1, v36
	v_and_b32_e32 v16, 0xffff, v14
	v_and_b32_e32 v15, 15, v13
	v_cmp_eq_u32_e32 vcc, 0, v15
	v_mov_b32_dpp v16, v16 row_shr:1 row_mask:0xf bank_mask:0xf
	v_cmp_gt_f16_e64 s[0:1], v14, v16
	s_or_b64 vcc, vcc, s[0:1]
	v_cndmask_b32_e32 v14, v16, v14, vcc
	v_and_b32_e32 v16, 0xffff, v14
	s_nop 1
	v_mov_b32_dpp v16, v16 row_shr:2 row_mask:0xf bank_mask:0xf
	v_cmp_gt_f16_e32 vcc, v14, v16
	v_cndmask_b32_e32 v16, v16, v14, vcc
	v_cmp_lt_u32_e32 vcc, 1, v15
	v_cndmask_b32_e32 v14, v14, v16, vcc
	v_and_b32_e32 v16, 0xffff, v14
	s_nop 1
	v_mov_b32_dpp v16, v16 row_shr:4 row_mask:0xf bank_mask:0xf
	v_cmp_gt_f16_e32 vcc, v14, v16
	v_cndmask_b32_e32 v16, v16, v14, vcc
	v_cmp_lt_u32_e32 vcc, 3, v15
	;; [unrolled: 7-line block ×3, first 2 shown]
	v_cndmask_b32_e32 v14, v14, v16, vcc
	v_and_b32_e32 v15, 0xffff, v14
	v_and_b32_e32 v16, 16, v13
	v_cmp_eq_u32_e32 vcc, 0, v16
	v_mov_b32_dpp v15, v15 row_bcast:15 row_mask:0xf bank_mask:0xf
	v_cmp_gt_f16_e64 s[0:1], v14, v15
	s_or_b64 vcc, vcc, s[0:1]
	v_cndmask_b32_e32 v14, v15, v14, vcc
	v_and_b32_e32 v15, 0xffff, v14
	s_nop 1
	v_mov_b32_dpp v15, v15 row_bcast:31 row_mask:0xf bank_mask:0xf
	v_cmp_gt_f16_e32 vcc, v14, v15
	v_cndmask_b32_e32 v15, v15, v14, vcc
	v_cmp_lt_u32_e32 vcc, 31, v13
	v_cndmask_b32_e32 v14, v14, v15, vcc
	v_cmp_eq_u32_e32 vcc, v0, v34
	s_and_saveexec_b64 s[0:1], vcc
; %bb.83:
	v_lshlrev_b32_e32 v15, 1, v33
	ds_write_b16 v15, v14
; %bb.84:
	s_or_b64 exec, exec, s[0:1]
	v_cmp_gt_u32_e32 vcc, 4, v0
	s_waitcnt lgkmcnt(0)
	s_barrier
	s_and_saveexec_b64 s[6:7], vcc
	s_cbranch_execz .LBB133_86
; %bb.85:
	s_movk_i32 s0, 0xffd2
	v_mad_i32_i24 v15, v0, s0, v21
	ds_read_u16 v16, v15
	v_and_b32_e32 v17, 3, v13
	v_cmp_eq_u32_e32 vcc, 0, v17
	s_waitcnt lgkmcnt(0)
	v_and_b32_e32 v18, 0xffff, v16
	s_nop 1
	v_mov_b32_dpp v18, v18 row_shr:1 row_mask:0xf bank_mask:0xf
	v_cmp_lt_f16_e64 s[0:1], v18, v16
	s_or_b64 vcc, vcc, s[0:1]
	v_cndmask_b32_e32 v16, v18, v16, vcc
	v_and_b32_e32 v18, 0xffff, v16
	s_nop 1
	v_mov_b32_dpp v18, v18 row_shr:2 row_mask:0xf bank_mask:0xf
	v_cmp_gt_f16_e32 vcc, v16, v18
	v_cndmask_b32_e32 v18, v18, v16, vcc
	v_cmp_lt_u32_e32 vcc, 1, v17
	v_cndmask_b32_e32 v16, v16, v18, vcc
	ds_write_b16 v15, v16
.LBB133_86:
	s_or_b64 exec, exec, s[6:7]
	v_cmp_lt_u32_e32 vcc, 63, v0
	v_mov_b32_e32 v15, v20
	s_waitcnt lgkmcnt(0)
	s_barrier
	s_and_saveexec_b64 s[0:1], vcc
	s_cbranch_execz .LBB133_88
; %bb.87:
	v_lshl_add_u32 v15, v33, 1, -2
	ds_read_u16 v15, v15
	s_waitcnt lgkmcnt(0)
	v_cmp_gt_f16_e32 vcc, v15, v20
	v_cndmask_b32_e32 v15, v20, v15, vcc
.LBB133_88:
	s_or_b64 exec, exec, s[0:1]
	v_cmp_lt_f16_e32 vcc, v15, v14
	v_cndmask_b32_e32 v14, v15, v14, vcc
	v_subrev_co_u32_e32 v16, vcc, 1, v13
	v_and_b32_e32 v17, 64, v13
	v_cmp_lt_i32_e64 s[0:1], v16, v17
	v_cndmask_b32_e64 v13, v16, v13, s[0:1]
	v_lshlrev_b32_e32 v13, 2, v13
	v_and_b32_e32 v14, 0xffff, v14
	ds_bpermute_b32 v13, v13, v14
	v_cmp_eq_u32_e64 s[0:1], 0, v0
	s_waitcnt lgkmcnt(0)
	v_cndmask_b32_e32 v14, v13, v15, vcc
	v_cndmask_b32_e64 v13, v14, v20, s[0:1]
	v_cmp_lt_f16_e32 vcc, v13, v9
	v_cndmask_b32_e32 v13, v13, v9, vcc
	v_cmp_lt_f16_e32 vcc, v13, v32
	v_cndmask_b32_e32 v15, v13, v32, vcc
	;; [unrolled: 2-line block ×22, first 2 shown]
	v_cmp_lt_f16_e32 vcc, v53, v4
	s_and_saveexec_b64 s[6:7], s[0:1]
	s_cbranch_execz .LBB133_90
; %bb.89:
	v_mov_b32_e32 v1, 0
	ds_read_u16 v2, v1 offset:6
	s_mov_b32 s14, 0x20000
	v_mov_b32_e32 v14, v20
	s_waitcnt lgkmcnt(0)
	v_cmp_gt_f16_e64 s[0:1], v2, v20
	v_cndmask_b32_e64 v2, v20, v2, s[0:1]
	v_or_b32_sdwa v2, v2, s14 dst_sel:DWORD dst_unused:UNUSED_PAD src0_sel:WORD_0 src1_sel:DWORD
	global_store_dword v1, v2, s[16:17] offset:256
.LBB133_90:
	s_or_b64 exec, exec, s[6:7]
	v_cndmask_b32_e32 v54, v53, v4, vcc
.LBB133_91:
	s_waitcnt lgkmcnt(0)
	s_add_u32 s0, s8, s12
	s_addc_u32 s1, s9, s13
	s_mov_b64 s[6:7], -1
	s_and_b64 vcc, exec, s[10:11]
	s_waitcnt vmcnt(0)
	s_barrier
	s_cbranch_vccz .LBB133_93
; %bb.92:
	s_mov_b32 s6, 0x5040100
	v_perm_b32 v4, v40, v38, s6
	v_perm_b32 v3, v18, v17, s6
	;; [unrolled: 1-line block ×4, first 2 shown]
	ds_write_b128 v21, v[1:4]
	v_perm_b32 v4, v48, v46, s6
	v_perm_b32 v3, v44, v43, s6
	;; [unrolled: 1-line block ×4, first 2 shown]
	ds_write_b128 v21, v[1:4] offset:16
	v_perm_b32 v4, v54, v53, s6
	v_perm_b32 v3, v52, v51, s6
	v_perm_b32 v2, v50, v49, s6
	v_perm_b32 v1, v47, v45, s6
	v_mov_b32_e32 v33, s1
	v_add_co_u32_e32 v34, vcc, s0, v19
	ds_write_b128 v21, v[1:4] offset:32
	s_waitcnt lgkmcnt(0)
	s_barrier
	ds_read_u16 v1, v19
	ds_read_u16 v2, v19 offset:512
	ds_read_u16 v3, v19 offset:1024
	;; [unrolled: 1-line block ×23, first 2 shown]
	v_addc_co_u32_e32 v33, vcc, 0, v33, vcc
	s_movk_i32 s6, 0x1000
	s_waitcnt lgkmcnt(14)
	global_store_short v19, v1, s[0:1]
	global_store_short v19, v2, s[0:1] offset:512
	global_store_short v19, v3, s[0:1] offset:1024
	;; [unrolled: 1-line block ×7, first 2 shown]
	v_add_co_u32_e32 v1, vcc, s6, v34
	v_addc_co_u32_e32 v2, vcc, 0, v33, vcc
	global_store_short v[1:2], v9, off
	global_store_short v[1:2], v10, off offset:512
	s_waitcnt lgkmcnt(13)
	global_store_short v[1:2], v11, off offset:1024
	s_waitcnt lgkmcnt(12)
	;; [unrolled: 2-line block ×6, first 2 shown]
	global_store_short v[1:2], v24, off offset:3584
	v_add_co_u32_e32 v1, vcc, 0x2000, v34
	v_addc_co_u32_e32 v2, vcc, 0, v33, vcc
	s_waitcnt lgkmcnt(7)
	global_store_short v[1:2], v25, off
	s_waitcnt lgkmcnt(6)
	global_store_short v[1:2], v26, off offset:512
	s_waitcnt lgkmcnt(5)
	global_store_short v[1:2], v27, off offset:1024
	;; [unrolled: 2-line block ×7, first 2 shown]
	s_mov_b64 s[6:7], 0
.LBB133_93:
	s_andn2_b64 vcc, exec, s[6:7]
	s_cbranch_vccnz .LBB133_150
; %bb.94:
	s_mov_b32 s6, 0x5040100
	v_perm_b32 v4, v40, v38, s6
	v_perm_b32 v3, v18, v17, s6
	;; [unrolled: 1-line block ×4, first 2 shown]
	ds_write_b128 v21, v[1:4]
	v_perm_b32 v4, v48, v46, s6
	v_perm_b32 v3, v44, v43, s6
	;; [unrolled: 1-line block ×4, first 2 shown]
	ds_write_b128 v21, v[1:4] offset:16
	v_perm_b32 v4, v54, v53, s6
	v_perm_b32 v3, v52, v51, s6
	;; [unrolled: 1-line block ×4, first 2 shown]
	s_movk_i32 s6, 0xffd2
	ds_write_b128 v21, v[1:4] offset:32
	v_mad_i32_i24 v2, v0, s6, v21
	s_waitcnt vmcnt(0) lgkmcnt(0)
	s_barrier
	ds_read_u16 v5, v2
	ds_read_u16 v4, v2 offset:512
	ds_read_u16 v7, v2 offset:1024
	;; [unrolled: 1-line block ×23, first 2 shown]
	v_mov_b32_e32 v3, s1
	v_add_co_u32_e32 v2, vcc, s0, v19
	v_addc_co_u32_e32 v3, vcc, 0, v3, vcc
	v_mov_b32_e32 v1, 0
	v_cmp_gt_u32_e32 vcc, s22, v0
	s_and_saveexec_b64 s[0:1], vcc
	s_cbranch_execz .LBB133_96
; %bb.95:
	s_waitcnt lgkmcnt(14)
	global_store_short v[2:3], v5, off
.LBB133_96:
	s_or_b64 exec, exec, s[0:1]
	v_or_b32_e32 v19, 0x100, v0
	v_cmp_gt_u32_e32 vcc, s22, v19
	s_and_saveexec_b64 s[0:1], vcc
	s_cbranch_execz .LBB133_98
; %bb.97:
	s_waitcnt lgkmcnt(14)
	global_store_short v[2:3], v4, off offset:512
.LBB133_98:
	s_or_b64 exec, exec, s[0:1]
	v_or_b32_e32 v19, 0x200, v0
	v_cmp_gt_u32_e32 vcc, s22, v19
	s_and_saveexec_b64 s[0:1], vcc
	s_cbranch_execz .LBB133_100
; %bb.99:
	s_waitcnt lgkmcnt(14)
	global_store_short v[2:3], v7, off offset:1024
.LBB133_100:
	;; [unrolled: 9-line block ×7, first 2 shown]
	s_or_b64 exec, exec, s[0:1]
	v_or_b32_e32 v19, 0x800, v0
	v_cmp_gt_u32_e32 vcc, s22, v19
	s_and_saveexec_b64 s[0:1], vcc
	s_cbranch_execz .LBB133_112
; %bb.111:
	v_add_co_u32_e32 v29, vcc, 0x1000, v2
	v_addc_co_u32_e32 v30, vcc, 0, v3, vcc
	s_waitcnt lgkmcnt(14)
	global_store_short v[29:30], v18, off
.LBB133_112:
	s_or_b64 exec, exec, s[0:1]
	v_or_b32_e32 v19, 0x900, v0
	v_cmp_gt_u32_e32 vcc, s22, v19
	s_and_saveexec_b64 s[0:1], vcc
	s_cbranch_execz .LBB133_114
; %bb.113:
	v_add_co_u32_e32 v29, vcc, 0x1000, v2
	v_addc_co_u32_e32 v30, vcc, 0, v3, vcc
	s_waitcnt lgkmcnt(14)
	global_store_short v[29:30], v23, off offset:512
.LBB133_114:
	s_or_b64 exec, exec, s[0:1]
	v_or_b32_e32 v19, 0xa00, v0
	v_cmp_gt_u32_e32 vcc, s22, v19
	s_and_saveexec_b64 s[0:1], vcc
	s_cbranch_execz .LBB133_116
; %bb.115:
	v_add_co_u32_e32 v29, vcc, 0x1000, v2
	v_addc_co_u32_e32 v30, vcc, 0, v3, vcc
	s_waitcnt lgkmcnt(13)
	global_store_short v[29:30], v22, off offset:1024
.LBB133_116:
	;; [unrolled: 11-line block ×7, first 2 shown]
	s_or_b64 exec, exec, s[0:1]
	v_or_b32_e32 v19, 0x1000, v0
	v_cmp_gt_u32_e32 vcc, s22, v19
	s_and_saveexec_b64 s[0:1], vcc
	s_cbranch_execz .LBB133_128
; %bb.127:
	v_add_co_u32_e32 v29, vcc, 0x2000, v2
	v_addc_co_u32_e32 v30, vcc, 0, v3, vcc
	s_waitcnt lgkmcnt(7)
	global_store_short v[29:30], v24, off
.LBB133_128:
	s_or_b64 exec, exec, s[0:1]
	v_or_b32_e32 v19, 0x1100, v0
	v_cmp_gt_u32_e32 vcc, s22, v19
	s_and_saveexec_b64 s[0:1], vcc
	s_cbranch_execz .LBB133_130
; %bb.129:
	v_add_co_u32_e32 v29, vcc, 0x2000, v2
	v_addc_co_u32_e32 v30, vcc, 0, v3, vcc
	s_waitcnt lgkmcnt(6)
	global_store_short v[29:30], v26, off offset:512
.LBB133_130:
	s_or_b64 exec, exec, s[0:1]
	v_or_b32_e32 v19, 0x1200, v0
	v_cmp_gt_u32_e32 vcc, s22, v19
	s_and_saveexec_b64 s[0:1], vcc
	s_cbranch_execz .LBB133_132
; %bb.131:
	v_add_co_u32_e32 v29, vcc, 0x2000, v2
	v_addc_co_u32_e32 v30, vcc, 0, v3, vcc
	s_waitcnt lgkmcnt(5)
	global_store_short v[29:30], v27, off offset:1024
.LBB133_132:
	;; [unrolled: 11-line block ×7, first 2 shown]
	s_or_b64 exec, exec, s[0:1]
	s_load_dword s0, s[4:5], 0x50
	s_waitcnt lgkmcnt(0)
	s_bfe_u32 s0, s0, 0x10008
	s_cmp_eq_u32 s0, 0
	s_cbranch_scc1 .LBB133_150
; %bb.143:
	s_add_u32 s0, s22, -1
	s_addc_u32 s1, s23, -1
	s_mul_i32 s7, s1, 0xaaaaaaab
	s_mul_hi_u32 s8, s0, 0xaaaaaaab
	s_mul_hi_u32 s6, s1, 0xaaaaaaab
	s_add_u32 s7, s7, s8
	s_mul_i32 s5, s0, 0xaaaaaaaa
	s_addc_u32 s6, s6, 0
	s_mul_hi_u32 s4, s0, 0xaaaaaaaa
	s_add_u32 s5, s5, s7
	s_addc_u32 s4, s4, 0
	s_add_u32 s4, s6, s4
	s_addc_u32 s5, 0, 0
	s_mul_i32 s7, s1, 0xaaaaaaaa
	s_mul_hi_u32 s6, s1, 0xaaaaaaaa
	s_add_u32 s4, s7, s4
	s_addc_u32 s5, s6, s5
	s_lshr_b64 s[4:5], s[4:5], 4
	v_cmp_eq_u64_e32 vcc, s[4:5], v[0:1]
	s_and_saveexec_b64 s[4:5], vcc
	s_cbranch_execz .LBB133_150
; %bb.144:
	v_mul_hi_u32_u24_e32 v1, 24, v0
	v_mul_u32_u24_e32 v0, 24, v0
	v_mov_b32_e32 v2, s1
	v_sub_co_u32_e32 v0, vcc, s0, v0
	v_subb_co_u32_e32 v1, vcc, v2, v1, vcc
	v_cmp_lt_i64_e32 vcc, 11, v[0:1]
	s_mov_b64 s[0:1], 0
	s_mov_b64 s[10:11], 0
	;; [unrolled: 1-line block ×4, first 2 shown]
	s_and_saveexec_b64 s[4:5], vcc
	s_xor_b64 s[4:5], exec, s[4:5]
	s_cbranch_execnz .LBB133_151
; %bb.145:
	s_andn2_saveexec_b64 s[4:5], s[4:5]
	s_cbranch_execnz .LBB133_196
.LBB133_146:
	s_or_b64 exec, exec, s[4:5]
	s_and_saveexec_b64 s[4:5], s[10:11]
	s_cbranch_execnz .LBB133_213
.LBB133_147:
	s_or_b64 exec, exec, s[4:5]
	s_and_saveexec_b64 s[4:5], s[8:9]
	s_cbranch_execnz .LBB133_214
.LBB133_148:
	s_or_b64 exec, exec, s[4:5]
	s_and_saveexec_b64 s[4:5], s[6:7]
	s_xor_b64 s[4:5], exec, s[4:5]
	s_cbranch_execnz .LBB133_215
.LBB133_149:
	s_or_b64 exec, exec, s[4:5]
	s_and_b64 exec, exec, s[0:1]
	s_cbranch_execnz .LBB133_216
.LBB133_150:
	s_endpgm
.LBB133_151:
	v_cmp_lt_i64_e32 vcc, 17, v[0:1]
	s_and_saveexec_b64 s[12:13], vcc
	s_xor_b64 s[12:13], exec, s[12:13]
	s_cbranch_execz .LBB133_173
; %bb.152:
	v_cmp_lt_i64_e32 vcc, 20, v[0:1]
	s_and_saveexec_b64 s[14:15], vcc
	s_xor_b64 s[14:15], exec, s[14:15]
	s_cbranch_execz .LBB133_162
; %bb.153:
	v_cmp_lt_i64_e32 vcc, 21, v[0:1]
	s_mov_b64 s[16:17], 0
	s_and_saveexec_b64 s[6:7], vcc
	s_xor_b64 s[6:7], exec, s[6:7]
	s_cbranch_execz .LBB133_159
; %bb.154:
	v_cmp_lt_i64_e32 vcc, 22, v[0:1]
	s_and_saveexec_b64 s[16:17], vcc
	s_xor_b64 s[16:17], exec, s[16:17]
	s_cbranch_execz .LBB133_156
; %bb.155:
	v_mov_b32_e32 v2, 0
	global_store_short v2, v28, s[2:3]
.LBB133_156:
	s_or_saveexec_b64 s[16:17], s[16:17]
	s_mov_b64 s[18:19], 0
	s_xor_b64 exec, exec, s[16:17]
; %bb.157:
	s_mov_b64 s[18:19], exec
; %bb.158:
	s_or_b64 exec, exec, s[16:17]
	s_and_b64 s[16:17], s[18:19], exec
.LBB133_159:
	s_andn2_saveexec_b64 s[6:7], s[6:7]
; %bb.160:
	s_mov_b64 s[8:9], exec
; %bb.161:
	s_or_b64 exec, exec, s[6:7]
	s_and_b64 s[6:7], s[16:17], exec
	s_and_b64 s[8:9], s[8:9], exec
                                        ; implicit-def: $vgpr27
                                        ; implicit-def: $vgpr25
.LBB133_162:
	s_andn2_saveexec_b64 s[14:15], s[14:15]
	s_cbranch_execz .LBB133_172
; %bb.163:
	v_cmp_lt_i64_e32 vcc, 18, v[0:1]
	s_mov_b64 s[16:17], 0
	s_and_saveexec_b64 s[10:11], vcc
	s_xor_b64 s[10:11], exec, s[10:11]
	s_cbranch_execz .LBB133_169
; %bb.164:
	v_cmp_lt_i64_e32 vcc, 19, v[0:1]
	s_and_saveexec_b64 s[18:19], vcc
	s_xor_b64 s[18:19], exec, s[18:19]
; %bb.165:
	s_mov_b64 s[16:17], exec
                                        ; implicit-def: $vgpr25
; %bb.166:
	s_andn2_saveexec_b64 s[18:19], s[18:19]
	s_cbranch_execz .LBB133_168
; %bb.167:
	v_mov_b32_e32 v2, 0
	global_store_short v2, v25, s[2:3]
.LBB133_168:
	s_or_b64 exec, exec, s[18:19]
	s_and_b64 s[16:17], s[16:17], exec
                                        ; implicit-def: $vgpr27
.LBB133_169:
	s_andn2_saveexec_b64 s[10:11], s[10:11]
	s_cbranch_execz .LBB133_171
; %bb.170:
	v_mov_b32_e32 v2, 0
	global_store_short v2, v27, s[2:3]
.LBB133_171:
	s_or_b64 exec, exec, s[10:11]
	s_and_b64 s[10:11], s[16:17], exec
.LBB133_172:
	s_or_b64 exec, exec, s[14:15]
	s_and_b64 s[6:7], s[6:7], exec
	s_and_b64 s[8:9], s[8:9], exec
	;; [unrolled: 1-line block ×3, first 2 shown]
                                        ; implicit-def: $vgpr17
                                        ; implicit-def: $vgpr15
                                        ; implicit-def: $vgpr16
                                        ; implicit-def: $vgpr21
                                        ; implicit-def: $vgpr24
                                        ; implicit-def: $vgpr26
.LBB133_173:
	s_andn2_saveexec_b64 s[12:13], s[12:13]
	s_cbranch_execz .LBB133_195
; %bb.174:
	v_cmp_lt_i64_e32 vcc, 14, v[0:1]
	s_mov_b64 s[14:15], s[6:7]
	s_and_saveexec_b64 s[16:17], vcc
	s_xor_b64 s[16:17], exec, s[16:17]
	s_cbranch_execz .LBB133_184
; %bb.175:
	v_cmp_lt_i64_e32 vcc, 15, v[0:1]
	s_and_saveexec_b64 s[14:15], vcc
	s_xor_b64 s[14:15], exec, s[14:15]
	s_cbranch_execz .LBB133_181
; %bb.176:
	v_cmp_lt_i64_e32 vcc, 16, v[0:1]
	s_and_saveexec_b64 s[18:19], vcc
	s_xor_b64 s[18:19], exec, s[18:19]
	s_cbranch_execz .LBB133_178
; %bb.177:
	v_mov_b32_e32 v2, 0
	global_store_short v2, v26, s[2:3]
                                        ; implicit-def: $vgpr24
.LBB133_178:
	s_andn2_saveexec_b64 s[18:19], s[18:19]
	s_cbranch_execz .LBB133_180
; %bb.179:
	v_mov_b32_e32 v2, 0
	global_store_short v2, v24, s[2:3]
.LBB133_180:
	s_or_b64 exec, exec, s[18:19]
.LBB133_181:
	s_or_saveexec_b64 s[14:15], s[14:15]
	s_mov_b64 s[18:19], s[6:7]
	s_xor_b64 exec, exec, s[14:15]
; %bb.182:
	s_or_b64 s[18:19], s[6:7], exec
; %bb.183:
	s_or_b64 exec, exec, s[14:15]
	s_andn2_b64 s[14:15], s[6:7], exec
	s_and_b64 s[18:19], s[18:19], exec
	s_or_b64 s[14:15], s[14:15], s[18:19]
                                        ; implicit-def: $vgpr16
                                        ; implicit-def: $vgpr21
                                        ; implicit-def: $vgpr15
.LBB133_184:
	s_or_saveexec_b64 s[16:17], s[16:17]
	s_mov_b64 s[18:19], s[8:9]
                                        ; implicit-def: $vgpr11
	s_xor_b64 exec, exec, s[16:17]
	s_cbranch_execz .LBB133_194
; %bb.185:
	v_cmp_lt_i64_e32 vcc, 12, v[0:1]
	s_mov_b64 s[20:21], s[8:9]
	s_mov_b64 s[22:23], s[14:15]
	s_and_saveexec_b64 s[18:19], vcc
	s_xor_b64 s[18:19], exec, s[18:19]
	s_cbranch_execz .LBB133_191
; %bb.186:
	v_cmp_lt_i64_e32 vcc, 13, v[0:1]
	s_mov_b64 s[20:21], s[14:15]
	s_and_saveexec_b64 s[22:23], vcc
	s_xor_b64 s[22:23], exec, s[22:23]
; %bb.187:
	s_or_b64 s[20:21], s[14:15], exec
; %bb.188:
	s_or_saveexec_b64 s[22:23], s[22:23]
	s_mov_b64 s[24:25], s[8:9]
	s_xor_b64 exec, exec, s[22:23]
; %bb.189:
	s_or_b64 s[24:25], s[8:9], exec
; %bb.190:
	s_or_b64 exec, exec, s[22:23]
	s_andn2_b64 s[22:23], s[14:15], exec
	s_and_b64 s[20:21], s[20:21], exec
	s_or_b64 s[22:23], s[22:23], s[20:21]
	s_andn2_b64 s[20:21], s[8:9], exec
	s_and_b64 s[24:25], s[24:25], exec
	s_or_b64 s[20:21], s[20:21], s[24:25]
                                        ; implicit-def: $vgpr21
.LBB133_191:
	s_andn2_saveexec_b64 s[18:19], s[18:19]
; %bb.192:
	s_or_b64 s[20:21], s[20:21], exec
	v_mov_b32_e32 v16, v21
; %bb.193:
	s_or_b64 exec, exec, s[18:19]
	s_andn2_b64 s[14:15], s[14:15], exec
	s_and_b64 s[18:19], s[22:23], exec
	s_or_b64 s[14:15], s[14:15], s[18:19]
	s_andn2_b64 s[18:19], s[8:9], exec
	s_and_b64 s[20:21], s[20:21], exec
	s_or_b64 s[18:19], s[18:19], s[20:21]
	v_mov_b32_e32 v17, v15
	v_mov_b32_e32 v11, v16
.LBB133_194:
	s_or_b64 exec, exec, s[16:17]
	s_andn2_b64 s[6:7], s[6:7], exec
	s_and_b64 s[14:15], s[14:15], exec
	s_or_b64 s[6:7], s[6:7], s[14:15]
	s_andn2_b64 s[8:9], s[8:9], exec
	s_and_b64 s[14:15], s[18:19], exec
	s_or_b64 s[8:9], s[8:9], s[14:15]
	v_mov_b32_e32 v12, v17
.LBB133_195:
	s_or_b64 exec, exec, s[12:13]
	s_and_b64 s[6:7], s[6:7], exec
	s_and_b64 s[8:9], s[8:9], exec
	;; [unrolled: 1-line block ×3, first 2 shown]
                                        ; implicit-def: $vgpr18
                                        ; implicit-def: $vgpr23
                                        ; implicit-def: $vgpr20
                                        ; implicit-def: $vgpr22
                                        ; implicit-def: $vgpr13
                                        ; implicit-def: $vgpr14
	s_andn2_saveexec_b64 s[4:5], s[4:5]
	s_cbranch_execz .LBB133_146
.LBB133_196:
	v_cmp_lt_i64_e32 vcc, 5, v[0:1]
	s_mov_b64 s[14:15], -1
	s_mov_b64 s[12:13], s[10:11]
	s_mov_b64 s[16:17], s[8:9]
	;; [unrolled: 1-line block ×3, first 2 shown]
                                        ; implicit-def: $vgpr10
	s_and_saveexec_b64 s[0:1], vcc
	s_cbranch_execz .LBB133_212
; %bb.197:
	v_cmp_lt_i64_e32 vcc, 8, v[0:1]
	s_mov_b64 s[12:13], s[10:11]
                                        ; implicit-def: $vgpr10
	s_and_saveexec_b64 s[14:15], vcc
	s_xor_b64 s[14:15], exec, s[14:15]
	s_cbranch_execz .LBB133_207
; %bb.198:
	v_cmp_lt_i64_e32 vcc, 9, v[0:1]
	s_and_saveexec_b64 s[12:13], vcc
	s_xor_b64 s[12:13], exec, s[12:13]
	s_cbranch_execz .LBB133_204
; %bb.199:
	v_cmp_lt_i64_e32 vcc, 10, v[0:1]
	s_and_saveexec_b64 s[16:17], vcc
	s_xor_b64 s[16:17], exec, s[16:17]
; %bb.200:
                                        ; implicit-def: $vgpr22
; %bb.201:
	s_andn2_saveexec_b64 s[16:17], s[16:17]
; %bb.202:
	v_mov_b32_e32 v20, v22
; %bb.203:
	s_or_b64 exec, exec, s[16:17]
                                        ; implicit-def: $vgpr23
.LBB133_204:
	s_andn2_saveexec_b64 s[12:13], s[12:13]
; %bb.205:
	v_mov_b32_e32 v20, v23
; %bb.206:
	s_or_b64 exec, exec, s[12:13]
	s_or_b64 s[12:13], s[10:11], exec
	v_mov_b32_e32 v10, v20
                                        ; implicit-def: $vgpr18
.LBB133_207:
	s_or_saveexec_b64 s[14:15], s[14:15]
	s_mov_b64 s[16:17], s[8:9]
	s_mov_b64 s[20:21], s[6:7]
	s_xor_b64 exec, exec, s[14:15]
	s_cbranch_execz .LBB133_211
; %bb.208:
	v_cmp_lt_i64_e32 vcc, 6, v[0:1]
	s_mov_b64 s[20:21], -1
	s_mov_b64 s[18:19], s[12:13]
	s_mov_b64 s[16:17], s[8:9]
	s_and_saveexec_b64 s[22:23], vcc
; %bb.209:
	v_cmp_lt_i64_e32 vcc, 7, v[0:1]
	s_andn2_b64 s[18:19], s[12:13], exec
	s_and_b64 s[24:25], vcc, exec
	s_xor_b64 s[20:21], exec, -1
	s_or_b64 s[16:17], s[8:9], exec
	s_or_b64 s[18:19], s[18:19], s[24:25]
; %bb.210:
	s_or_b64 exec, exec, s[22:23]
	s_andn2_b64 s[22:23], s[6:7], exec
	s_and_b64 s[20:21], s[20:21], exec
	s_or_b64 s[20:21], s[22:23], s[20:21]
	s_andn2_b64 s[22:23], s[8:9], exec
	s_and_b64 s[16:17], s[16:17], exec
	s_andn2_b64 s[12:13], s[12:13], exec
	s_and_b64 s[18:19], s[18:19], exec
	s_or_b64 s[16:17], s[22:23], s[16:17]
	s_or_b64 s[12:13], s[12:13], s[18:19]
	v_mov_b32_e32 v10, v18
.LBB133_211:
	s_or_b64 exec, exec, s[14:15]
	s_andn2_b64 s[18:19], s[6:7], exec
	s_and_b64 s[20:21], s[20:21], exec
	s_or_b64 s[18:19], s[18:19], s[20:21]
	s_andn2_b64 s[20:21], s[8:9], exec
	s_and_b64 s[16:17], s[16:17], exec
	s_or_b64 s[16:17], s[20:21], s[16:17]
	s_andn2_b64 s[20:21], s[10:11], exec
	s_and_b64 s[12:13], s[12:13], exec
	s_xor_b64 s[14:15], exec, -1
	s_or_b64 s[12:13], s[20:21], s[12:13]
.LBB133_212:
	s_or_b64 exec, exec, s[0:1]
	s_and_b64 s[0:1], s[14:15], exec
	s_andn2_b64 s[6:7], s[6:7], exec
	s_and_b64 s[14:15], s[18:19], exec
	s_or_b64 s[6:7], s[6:7], s[14:15]
	s_andn2_b64 s[8:9], s[8:9], exec
	s_and_b64 s[14:15], s[16:17], exec
	s_andn2_b64 s[10:11], s[10:11], exec
	s_and_b64 s[12:13], s[12:13], exec
	s_or_b64 s[8:9], s[8:9], s[14:15]
	s_or_b64 s[10:11], s[10:11], s[12:13]
	v_mov_b32_e32 v12, v13
	v_mov_b32_e32 v11, v14
	s_or_b64 exec, exec, s[4:5]
	s_and_saveexec_b64 s[4:5], s[10:11]
	s_cbranch_execz .LBB133_147
.LBB133_213:
	v_mov_b32_e32 v2, 0
	s_andn2_b64 s[8:9], s[8:9], exec
	global_store_short v2, v10, s[2:3]
	s_or_b64 exec, exec, s[4:5]
	s_and_saveexec_b64 s[4:5], s[8:9]
	s_cbranch_execz .LBB133_148
.LBB133_214:
	v_mov_b32_e32 v2, 0
	global_store_short v2, v11, s[2:3]
	s_or_b64 exec, exec, s[4:5]
	s_and_saveexec_b64 s[4:5], s[6:7]
	s_xor_b64 s[4:5], exec, s[4:5]
	s_cbranch_execz .LBB133_149
.LBB133_215:
	v_mov_b32_e32 v2, 0
	global_store_short v2, v12, s[2:3]
	s_or_b64 exec, exec, s[4:5]
	s_and_b64 exec, exec, s[0:1]
	s_cbranch_execz .LBB133_150
.LBB133_216:
	v_cmp_lt_i64_e32 vcc, 2, v[0:1]
	s_and_saveexec_b64 s[0:1], vcc
	s_xor_b64 s[0:1], exec, s[0:1]
	s_cbranch_execz .LBB133_226
; %bb.217:
	v_cmp_lt_i64_e32 vcc, 3, v[0:1]
	s_and_saveexec_b64 s[4:5], vcc
	s_xor_b64 s[4:5], exec, s[4:5]
	s_cbranch_execz .LBB133_223
; %bb.218:
	;; [unrolled: 5-line block ×3, first 2 shown]
	v_mov_b32_e32 v0, 0
	global_store_short v0, v9, s[2:3]
                                        ; implicit-def: $vgpr6
.LBB133_220:
	s_andn2_saveexec_b64 s[6:7], s[6:7]
	s_cbranch_execz .LBB133_222
; %bb.221:
	v_mov_b32_e32 v0, 0
	global_store_short v0, v6, s[2:3]
.LBB133_222:
	s_or_b64 exec, exec, s[6:7]
                                        ; implicit-def: $vgpr8
.LBB133_223:
	s_andn2_saveexec_b64 s[4:5], s[4:5]
	s_cbranch_execz .LBB133_225
; %bb.224:
	v_mov_b32_e32 v0, 0
	global_store_short v0, v8, s[2:3]
.LBB133_225:
	s_or_b64 exec, exec, s[4:5]
                                        ; implicit-def: $vgpr0_vgpr1
                                        ; implicit-def: $vgpr7
                                        ; implicit-def: $vgpr4
                                        ; implicit-def: $vgpr5
.LBB133_226:
	s_andn2_saveexec_b64 s[0:1], s[0:1]
	s_cbranch_execz .LBB133_150
; %bb.227:
	v_cmp_lt_i64_e32 vcc, 1, v[0:1]
	s_and_saveexec_b64 s[0:1], vcc
	s_xor_b64 s[0:1], exec, s[0:1]
	s_cbranch_execz .LBB133_229
; %bb.228:
	v_mov_b32_e32 v0, 0
	global_store_short v0, v7, s[2:3]
                                        ; implicit-def: $vgpr4
                                        ; implicit-def: $vgpr0_vgpr1
                                        ; implicit-def: $vgpr5
.LBB133_229:
	s_andn2_saveexec_b64 s[0:1], s[0:1]
	s_cbranch_execz .LBB133_150
; %bb.230:
	v_cmp_ne_u64_e32 vcc, 1, v[0:1]
	s_and_saveexec_b64 s[0:1], vcc
	s_xor_b64 s[0:1], exec, s[0:1]
	s_cbranch_execz .LBB133_232
; %bb.231:
	v_mov_b32_e32 v0, 0
	global_store_short v0, v5, s[2:3]
                                        ; implicit-def: $vgpr4
.LBB133_232:
	s_andn2_saveexec_b64 s[0:1], s[0:1]
	s_cbranch_execz .LBB133_150
; %bb.233:
	v_mov_b32_e32 v0, 0
	global_store_short v0, v4, s[2:3]
	s_endpgm
	.section	.rodata,"a",@progbits
	.p2align	6, 0x0
	.amdhsa_kernel _ZN7rocprim6detail20lookback_scan_kernelILNS0_25lookback_scan_determinismE0ELb1ENS0_19wrapped_scan_configINS_14default_configE6__halfEEN6hipcub22TransformInputIteratorIS5_NS7_6CastOpIS5_EEPS5_lEESB_NS7_3MaxENS_12future_valueIS5_SB_EES5_NS0_19lookback_scan_stateIS5_Lb0ELb1EEEEEvT2_T3_mT5_T4_T7_jPT6_SO_bb
		.amdhsa_group_segment_fixed_size 12288
		.amdhsa_private_segment_fixed_size 0
		.amdhsa_kernarg_size 84
		.amdhsa_user_sgpr_count 6
		.amdhsa_user_sgpr_private_segment_buffer 1
		.amdhsa_user_sgpr_dispatch_ptr 0
		.amdhsa_user_sgpr_queue_ptr 0
		.amdhsa_user_sgpr_kernarg_segment_ptr 1
		.amdhsa_user_sgpr_dispatch_id 0
		.amdhsa_user_sgpr_flat_scratch_init 0
		.amdhsa_user_sgpr_private_segment_size 0
		.amdhsa_uses_dynamic_stack 0
		.amdhsa_system_sgpr_private_segment_wavefront_offset 0
		.amdhsa_system_sgpr_workgroup_id_x 1
		.amdhsa_system_sgpr_workgroup_id_y 0
		.amdhsa_system_sgpr_workgroup_id_z 0
		.amdhsa_system_sgpr_workgroup_info 0
		.amdhsa_system_vgpr_workitem_id 0
		.amdhsa_next_free_vgpr 58
		.amdhsa_next_free_sgpr 98
		.amdhsa_reserve_vcc 1
		.amdhsa_reserve_flat_scratch 0
		.amdhsa_float_round_mode_32 0
		.amdhsa_float_round_mode_16_64 0
		.amdhsa_float_denorm_mode_32 3
		.amdhsa_float_denorm_mode_16_64 3
		.amdhsa_dx10_clamp 1
		.amdhsa_ieee_mode 1
		.amdhsa_fp16_overflow 0
		.amdhsa_exception_fp_ieee_invalid_op 0
		.amdhsa_exception_fp_denorm_src 0
		.amdhsa_exception_fp_ieee_div_zero 0
		.amdhsa_exception_fp_ieee_overflow 0
		.amdhsa_exception_fp_ieee_underflow 0
		.amdhsa_exception_fp_ieee_inexact 0
		.amdhsa_exception_int_div_zero 0
	.end_amdhsa_kernel
	.section	.text._ZN7rocprim6detail20lookback_scan_kernelILNS0_25lookback_scan_determinismE0ELb1ENS0_19wrapped_scan_configINS_14default_configE6__halfEEN6hipcub22TransformInputIteratorIS5_NS7_6CastOpIS5_EEPS5_lEESB_NS7_3MaxENS_12future_valueIS5_SB_EES5_NS0_19lookback_scan_stateIS5_Lb0ELb1EEEEEvT2_T3_mT5_T4_T7_jPT6_SO_bb,"axG",@progbits,_ZN7rocprim6detail20lookback_scan_kernelILNS0_25lookback_scan_determinismE0ELb1ENS0_19wrapped_scan_configINS_14default_configE6__halfEEN6hipcub22TransformInputIteratorIS5_NS7_6CastOpIS5_EEPS5_lEESB_NS7_3MaxENS_12future_valueIS5_SB_EES5_NS0_19lookback_scan_stateIS5_Lb0ELb1EEEEEvT2_T3_mT5_T4_T7_jPT6_SO_bb,comdat
.Lfunc_end133:
	.size	_ZN7rocprim6detail20lookback_scan_kernelILNS0_25lookback_scan_determinismE0ELb1ENS0_19wrapped_scan_configINS_14default_configE6__halfEEN6hipcub22TransformInputIteratorIS5_NS7_6CastOpIS5_EEPS5_lEESB_NS7_3MaxENS_12future_valueIS5_SB_EES5_NS0_19lookback_scan_stateIS5_Lb0ELb1EEEEEvT2_T3_mT5_T4_T7_jPT6_SO_bb, .Lfunc_end133-_ZN7rocprim6detail20lookback_scan_kernelILNS0_25lookback_scan_determinismE0ELb1ENS0_19wrapped_scan_configINS_14default_configE6__halfEEN6hipcub22TransformInputIteratorIS5_NS7_6CastOpIS5_EEPS5_lEESB_NS7_3MaxENS_12future_valueIS5_SB_EES5_NS0_19lookback_scan_stateIS5_Lb0ELb1EEEEEvT2_T3_mT5_T4_T7_jPT6_SO_bb
                                        ; -- End function
	.set _ZN7rocprim6detail20lookback_scan_kernelILNS0_25lookback_scan_determinismE0ELb1ENS0_19wrapped_scan_configINS_14default_configE6__halfEEN6hipcub22TransformInputIteratorIS5_NS7_6CastOpIS5_EEPS5_lEESB_NS7_3MaxENS_12future_valueIS5_SB_EES5_NS0_19lookback_scan_stateIS5_Lb0ELb1EEEEEvT2_T3_mT5_T4_T7_jPT6_SO_bb.num_vgpr, 58
	.set _ZN7rocprim6detail20lookback_scan_kernelILNS0_25lookback_scan_determinismE0ELb1ENS0_19wrapped_scan_configINS_14default_configE6__halfEEN6hipcub22TransformInputIteratorIS5_NS7_6CastOpIS5_EEPS5_lEESB_NS7_3MaxENS_12future_valueIS5_SB_EES5_NS0_19lookback_scan_stateIS5_Lb0ELb1EEEEEvT2_T3_mT5_T4_T7_jPT6_SO_bb.num_agpr, 0
	.set _ZN7rocprim6detail20lookback_scan_kernelILNS0_25lookback_scan_determinismE0ELb1ENS0_19wrapped_scan_configINS_14default_configE6__halfEEN6hipcub22TransformInputIteratorIS5_NS7_6CastOpIS5_EEPS5_lEESB_NS7_3MaxENS_12future_valueIS5_SB_EES5_NS0_19lookback_scan_stateIS5_Lb0ELb1EEEEEvT2_T3_mT5_T4_T7_jPT6_SO_bb.numbered_sgpr, 26
	.set _ZN7rocprim6detail20lookback_scan_kernelILNS0_25lookback_scan_determinismE0ELb1ENS0_19wrapped_scan_configINS_14default_configE6__halfEEN6hipcub22TransformInputIteratorIS5_NS7_6CastOpIS5_EEPS5_lEESB_NS7_3MaxENS_12future_valueIS5_SB_EES5_NS0_19lookback_scan_stateIS5_Lb0ELb1EEEEEvT2_T3_mT5_T4_T7_jPT6_SO_bb.num_named_barrier, 0
	.set _ZN7rocprim6detail20lookback_scan_kernelILNS0_25lookback_scan_determinismE0ELb1ENS0_19wrapped_scan_configINS_14default_configE6__halfEEN6hipcub22TransformInputIteratorIS5_NS7_6CastOpIS5_EEPS5_lEESB_NS7_3MaxENS_12future_valueIS5_SB_EES5_NS0_19lookback_scan_stateIS5_Lb0ELb1EEEEEvT2_T3_mT5_T4_T7_jPT6_SO_bb.private_seg_size, 0
	.set _ZN7rocprim6detail20lookback_scan_kernelILNS0_25lookback_scan_determinismE0ELb1ENS0_19wrapped_scan_configINS_14default_configE6__halfEEN6hipcub22TransformInputIteratorIS5_NS7_6CastOpIS5_EEPS5_lEESB_NS7_3MaxENS_12future_valueIS5_SB_EES5_NS0_19lookback_scan_stateIS5_Lb0ELb1EEEEEvT2_T3_mT5_T4_T7_jPT6_SO_bb.uses_vcc, 1
	.set _ZN7rocprim6detail20lookback_scan_kernelILNS0_25lookback_scan_determinismE0ELb1ENS0_19wrapped_scan_configINS_14default_configE6__halfEEN6hipcub22TransformInputIteratorIS5_NS7_6CastOpIS5_EEPS5_lEESB_NS7_3MaxENS_12future_valueIS5_SB_EES5_NS0_19lookback_scan_stateIS5_Lb0ELb1EEEEEvT2_T3_mT5_T4_T7_jPT6_SO_bb.uses_flat_scratch, 0
	.set _ZN7rocprim6detail20lookback_scan_kernelILNS0_25lookback_scan_determinismE0ELb1ENS0_19wrapped_scan_configINS_14default_configE6__halfEEN6hipcub22TransformInputIteratorIS5_NS7_6CastOpIS5_EEPS5_lEESB_NS7_3MaxENS_12future_valueIS5_SB_EES5_NS0_19lookback_scan_stateIS5_Lb0ELb1EEEEEvT2_T3_mT5_T4_T7_jPT6_SO_bb.has_dyn_sized_stack, 0
	.set _ZN7rocprim6detail20lookback_scan_kernelILNS0_25lookback_scan_determinismE0ELb1ENS0_19wrapped_scan_configINS_14default_configE6__halfEEN6hipcub22TransformInputIteratorIS5_NS7_6CastOpIS5_EEPS5_lEESB_NS7_3MaxENS_12future_valueIS5_SB_EES5_NS0_19lookback_scan_stateIS5_Lb0ELb1EEEEEvT2_T3_mT5_T4_T7_jPT6_SO_bb.has_recursion, 0
	.set _ZN7rocprim6detail20lookback_scan_kernelILNS0_25lookback_scan_determinismE0ELb1ENS0_19wrapped_scan_configINS_14default_configE6__halfEEN6hipcub22TransformInputIteratorIS5_NS7_6CastOpIS5_EEPS5_lEESB_NS7_3MaxENS_12future_valueIS5_SB_EES5_NS0_19lookback_scan_stateIS5_Lb0ELb1EEEEEvT2_T3_mT5_T4_T7_jPT6_SO_bb.has_indirect_call, 0
	.section	.AMDGPU.csdata,"",@progbits
; Kernel info:
; codeLenInByte = 8688
; TotalNumSgprs: 30
; NumVgprs: 58
; ScratchSize: 0
; MemoryBound: 0
; FloatMode: 240
; IeeeMode: 1
; LDSByteSize: 12288 bytes/workgroup (compile time only)
; SGPRBlocks: 12
; VGPRBlocks: 14
; NumSGPRsForWavesPerEU: 102
; NumVGPRsForWavesPerEU: 58
; Occupancy: 4
; WaveLimiterHint : 1
; COMPUTE_PGM_RSRC2:SCRATCH_EN: 0
; COMPUTE_PGM_RSRC2:USER_SGPR: 6
; COMPUTE_PGM_RSRC2:TRAP_HANDLER: 0
; COMPUTE_PGM_RSRC2:TGID_X_EN: 1
; COMPUTE_PGM_RSRC2:TGID_Y_EN: 0
; COMPUTE_PGM_RSRC2:TGID_Z_EN: 0
; COMPUTE_PGM_RSRC2:TIDIG_COMP_CNT: 0
	.section	.text._ZN7rocprim6detail18single_scan_kernelILb1ENS0_19wrapped_scan_configINS_14default_configE6__halfEEN6hipcub22TransformInputIteratorIS4_NS6_6CastOpIS4_EEPS4_lEESA_NS6_3MaxENS_12future_valueIS4_SA_EES4_EEvT1_mT4_T2_T3_,"axG",@progbits,_ZN7rocprim6detail18single_scan_kernelILb1ENS0_19wrapped_scan_configINS_14default_configE6__halfEEN6hipcub22TransformInputIteratorIS4_NS6_6CastOpIS4_EEPS4_lEESA_NS6_3MaxENS_12future_valueIS4_SA_EES4_EEvT1_mT4_T2_T3_,comdat
	.protected	_ZN7rocprim6detail18single_scan_kernelILb1ENS0_19wrapped_scan_configINS_14default_configE6__halfEEN6hipcub22TransformInputIteratorIS4_NS6_6CastOpIS4_EEPS4_lEESA_NS6_3MaxENS_12future_valueIS4_SA_EES4_EEvT1_mT4_T2_T3_ ; -- Begin function _ZN7rocprim6detail18single_scan_kernelILb1ENS0_19wrapped_scan_configINS_14default_configE6__halfEEN6hipcub22TransformInputIteratorIS4_NS6_6CastOpIS4_EEPS4_lEESA_NS6_3MaxENS_12future_valueIS4_SA_EES4_EEvT1_mT4_T2_T3_
	.globl	_ZN7rocprim6detail18single_scan_kernelILb1ENS0_19wrapped_scan_configINS_14default_configE6__halfEEN6hipcub22TransformInputIteratorIS4_NS6_6CastOpIS4_EEPS4_lEESA_NS6_3MaxENS_12future_valueIS4_SA_EES4_EEvT1_mT4_T2_T3_
	.p2align	8
	.type	_ZN7rocprim6detail18single_scan_kernelILb1ENS0_19wrapped_scan_configINS_14default_configE6__halfEEN6hipcub22TransformInputIteratorIS4_NS6_6CastOpIS4_EEPS4_lEESA_NS6_3MaxENS_12future_valueIS4_SA_EES4_EEvT1_mT4_T2_T3_,@function
_ZN7rocprim6detail18single_scan_kernelILb1ENS0_19wrapped_scan_configINS_14default_configE6__halfEEN6hipcub22TransformInputIteratorIS4_NS6_6CastOpIS4_EEPS4_lEESA_NS6_3MaxENS_12future_valueIS4_SA_EES4_EEvT1_mT4_T2_T3_: ; @_ZN7rocprim6detail18single_scan_kernelILb1ENS0_19wrapped_scan_configINS_14default_configE6__halfEEN6hipcub22TransformInputIteratorIS4_NS6_6CastOpIS4_EEPS4_lEESA_NS6_3MaxENS_12future_valueIS4_SA_EES4_EEvT1_mT4_T2_T3_
; %bb.0:
	s_load_dwordx2 s[0:1], s[4:5], 0x0
	s_load_dwordx4 s[48:51], s[4:5], 0x10
	v_mov_b32_e32 v1, 0
	v_lshlrev_b32_e32 v13, 1, v0
	s_waitcnt lgkmcnt(0)
	global_load_ushort v3, v1, s[0:1]
	global_load_ushort v14, v1, s[50:51]
	v_mov_b32_e32 v2, s1
	v_add_co_u32_e32 v1, vcc, s0, v13
	v_addc_co_u32_e32 v2, vcc, 0, v2, vcc
	v_cmp_gt_u32_e64 s[0:1], s48, v0
	s_waitcnt vmcnt(1)
	v_mov_b32_e32 v4, v3
	s_and_saveexec_b64 s[2:3], s[0:1]
	s_cbranch_execz .LBB134_2
; %bb.1:
	global_load_ushort v4, v[1:2], off
.LBB134_2:
	s_or_b64 exec, exec, s[2:3]
	v_or_b32_e32 v5, 0x100, v0
	v_cmp_gt_u32_e64 s[2:3], s48, v5
	v_mov_b32_e32 v5, v3
	s_and_saveexec_b64 s[6:7], s[2:3]
	s_cbranch_execz .LBB134_4
; %bb.3:
	global_load_ushort v5, v[1:2], off offset:512
.LBB134_4:
	s_or_b64 exec, exec, s[6:7]
	v_or_b32_e32 v6, 0x200, v0
	v_cmp_gt_u32_e64 s[50:51], s48, v6
	v_mov_b32_e32 v6, v3
	s_and_saveexec_b64 s[6:7], s[50:51]
	s_cbranch_execz .LBB134_6
; %bb.5:
	global_load_ushort v6, v[1:2], off offset:1024
.LBB134_6:
	;; [unrolled: 9-line block ×7, first 2 shown]
	s_or_b64 exec, exec, s[16:17]
	v_or_b32_e32 v12, 0x800, v0
	v_cmp_gt_u32_e64 s[16:17], s48, v12
	v_mov_b32_e32 v12, v3
	s_and_saveexec_b64 s[18:19], s[16:17]
	s_cbranch_execz .LBB134_18
; %bb.17:
	v_add_co_u32_e32 v15, vcc, 0x1000, v1
	v_addc_co_u32_e32 v16, vcc, 0, v2, vcc
	global_load_ushort v12, v[15:16], off
.LBB134_18:
	s_or_b64 exec, exec, s[18:19]
	v_or_b32_e32 v15, 0x900, v0
	v_cmp_gt_u32_e64 s[18:19], s48, v15
	v_mov_b32_e32 v15, v3
	s_and_saveexec_b64 s[20:21], s[18:19]
	s_cbranch_execz .LBB134_20
; %bb.19:
	v_add_co_u32_e32 v15, vcc, 0x1000, v1
	v_addc_co_u32_e32 v16, vcc, 0, v2, vcc
	global_load_ushort v15, v[15:16], off offset:512
.LBB134_20:
	s_or_b64 exec, exec, s[20:21]
	v_or_b32_e32 v16, 0xa00, v0
	v_cmp_gt_u32_e64 s[20:21], s48, v16
	v_mov_b32_e32 v16, v3
	s_and_saveexec_b64 s[22:23], s[20:21]
	s_cbranch_execz .LBB134_22
; %bb.21:
	v_add_co_u32_e32 v16, vcc, 0x1000, v1
	v_addc_co_u32_e32 v17, vcc, 0, v2, vcc
	global_load_ushort v16, v[16:17], off offset:1024
.LBB134_22:
	;; [unrolled: 11-line block ×7, first 2 shown]
	s_or_b64 exec, exec, s[34:35]
	v_or_b32_e32 v22, 0x1000, v0
	v_cmp_gt_u32_e64 s[34:35], s48, v22
	v_mov_b32_e32 v22, v3
	s_and_saveexec_b64 s[36:37], s[34:35]
	s_cbranch_execz .LBB134_34
; %bb.33:
	v_add_co_u32_e32 v22, vcc, 0x2000, v1
	v_addc_co_u32_e32 v23, vcc, 0, v2, vcc
	global_load_ushort v22, v[22:23], off
.LBB134_34:
	s_or_b64 exec, exec, s[36:37]
	v_or_b32_e32 v23, 0x1100, v0
	v_cmp_gt_u32_e64 s[36:37], s48, v23
	v_mov_b32_e32 v23, v3
	s_and_saveexec_b64 s[38:39], s[36:37]
	s_cbranch_execz .LBB134_36
; %bb.35:
	v_add_co_u32_e32 v23, vcc, 0x2000, v1
	v_addc_co_u32_e32 v24, vcc, 0, v2, vcc
	global_load_ushort v23, v[23:24], off offset:512
.LBB134_36:
	s_or_b64 exec, exec, s[38:39]
	v_or_b32_e32 v24, 0x1200, v0
	v_cmp_gt_u32_e64 s[38:39], s48, v24
	v_mov_b32_e32 v24, v3
	s_and_saveexec_b64 s[40:41], s[38:39]
	s_cbranch_execz .LBB134_38
; %bb.37:
	v_add_co_u32_e32 v24, vcc, 0x2000, v1
	v_addc_co_u32_e32 v25, vcc, 0, v2, vcc
	global_load_ushort v24, v[24:25], off offset:1024
.LBB134_38:
	;; [unrolled: 11-line block ×6, first 2 shown]
	s_or_b64 exec, exec, s[52:53]
	v_or_b32_e32 v29, 0x1700, v0
	v_cmp_gt_u32_e64 s[48:49], s48, v29
	s_and_saveexec_b64 s[52:53], s[48:49]
	s_cbranch_execz .LBB134_48
; %bb.47:
	v_add_co_u32_e32 v1, vcc, 0x2000, v1
	v_addc_co_u32_e32 v2, vcc, 0, v2, vcc
	global_load_ushort v3, v[1:2], off offset:3584
.LBB134_48:
	s_or_b64 exec, exec, s[52:53]
	v_mad_u32_u24 v1, v0, 46, v13
	s_waitcnt vmcnt(0)
	ds_write_b16 v13, v4
	ds_write_b16 v13, v5 offset:512
	ds_write_b16 v13, v6 offset:1024
	;; [unrolled: 1-line block ×23, first 2 shown]
	s_waitcnt lgkmcnt(0)
	s_barrier
	ds_read_b128 v[9:12], v1
	ds_read_b128 v[5:8], v1 offset:16
	ds_read_b128 v[1:4], v1 offset:32
	s_load_dwordx2 s[52:53], s[4:5], 0x20
	s_waitcnt lgkmcnt(0)
	s_barrier
	v_lshrrev_b32_e32 v25, 16, v9
	v_cmp_lt_f16_e32 vcc, v9, v25
	v_cndmask_b32_e32 v27, v9, v25, vcc
	v_cmp_lt_f16_e32 vcc, v27, v10
	v_lshrrev_b32_e32 v24, 16, v10
	v_cndmask_b32_e32 v27, v27, v10, vcc
	v_cmp_lt_f16_e32 vcc, v27, v24
	v_cndmask_b32_e32 v27, v27, v24, vcc
	v_cmp_lt_f16_e32 vcc, v27, v11
	v_lshrrev_b32_e32 v23, 16, v11
	v_cndmask_b32_e32 v27, v27, v11, vcc
	;; [unrolled: 5-line block ×11, first 2 shown]
	v_cmp_lt_f16_e32 vcc, v27, v26
	v_cndmask_b32_e32 v27, v27, v26, vcc
	v_mbcnt_lo_u32_b32 v26, -1, 0
	v_mbcnt_hi_u32_b32 v26, -1, v26
	v_and_b32_e32 v29, 0xffff, v27
	v_and_b32_e32 v28, 15, v26
	v_cmp_eq_u32_e32 vcc, 0, v28
	v_mov_b32_dpp v29, v29 row_shr:1 row_mask:0xf bank_mask:0xf
	v_cmp_gt_f16_e64 s[4:5], v27, v29
	s_or_b64 vcc, vcc, s[4:5]
	v_cndmask_b32_e32 v27, v29, v27, vcc
	v_and_b32_e32 v29, 0xffff, v27
	s_nop 1
	v_mov_b32_dpp v29, v29 row_shr:2 row_mask:0xf bank_mask:0xf
	v_cmp_gt_f16_e32 vcc, v27, v29
	v_cndmask_b32_e32 v29, v29, v27, vcc
	v_cmp_lt_u32_e32 vcc, 1, v28
	v_cndmask_b32_e32 v27, v27, v29, vcc
	v_and_b32_e32 v29, 0xffff, v27
	s_nop 1
	v_mov_b32_dpp v29, v29 row_shr:4 row_mask:0xf bank_mask:0xf
	v_cmp_gt_f16_e32 vcc, v27, v29
	v_cndmask_b32_e32 v29, v29, v27, vcc
	v_cmp_lt_u32_e32 vcc, 3, v28
	;; [unrolled: 7-line block ×3, first 2 shown]
	v_cndmask_b32_e32 v27, v27, v29, vcc
	v_and_b32_e32 v28, 0xffff, v27
	v_and_b32_e32 v29, 16, v26
	v_cmp_eq_u32_e32 vcc, 0, v29
	v_mov_b32_dpp v28, v28 row_bcast:15 row_mask:0xf bank_mask:0xf
	v_cmp_gt_f16_e64 s[4:5], v27, v28
	s_or_b64 vcc, vcc, s[4:5]
	v_cndmask_b32_e32 v27, v28, v27, vcc
	v_and_b32_e32 v28, 0xffff, v27
	v_lshrrev_b32_e32 v29, 6, v0
	s_nop 0
	v_mov_b32_dpp v28, v28 row_bcast:31 row_mask:0xf bank_mask:0xf
	v_cmp_gt_f16_e32 vcc, v27, v28
	v_cndmask_b32_e32 v28, v28, v27, vcc
	v_cmp_lt_u32_e32 vcc, 31, v26
	v_cndmask_b32_e32 v28, v27, v28, vcc
	v_or_b32_e32 v27, 63, v0
	v_cmp_eq_u32_e32 vcc, v0, v27
	s_and_saveexec_b64 s[4:5], vcc
; %bb.49:
	v_lshlrev_b32_e32 v27, 1, v29
	ds_write_b16 v27, v28
; %bb.50:
	s_or_b64 exec, exec, s[4:5]
	v_cmp_gt_u32_e32 vcc, 4, v0
	s_waitcnt lgkmcnt(0)
	s_barrier
	s_and_saveexec_b64 s[54:55], vcc
	s_cbranch_execz .LBB134_52
; %bb.51:
	ds_read_u16 v27, v13
	v_and_b32_e32 v30, 3, v26
	v_cmp_eq_u32_e32 vcc, 0, v30
	s_waitcnt lgkmcnt(0)
	v_and_b32_e32 v31, 0xffff, v27
	s_nop 1
	v_mov_b32_dpp v31, v31 row_shr:1 row_mask:0xf bank_mask:0xf
	v_cmp_lt_f16_e64 s[4:5], v31, v27
	s_or_b64 vcc, vcc, s[4:5]
	v_cndmask_b32_e32 v27, v31, v27, vcc
	v_and_b32_e32 v31, 0xffff, v27
	s_nop 1
	v_mov_b32_dpp v31, v31 row_shr:2 row_mask:0xf bank_mask:0xf
	v_cmp_gt_f16_e32 vcc, v27, v31
	v_cndmask_b32_e32 v31, v31, v27, vcc
	v_cmp_lt_u32_e32 vcc, 1, v30
	v_cndmask_b32_e32 v27, v27, v31, vcc
	ds_write_b16 v13, v27
.LBB134_52:
	s_or_b64 exec, exec, s[54:55]
	v_mul_u32_u24_e32 v27, 46, v0
	v_cmp_lt_u32_e32 vcc, 63, v0
	v_mov_b32_e32 v30, v14
	s_waitcnt lgkmcnt(0)
	s_barrier
	s_and_saveexec_b64 s[4:5], vcc
	s_cbranch_execz .LBB134_54
; %bb.53:
	v_lshl_add_u32 v29, v29, 1, -2
	ds_read_u16 v29, v29
	s_waitcnt lgkmcnt(0)
	v_cmp_gt_f16_e32 vcc, v29, v14
	v_cndmask_b32_e32 v30, v14, v29, vcc
.LBB134_54:
	s_or_b64 exec, exec, s[4:5]
	v_cmp_lt_f16_e32 vcc, v30, v28
	v_cndmask_b32_e32 v28, v30, v28, vcc
	v_subrev_co_u32_e32 v29, vcc, 1, v26
	v_and_b32_e32 v31, 64, v26
	v_cmp_lt_i32_e64 s[4:5], v29, v31
	v_cndmask_b32_e64 v26, v29, v26, s[4:5]
	v_lshlrev_b32_e32 v26, 2, v26
	v_and_b32_e32 v28, 0xffff, v28
	ds_bpermute_b32 v26, v26, v28
	s_mov_b32 s4, 0x5040100
	v_add_u32_e32 v27, v13, v27
	s_waitcnt lgkmcnt(0)
	s_barrier
	v_cndmask_b32_e32 v26, v26, v30, vcc
	v_cmp_eq_u32_e32 vcc, 0, v0
	v_cndmask_b32_e32 v0, v26, v14, vcc
	v_cmp_lt_f16_e32 vcc, v0, v9
	v_cndmask_b32_e32 v9, v0, v9, vcc
	v_cmp_lt_f16_e32 vcc, v9, v25
	;; [unrolled: 2-line block ×23, first 2 shown]
	v_perm_b32 v3, v12, v23, s4
	v_perm_b32 v2, v11, v24, s4
	;; [unrolled: 1-line block ×4, first 2 shown]
	v_cndmask_b32_e32 v4, v15, v4, vcc
	ds_write_b128 v27, v[0:3]
	v_perm_b32 v3, v8, v19, s4
	v_perm_b32 v2, v7, v20, s4
	v_perm_b32 v1, v6, v21, s4
	v_perm_b32 v0, v5, v22, s4
	ds_write_b128 v27, v[0:3] offset:16
	v_perm_b32 v3, v4, v15, s4
	v_perm_b32 v2, v28, v16, s4
	;; [unrolled: 1-line block ×4, first 2 shown]
	ds_write_b128 v27, v[0:3] offset:32
	s_waitcnt lgkmcnt(0)
	s_barrier
	ds_read_u16 v25, v13 offset:512
	ds_read_u16 v24, v13 offset:1024
	;; [unrolled: 1-line block ×23, first 2 shown]
	v_mov_b32_e32 v1, s53
	v_add_co_u32_e32 v0, vcc, s52, v13
	v_addc_co_u32_e32 v1, vcc, 0, v1, vcc
	s_and_saveexec_b64 s[4:5], s[0:1]
	s_cbranch_execnz .LBB134_79
; %bb.55:
	s_or_b64 exec, exec, s[4:5]
	s_and_saveexec_b64 s[0:1], s[2:3]
	s_cbranch_execnz .LBB134_80
.LBB134_56:
	s_or_b64 exec, exec, s[0:1]
	s_and_saveexec_b64 s[0:1], s[50:51]
	s_cbranch_execnz .LBB134_81
.LBB134_57:
	s_or_b64 exec, exec, s[0:1]
	s_and_saveexec_b64 s[0:1], s[6:7]
	s_cbranch_execnz .LBB134_82
.LBB134_58:
	s_or_b64 exec, exec, s[0:1]
	s_and_saveexec_b64 s[0:1], s[8:9]
	s_cbranch_execnz .LBB134_83
.LBB134_59:
	s_or_b64 exec, exec, s[0:1]
	s_and_saveexec_b64 s[0:1], s[10:11]
	s_cbranch_execnz .LBB134_84
.LBB134_60:
	s_or_b64 exec, exec, s[0:1]
	s_and_saveexec_b64 s[0:1], s[12:13]
	s_cbranch_execnz .LBB134_85
.LBB134_61:
	s_or_b64 exec, exec, s[0:1]
	s_and_saveexec_b64 s[0:1], s[14:15]
	s_cbranch_execnz .LBB134_86
.LBB134_62:
	s_or_b64 exec, exec, s[0:1]
	s_and_saveexec_b64 s[0:1], s[16:17]
	s_cbranch_execnz .LBB134_87
.LBB134_63:
	s_or_b64 exec, exec, s[0:1]
	s_and_saveexec_b64 s[0:1], s[18:19]
	s_cbranch_execnz .LBB134_88
.LBB134_64:
	s_or_b64 exec, exec, s[0:1]
	s_and_saveexec_b64 s[0:1], s[20:21]
	s_cbranch_execnz .LBB134_89
.LBB134_65:
	s_or_b64 exec, exec, s[0:1]
	s_and_saveexec_b64 s[0:1], s[22:23]
	s_cbranch_execnz .LBB134_90
.LBB134_66:
	s_or_b64 exec, exec, s[0:1]
	s_and_saveexec_b64 s[0:1], s[24:25]
	s_cbranch_execnz .LBB134_91
.LBB134_67:
	s_or_b64 exec, exec, s[0:1]
	s_and_saveexec_b64 s[0:1], s[26:27]
	s_cbranch_execnz .LBB134_92
.LBB134_68:
	s_or_b64 exec, exec, s[0:1]
	s_and_saveexec_b64 s[0:1], s[28:29]
	s_cbranch_execnz .LBB134_93
.LBB134_69:
	s_or_b64 exec, exec, s[0:1]
	s_and_saveexec_b64 s[0:1], s[30:31]
	s_cbranch_execnz .LBB134_94
.LBB134_70:
	s_or_b64 exec, exec, s[0:1]
	s_and_saveexec_b64 s[0:1], s[34:35]
	s_cbranch_execnz .LBB134_95
.LBB134_71:
	s_or_b64 exec, exec, s[0:1]
	s_and_saveexec_b64 s[0:1], s[36:37]
	s_cbranch_execnz .LBB134_96
.LBB134_72:
	s_or_b64 exec, exec, s[0:1]
	s_and_saveexec_b64 s[0:1], s[38:39]
	s_cbranch_execnz .LBB134_97
.LBB134_73:
	s_or_b64 exec, exec, s[0:1]
	s_and_saveexec_b64 s[0:1], s[40:41]
	s_cbranch_execnz .LBB134_98
.LBB134_74:
	s_or_b64 exec, exec, s[0:1]
	s_and_saveexec_b64 s[0:1], s[42:43]
	s_cbranch_execnz .LBB134_99
.LBB134_75:
	s_or_b64 exec, exec, s[0:1]
	s_and_saveexec_b64 s[0:1], s[44:45]
	s_cbranch_execnz .LBB134_100
.LBB134_76:
	s_or_b64 exec, exec, s[0:1]
	s_and_saveexec_b64 s[0:1], s[46:47]
	s_cbranch_execnz .LBB134_101
.LBB134_77:
	s_or_b64 exec, exec, s[0:1]
	s_and_saveexec_b64 s[0:1], s[48:49]
	s_cbranch_execnz .LBB134_102
.LBB134_78:
	s_endpgm
.LBB134_79:
	ds_read_u16 v13, v13
	s_waitcnt lgkmcnt(0)
	global_store_short v[0:1], v13, off
	s_or_b64 exec, exec, s[4:5]
	s_and_saveexec_b64 s[0:1], s[2:3]
	s_cbranch_execz .LBB134_56
.LBB134_80:
	s_waitcnt lgkmcnt(14)
	global_store_short v[0:1], v25, off offset:512
	s_or_b64 exec, exec, s[0:1]
	s_and_saveexec_b64 s[0:1], s[50:51]
	s_cbranch_execz .LBB134_57
.LBB134_81:
	s_waitcnt lgkmcnt(14)
	global_store_short v[0:1], v24, off offset:1024
	s_or_b64 exec, exec, s[0:1]
	s_and_saveexec_b64 s[0:1], s[6:7]
	s_cbranch_execz .LBB134_58
.LBB134_82:
	s_waitcnt lgkmcnt(14)
	global_store_short v[0:1], v23, off offset:1536
	s_or_b64 exec, exec, s[0:1]
	s_and_saveexec_b64 s[0:1], s[8:9]
	s_cbranch_execz .LBB134_59
.LBB134_83:
	s_waitcnt lgkmcnt(14)
	global_store_short v[0:1], v22, off offset:2048
	s_or_b64 exec, exec, s[0:1]
	s_and_saveexec_b64 s[0:1], s[10:11]
	s_cbranch_execz .LBB134_60
.LBB134_84:
	s_waitcnt lgkmcnt(14)
	global_store_short v[0:1], v21, off offset:2560
	s_or_b64 exec, exec, s[0:1]
	s_and_saveexec_b64 s[0:1], s[12:13]
	s_cbranch_execz .LBB134_61
.LBB134_85:
	s_waitcnt lgkmcnt(14)
	global_store_short v[0:1], v20, off offset:3072
	s_or_b64 exec, exec, s[0:1]
	s_and_saveexec_b64 s[0:1], s[14:15]
	s_cbranch_execz .LBB134_62
.LBB134_86:
	s_waitcnt lgkmcnt(14)
	global_store_short v[0:1], v19, off offset:3584
	s_or_b64 exec, exec, s[0:1]
	s_and_saveexec_b64 s[0:1], s[16:17]
	s_cbranch_execz .LBB134_63
.LBB134_87:
	s_waitcnt lgkmcnt(14)
	v_add_co_u32_e32 v19, vcc, 0x1000, v0
	v_addc_co_u32_e32 v20, vcc, 0, v1, vcc
	global_store_short v[19:20], v18, off
	s_or_b64 exec, exec, s[0:1]
	s_and_saveexec_b64 s[0:1], s[18:19]
	s_cbranch_execz .LBB134_64
.LBB134_88:
	s_waitcnt lgkmcnt(14)
	v_add_co_u32_e32 v18, vcc, 0x1000, v0
	v_addc_co_u32_e32 v19, vcc, 0, v1, vcc
	global_store_short v[18:19], v17, off offset:512
	s_or_b64 exec, exec, s[0:1]
	s_and_saveexec_b64 s[0:1], s[20:21]
	s_cbranch_execz .LBB134_65
.LBB134_89:
	s_waitcnt lgkmcnt(14)
	v_add_co_u32_e32 v17, vcc, 0x1000, v0
	v_addc_co_u32_e32 v18, vcc, 0, v1, vcc
	s_waitcnt lgkmcnt(13)
	global_store_short v[17:18], v16, off offset:1024
	s_or_b64 exec, exec, s[0:1]
	s_and_saveexec_b64 s[0:1], s[22:23]
	s_cbranch_execz .LBB134_66
.LBB134_90:
	s_waitcnt lgkmcnt(13)
	v_add_co_u32_e32 v16, vcc, 0x1000, v0
	v_addc_co_u32_e32 v17, vcc, 0, v1, vcc
	s_waitcnt lgkmcnt(12)
	global_store_short v[16:17], v15, off offset:1536
	s_or_b64 exec, exec, s[0:1]
	s_and_saveexec_b64 s[0:1], s[24:25]
	s_cbranch_execz .LBB134_67
.LBB134_91:
	s_waitcnt lgkmcnt(12)
	v_add_co_u32_e32 v15, vcc, 0x1000, v0
	v_addc_co_u32_e32 v16, vcc, 0, v1, vcc
	s_waitcnt lgkmcnt(11)
	global_store_short v[15:16], v14, off offset:2048
	s_or_b64 exec, exec, s[0:1]
	s_and_saveexec_b64 s[0:1], s[26:27]
	s_cbranch_execz .LBB134_68
.LBB134_92:
	v_add_co_u32_e32 v13, vcc, 0x1000, v0
	s_waitcnt lgkmcnt(11)
	v_addc_co_u32_e32 v14, vcc, 0, v1, vcc
	s_waitcnt lgkmcnt(10)
	global_store_short v[13:14], v12, off offset:2560
	s_or_b64 exec, exec, s[0:1]
	s_and_saveexec_b64 s[0:1], s[28:29]
	s_cbranch_execz .LBB134_69
.LBB134_93:
	s_waitcnt lgkmcnt(10)
	v_add_co_u32_e32 v12, vcc, 0x1000, v0
	v_addc_co_u32_e32 v13, vcc, 0, v1, vcc
	s_waitcnt lgkmcnt(9)
	global_store_short v[12:13], v11, off offset:3072
	s_or_b64 exec, exec, s[0:1]
	s_and_saveexec_b64 s[0:1], s[30:31]
	s_cbranch_execz .LBB134_70
.LBB134_94:
	s_waitcnt lgkmcnt(9)
	v_add_co_u32_e32 v11, vcc, 0x1000, v0
	v_addc_co_u32_e32 v12, vcc, 0, v1, vcc
	s_waitcnt lgkmcnt(8)
	global_store_short v[11:12], v10, off offset:3584
	s_or_b64 exec, exec, s[0:1]
	s_and_saveexec_b64 s[0:1], s[34:35]
	s_cbranch_execz .LBB134_71
.LBB134_95:
	s_waitcnt lgkmcnt(8)
	v_add_co_u32_e32 v10, vcc, 0x2000, v0
	v_addc_co_u32_e32 v11, vcc, 0, v1, vcc
	s_waitcnt lgkmcnt(7)
	global_store_short v[10:11], v9, off
	s_or_b64 exec, exec, s[0:1]
	s_and_saveexec_b64 s[0:1], s[36:37]
	s_cbranch_execz .LBB134_72
.LBB134_96:
	s_waitcnt lgkmcnt(7)
	v_add_co_u32_e32 v9, vcc, 0x2000, v0
	v_addc_co_u32_e32 v10, vcc, 0, v1, vcc
	s_waitcnt lgkmcnt(6)
	global_store_short v[9:10], v8, off offset:512
	s_or_b64 exec, exec, s[0:1]
	s_and_saveexec_b64 s[0:1], s[38:39]
	s_cbranch_execz .LBB134_73
.LBB134_97:
	s_waitcnt lgkmcnt(6)
	v_add_co_u32_e32 v8, vcc, 0x2000, v0
	v_addc_co_u32_e32 v9, vcc, 0, v1, vcc
	s_waitcnt lgkmcnt(5)
	global_store_short v[8:9], v7, off offset:1024
	s_or_b64 exec, exec, s[0:1]
	s_and_saveexec_b64 s[0:1], s[40:41]
	s_cbranch_execz .LBB134_74
.LBB134_98:
	s_waitcnt lgkmcnt(5)
	v_add_co_u32_e32 v7, vcc, 0x2000, v0
	v_addc_co_u32_e32 v8, vcc, 0, v1, vcc
	s_waitcnt lgkmcnt(4)
	global_store_short v[7:8], v6, off offset:1536
	s_or_b64 exec, exec, s[0:1]
	s_and_saveexec_b64 s[0:1], s[42:43]
	s_cbranch_execz .LBB134_75
.LBB134_99:
	s_waitcnt lgkmcnt(4)
	v_add_co_u32_e32 v6, vcc, 0x2000, v0
	v_addc_co_u32_e32 v7, vcc, 0, v1, vcc
	s_waitcnt lgkmcnt(3)
	global_store_short v[6:7], v5, off offset:2048
	s_or_b64 exec, exec, s[0:1]
	s_and_saveexec_b64 s[0:1], s[44:45]
	s_cbranch_execz .LBB134_76
.LBB134_100:
	s_waitcnt lgkmcnt(3)
	v_add_co_u32_e32 v5, vcc, 0x2000, v0
	v_addc_co_u32_e32 v6, vcc, 0, v1, vcc
	s_waitcnt lgkmcnt(2)
	global_store_short v[5:6], v4, off offset:2560
	s_or_b64 exec, exec, s[0:1]
	s_and_saveexec_b64 s[0:1], s[46:47]
	s_cbranch_execz .LBB134_77
.LBB134_101:
	s_waitcnt lgkmcnt(2)
	v_add_co_u32_e32 v4, vcc, 0x2000, v0
	v_addc_co_u32_e32 v5, vcc, 0, v1, vcc
	s_waitcnt lgkmcnt(1)
	global_store_short v[4:5], v3, off offset:3072
	s_or_b64 exec, exec, s[0:1]
	s_and_saveexec_b64 s[0:1], s[48:49]
	s_cbranch_execz .LBB134_78
.LBB134_102:
	v_add_co_u32_e32 v0, vcc, 0x2000, v0
	v_addc_co_u32_e32 v1, vcc, 0, v1, vcc
	s_waitcnt lgkmcnt(0)
	global_store_short v[0:1], v2, off offset:3584
	s_endpgm
	.section	.rodata,"a",@progbits
	.p2align	6, 0x0
	.amdhsa_kernel _ZN7rocprim6detail18single_scan_kernelILb1ENS0_19wrapped_scan_configINS_14default_configE6__halfEEN6hipcub22TransformInputIteratorIS4_NS6_6CastOpIS4_EEPS4_lEESA_NS6_3MaxENS_12future_valueIS4_SA_EES4_EEvT1_mT4_T2_T3_
		.amdhsa_group_segment_fixed_size 12288
		.amdhsa_private_segment_fixed_size 0
		.amdhsa_kernarg_size 44
		.amdhsa_user_sgpr_count 6
		.amdhsa_user_sgpr_private_segment_buffer 1
		.amdhsa_user_sgpr_dispatch_ptr 0
		.amdhsa_user_sgpr_queue_ptr 0
		.amdhsa_user_sgpr_kernarg_segment_ptr 1
		.amdhsa_user_sgpr_dispatch_id 0
		.amdhsa_user_sgpr_flat_scratch_init 0
		.amdhsa_user_sgpr_private_segment_size 0
		.amdhsa_uses_dynamic_stack 0
		.amdhsa_system_sgpr_private_segment_wavefront_offset 0
		.amdhsa_system_sgpr_workgroup_id_x 1
		.amdhsa_system_sgpr_workgroup_id_y 0
		.amdhsa_system_sgpr_workgroup_id_z 0
		.amdhsa_system_sgpr_workgroup_info 0
		.amdhsa_system_vgpr_workitem_id 0
		.amdhsa_next_free_vgpr 41
		.amdhsa_next_free_sgpr 98
		.amdhsa_reserve_vcc 1
		.amdhsa_reserve_flat_scratch 0
		.amdhsa_float_round_mode_32 0
		.amdhsa_float_round_mode_16_64 0
		.amdhsa_float_denorm_mode_32 3
		.amdhsa_float_denorm_mode_16_64 3
		.amdhsa_dx10_clamp 1
		.amdhsa_ieee_mode 1
		.amdhsa_fp16_overflow 0
		.amdhsa_exception_fp_ieee_invalid_op 0
		.amdhsa_exception_fp_denorm_src 0
		.amdhsa_exception_fp_ieee_div_zero 0
		.amdhsa_exception_fp_ieee_overflow 0
		.amdhsa_exception_fp_ieee_underflow 0
		.amdhsa_exception_fp_ieee_inexact 0
		.amdhsa_exception_int_div_zero 0
	.end_amdhsa_kernel
	.section	.text._ZN7rocprim6detail18single_scan_kernelILb1ENS0_19wrapped_scan_configINS_14default_configE6__halfEEN6hipcub22TransformInputIteratorIS4_NS6_6CastOpIS4_EEPS4_lEESA_NS6_3MaxENS_12future_valueIS4_SA_EES4_EEvT1_mT4_T2_T3_,"axG",@progbits,_ZN7rocprim6detail18single_scan_kernelILb1ENS0_19wrapped_scan_configINS_14default_configE6__halfEEN6hipcub22TransformInputIteratorIS4_NS6_6CastOpIS4_EEPS4_lEESA_NS6_3MaxENS_12future_valueIS4_SA_EES4_EEvT1_mT4_T2_T3_,comdat
.Lfunc_end134:
	.size	_ZN7rocprim6detail18single_scan_kernelILb1ENS0_19wrapped_scan_configINS_14default_configE6__halfEEN6hipcub22TransformInputIteratorIS4_NS6_6CastOpIS4_EEPS4_lEESA_NS6_3MaxENS_12future_valueIS4_SA_EES4_EEvT1_mT4_T2_T3_, .Lfunc_end134-_ZN7rocprim6detail18single_scan_kernelILb1ENS0_19wrapped_scan_configINS_14default_configE6__halfEEN6hipcub22TransformInputIteratorIS4_NS6_6CastOpIS4_EEPS4_lEESA_NS6_3MaxENS_12future_valueIS4_SA_EES4_EEvT1_mT4_T2_T3_
                                        ; -- End function
	.set _ZN7rocprim6detail18single_scan_kernelILb1ENS0_19wrapped_scan_configINS_14default_configE6__halfEEN6hipcub22TransformInputIteratorIS4_NS6_6CastOpIS4_EEPS4_lEESA_NS6_3MaxENS_12future_valueIS4_SA_EES4_EEvT1_mT4_T2_T3_.num_vgpr, 32
	.set _ZN7rocprim6detail18single_scan_kernelILb1ENS0_19wrapped_scan_configINS_14default_configE6__halfEEN6hipcub22TransformInputIteratorIS4_NS6_6CastOpIS4_EEPS4_lEESA_NS6_3MaxENS_12future_valueIS4_SA_EES4_EEvT1_mT4_T2_T3_.num_agpr, 0
	.set _ZN7rocprim6detail18single_scan_kernelILb1ENS0_19wrapped_scan_configINS_14default_configE6__halfEEN6hipcub22TransformInputIteratorIS4_NS6_6CastOpIS4_EEPS4_lEESA_NS6_3MaxENS_12future_valueIS4_SA_EES4_EEvT1_mT4_T2_T3_.numbered_sgpr, 56
	.set _ZN7rocprim6detail18single_scan_kernelILb1ENS0_19wrapped_scan_configINS_14default_configE6__halfEEN6hipcub22TransformInputIteratorIS4_NS6_6CastOpIS4_EEPS4_lEESA_NS6_3MaxENS_12future_valueIS4_SA_EES4_EEvT1_mT4_T2_T3_.num_named_barrier, 0
	.set _ZN7rocprim6detail18single_scan_kernelILb1ENS0_19wrapped_scan_configINS_14default_configE6__halfEEN6hipcub22TransformInputIteratorIS4_NS6_6CastOpIS4_EEPS4_lEESA_NS6_3MaxENS_12future_valueIS4_SA_EES4_EEvT1_mT4_T2_T3_.private_seg_size, 0
	.set _ZN7rocprim6detail18single_scan_kernelILb1ENS0_19wrapped_scan_configINS_14default_configE6__halfEEN6hipcub22TransformInputIteratorIS4_NS6_6CastOpIS4_EEPS4_lEESA_NS6_3MaxENS_12future_valueIS4_SA_EES4_EEvT1_mT4_T2_T3_.uses_vcc, 1
	.set _ZN7rocprim6detail18single_scan_kernelILb1ENS0_19wrapped_scan_configINS_14default_configE6__halfEEN6hipcub22TransformInputIteratorIS4_NS6_6CastOpIS4_EEPS4_lEESA_NS6_3MaxENS_12future_valueIS4_SA_EES4_EEvT1_mT4_T2_T3_.uses_flat_scratch, 0
	.set _ZN7rocprim6detail18single_scan_kernelILb1ENS0_19wrapped_scan_configINS_14default_configE6__halfEEN6hipcub22TransformInputIteratorIS4_NS6_6CastOpIS4_EEPS4_lEESA_NS6_3MaxENS_12future_valueIS4_SA_EES4_EEvT1_mT4_T2_T3_.has_dyn_sized_stack, 0
	.set _ZN7rocprim6detail18single_scan_kernelILb1ENS0_19wrapped_scan_configINS_14default_configE6__halfEEN6hipcub22TransformInputIteratorIS4_NS6_6CastOpIS4_EEPS4_lEESA_NS6_3MaxENS_12future_valueIS4_SA_EES4_EEvT1_mT4_T2_T3_.has_recursion, 0
	.set _ZN7rocprim6detail18single_scan_kernelILb1ENS0_19wrapped_scan_configINS_14default_configE6__halfEEN6hipcub22TransformInputIteratorIS4_NS6_6CastOpIS4_EEPS4_lEESA_NS6_3MaxENS_12future_valueIS4_SA_EES4_EEvT1_mT4_T2_T3_.has_indirect_call, 0
	.section	.AMDGPU.csdata,"",@progbits
; Kernel info:
; codeLenInByte = 3840
; TotalNumSgprs: 60
; NumVgprs: 32
; ScratchSize: 0
; MemoryBound: 0
; FloatMode: 240
; IeeeMode: 1
; LDSByteSize: 12288 bytes/workgroup (compile time only)
; SGPRBlocks: 12
; VGPRBlocks: 10
; NumSGPRsForWavesPerEU: 102
; NumVGPRsForWavesPerEU: 41
; Occupancy: 5
; WaveLimiterHint : 0
; COMPUTE_PGM_RSRC2:SCRATCH_EN: 0
; COMPUTE_PGM_RSRC2:USER_SGPR: 6
; COMPUTE_PGM_RSRC2:TRAP_HANDLER: 0
; COMPUTE_PGM_RSRC2:TGID_X_EN: 1
; COMPUTE_PGM_RSRC2:TGID_Y_EN: 0
; COMPUTE_PGM_RSRC2:TGID_Z_EN: 0
; COMPUTE_PGM_RSRC2:TIDIG_COMP_CNT: 0
	.section	.text._ZL18fill_initial_valueI6__halfEvPT_S1_,"axG",@progbits,_ZL18fill_initial_valueI6__halfEvPT_S1_,comdat
	.globl	_ZL18fill_initial_valueI6__halfEvPT_S1_ ; -- Begin function _ZL18fill_initial_valueI6__halfEvPT_S1_
	.p2align	8
	.type	_ZL18fill_initial_valueI6__halfEvPT_S1_,@function
_ZL18fill_initial_valueI6__halfEvPT_S1_: ; @_ZL18fill_initial_valueI6__halfEvPT_S1_
; %bb.0:
	s_load_dword s2, s[4:5], 0x8
	s_load_dwordx2 s[0:1], s[4:5], 0x0
	v_mov_b32_e32 v0, 0
	s_waitcnt lgkmcnt(0)
	v_mov_b32_e32 v1, s2
	global_store_short v0, v1, s[0:1]
	s_endpgm
	.section	.rodata,"a",@progbits
	.p2align	6, 0x0
	.amdhsa_kernel _ZL18fill_initial_valueI6__halfEvPT_S1_
		.amdhsa_group_segment_fixed_size 0
		.amdhsa_private_segment_fixed_size 0
		.amdhsa_kernarg_size 12
		.amdhsa_user_sgpr_count 6
		.amdhsa_user_sgpr_private_segment_buffer 1
		.amdhsa_user_sgpr_dispatch_ptr 0
		.amdhsa_user_sgpr_queue_ptr 0
		.amdhsa_user_sgpr_kernarg_segment_ptr 1
		.amdhsa_user_sgpr_dispatch_id 0
		.amdhsa_user_sgpr_flat_scratch_init 0
		.amdhsa_user_sgpr_private_segment_size 0
		.amdhsa_uses_dynamic_stack 0
		.amdhsa_system_sgpr_private_segment_wavefront_offset 0
		.amdhsa_system_sgpr_workgroup_id_x 1
		.amdhsa_system_sgpr_workgroup_id_y 0
		.amdhsa_system_sgpr_workgroup_id_z 0
		.amdhsa_system_sgpr_workgroup_info 0
		.amdhsa_system_vgpr_workitem_id 0
		.amdhsa_next_free_vgpr 2
		.amdhsa_next_free_sgpr 6
		.amdhsa_reserve_vcc 0
		.amdhsa_reserve_flat_scratch 0
		.amdhsa_float_round_mode_32 0
		.amdhsa_float_round_mode_16_64 0
		.amdhsa_float_denorm_mode_32 3
		.amdhsa_float_denorm_mode_16_64 3
		.amdhsa_dx10_clamp 1
		.amdhsa_ieee_mode 1
		.amdhsa_fp16_overflow 0
		.amdhsa_exception_fp_ieee_invalid_op 0
		.amdhsa_exception_fp_denorm_src 0
		.amdhsa_exception_fp_ieee_div_zero 0
		.amdhsa_exception_fp_ieee_overflow 0
		.amdhsa_exception_fp_ieee_underflow 0
		.amdhsa_exception_fp_ieee_inexact 0
		.amdhsa_exception_int_div_zero 0
	.end_amdhsa_kernel
	.section	.text._ZL18fill_initial_valueI6__halfEvPT_S1_,"axG",@progbits,_ZL18fill_initial_valueI6__halfEvPT_S1_,comdat
.Lfunc_end135:
	.size	_ZL18fill_initial_valueI6__halfEvPT_S1_, .Lfunc_end135-_ZL18fill_initial_valueI6__halfEvPT_S1_
                                        ; -- End function
	.set _ZL18fill_initial_valueI6__halfEvPT_S1_.num_vgpr, 2
	.set _ZL18fill_initial_valueI6__halfEvPT_S1_.num_agpr, 0
	.set _ZL18fill_initial_valueI6__halfEvPT_S1_.numbered_sgpr, 6
	.set _ZL18fill_initial_valueI6__halfEvPT_S1_.num_named_barrier, 0
	.set _ZL18fill_initial_valueI6__halfEvPT_S1_.private_seg_size, 0
	.set _ZL18fill_initial_valueI6__halfEvPT_S1_.uses_vcc, 0
	.set _ZL18fill_initial_valueI6__halfEvPT_S1_.uses_flat_scratch, 0
	.set _ZL18fill_initial_valueI6__halfEvPT_S1_.has_dyn_sized_stack, 0
	.set _ZL18fill_initial_valueI6__halfEvPT_S1_.has_recursion, 0
	.set _ZL18fill_initial_valueI6__halfEvPT_S1_.has_indirect_call, 0
	.section	.AMDGPU.csdata,"",@progbits
; Kernel info:
; codeLenInByte = 40
; TotalNumSgprs: 10
; NumVgprs: 2
; ScratchSize: 0
; MemoryBound: 0
; FloatMode: 240
; IeeeMode: 1
; LDSByteSize: 0 bytes/workgroup (compile time only)
; SGPRBlocks: 1
; VGPRBlocks: 0
; NumSGPRsForWavesPerEU: 10
; NumVGPRsForWavesPerEU: 2
; Occupancy: 10
; WaveLimiterHint : 0
; COMPUTE_PGM_RSRC2:SCRATCH_EN: 0
; COMPUTE_PGM_RSRC2:USER_SGPR: 6
; COMPUTE_PGM_RSRC2:TRAP_HANDLER: 0
; COMPUTE_PGM_RSRC2:TGID_X_EN: 1
; COMPUTE_PGM_RSRC2:TGID_Y_EN: 0
; COMPUTE_PGM_RSRC2:TGID_Z_EN: 0
; COMPUTE_PGM_RSRC2:TIDIG_COMP_CNT: 0
	.section	.text._ZN7rocprim6detail20lookback_scan_kernelILNS0_25lookback_scan_determinismE0ELb1ENS0_19wrapped_scan_configINS_14default_configE12hip_bfloat16EEN6hipcub22TransformInputIteratorIS5_NS7_6CastOpIS5_EEPS5_lEESB_NS7_3MaxENS_12future_valueIS5_SB_EES5_NS0_19lookback_scan_stateIS5_Lb1ELb1EEEEEvT2_T3_mT5_T4_T7_jPT6_SO_bb,"axG",@progbits,_ZN7rocprim6detail20lookback_scan_kernelILNS0_25lookback_scan_determinismE0ELb1ENS0_19wrapped_scan_configINS_14default_configE12hip_bfloat16EEN6hipcub22TransformInputIteratorIS5_NS7_6CastOpIS5_EEPS5_lEESB_NS7_3MaxENS_12future_valueIS5_SB_EES5_NS0_19lookback_scan_stateIS5_Lb1ELb1EEEEEvT2_T3_mT5_T4_T7_jPT6_SO_bb,comdat
	.protected	_ZN7rocprim6detail20lookback_scan_kernelILNS0_25lookback_scan_determinismE0ELb1ENS0_19wrapped_scan_configINS_14default_configE12hip_bfloat16EEN6hipcub22TransformInputIteratorIS5_NS7_6CastOpIS5_EEPS5_lEESB_NS7_3MaxENS_12future_valueIS5_SB_EES5_NS0_19lookback_scan_stateIS5_Lb1ELb1EEEEEvT2_T3_mT5_T4_T7_jPT6_SO_bb ; -- Begin function _ZN7rocprim6detail20lookback_scan_kernelILNS0_25lookback_scan_determinismE0ELb1ENS0_19wrapped_scan_configINS_14default_configE12hip_bfloat16EEN6hipcub22TransformInputIteratorIS5_NS7_6CastOpIS5_EEPS5_lEESB_NS7_3MaxENS_12future_valueIS5_SB_EES5_NS0_19lookback_scan_stateIS5_Lb1ELb1EEEEEvT2_T3_mT5_T4_T7_jPT6_SO_bb
	.globl	_ZN7rocprim6detail20lookback_scan_kernelILNS0_25lookback_scan_determinismE0ELb1ENS0_19wrapped_scan_configINS_14default_configE12hip_bfloat16EEN6hipcub22TransformInputIteratorIS5_NS7_6CastOpIS5_EEPS5_lEESB_NS7_3MaxENS_12future_valueIS5_SB_EES5_NS0_19lookback_scan_stateIS5_Lb1ELb1EEEEEvT2_T3_mT5_T4_T7_jPT6_SO_bb
	.p2align	8
	.type	_ZN7rocprim6detail20lookback_scan_kernelILNS0_25lookback_scan_determinismE0ELb1ENS0_19wrapped_scan_configINS_14default_configE12hip_bfloat16EEN6hipcub22TransformInputIteratorIS5_NS7_6CastOpIS5_EEPS5_lEESB_NS7_3MaxENS_12future_valueIS5_SB_EES5_NS0_19lookback_scan_stateIS5_Lb1ELb1EEEEEvT2_T3_mT5_T4_T7_jPT6_SO_bb,@function
_ZN7rocprim6detail20lookback_scan_kernelILNS0_25lookback_scan_determinismE0ELb1ENS0_19wrapped_scan_configINS_14default_configE12hip_bfloat16EEN6hipcub22TransformInputIteratorIS5_NS7_6CastOpIS5_EEPS5_lEESB_NS7_3MaxENS_12future_valueIS5_SB_EES5_NS0_19lookback_scan_stateIS5_Lb1ELb1EEEEEvT2_T3_mT5_T4_T7_jPT6_SO_bb: ; @_ZN7rocprim6detail20lookback_scan_kernelILNS0_25lookback_scan_determinismE0ELb1ENS0_19wrapped_scan_configINS_14default_configE12hip_bfloat16EEN6hipcub22TransformInputIteratorIS5_NS7_6CastOpIS5_EEPS5_lEESB_NS7_3MaxENS_12future_valueIS5_SB_EES5_NS0_19lookback_scan_stateIS5_Lb1ELb1EEEEEvT2_T3_mT5_T4_T7_jPT6_SO_bb
; %bb.0:
	s_endpgm
	.section	.rodata,"a",@progbits
	.p2align	6, 0x0
	.amdhsa_kernel _ZN7rocprim6detail20lookback_scan_kernelILNS0_25lookback_scan_determinismE0ELb1ENS0_19wrapped_scan_configINS_14default_configE12hip_bfloat16EEN6hipcub22TransformInputIteratorIS5_NS7_6CastOpIS5_EEPS5_lEESB_NS7_3MaxENS_12future_valueIS5_SB_EES5_NS0_19lookback_scan_stateIS5_Lb1ELb1EEEEEvT2_T3_mT5_T4_T7_jPT6_SO_bb
		.amdhsa_group_segment_fixed_size 0
		.amdhsa_private_segment_fixed_size 0
		.amdhsa_kernarg_size 84
		.amdhsa_user_sgpr_count 6
		.amdhsa_user_sgpr_private_segment_buffer 1
		.amdhsa_user_sgpr_dispatch_ptr 0
		.amdhsa_user_sgpr_queue_ptr 0
		.amdhsa_user_sgpr_kernarg_segment_ptr 1
		.amdhsa_user_sgpr_dispatch_id 0
		.amdhsa_user_sgpr_flat_scratch_init 0
		.amdhsa_user_sgpr_private_segment_size 0
		.amdhsa_uses_dynamic_stack 0
		.amdhsa_system_sgpr_private_segment_wavefront_offset 0
		.amdhsa_system_sgpr_workgroup_id_x 1
		.amdhsa_system_sgpr_workgroup_id_y 0
		.amdhsa_system_sgpr_workgroup_id_z 0
		.amdhsa_system_sgpr_workgroup_info 0
		.amdhsa_system_vgpr_workitem_id 0
		.amdhsa_next_free_vgpr 1
		.amdhsa_next_free_sgpr 0
		.amdhsa_reserve_vcc 0
		.amdhsa_reserve_flat_scratch 0
		.amdhsa_float_round_mode_32 0
		.amdhsa_float_round_mode_16_64 0
		.amdhsa_float_denorm_mode_32 3
		.amdhsa_float_denorm_mode_16_64 3
		.amdhsa_dx10_clamp 1
		.amdhsa_ieee_mode 1
		.amdhsa_fp16_overflow 0
		.amdhsa_exception_fp_ieee_invalid_op 0
		.amdhsa_exception_fp_denorm_src 0
		.amdhsa_exception_fp_ieee_div_zero 0
		.amdhsa_exception_fp_ieee_overflow 0
		.amdhsa_exception_fp_ieee_underflow 0
		.amdhsa_exception_fp_ieee_inexact 0
		.amdhsa_exception_int_div_zero 0
	.end_amdhsa_kernel
	.section	.text._ZN7rocprim6detail20lookback_scan_kernelILNS0_25lookback_scan_determinismE0ELb1ENS0_19wrapped_scan_configINS_14default_configE12hip_bfloat16EEN6hipcub22TransformInputIteratorIS5_NS7_6CastOpIS5_EEPS5_lEESB_NS7_3MaxENS_12future_valueIS5_SB_EES5_NS0_19lookback_scan_stateIS5_Lb1ELb1EEEEEvT2_T3_mT5_T4_T7_jPT6_SO_bb,"axG",@progbits,_ZN7rocprim6detail20lookback_scan_kernelILNS0_25lookback_scan_determinismE0ELb1ENS0_19wrapped_scan_configINS_14default_configE12hip_bfloat16EEN6hipcub22TransformInputIteratorIS5_NS7_6CastOpIS5_EEPS5_lEESB_NS7_3MaxENS_12future_valueIS5_SB_EES5_NS0_19lookback_scan_stateIS5_Lb1ELb1EEEEEvT2_T3_mT5_T4_T7_jPT6_SO_bb,comdat
.Lfunc_end136:
	.size	_ZN7rocprim6detail20lookback_scan_kernelILNS0_25lookback_scan_determinismE0ELb1ENS0_19wrapped_scan_configINS_14default_configE12hip_bfloat16EEN6hipcub22TransformInputIteratorIS5_NS7_6CastOpIS5_EEPS5_lEESB_NS7_3MaxENS_12future_valueIS5_SB_EES5_NS0_19lookback_scan_stateIS5_Lb1ELb1EEEEEvT2_T3_mT5_T4_T7_jPT6_SO_bb, .Lfunc_end136-_ZN7rocprim6detail20lookback_scan_kernelILNS0_25lookback_scan_determinismE0ELb1ENS0_19wrapped_scan_configINS_14default_configE12hip_bfloat16EEN6hipcub22TransformInputIteratorIS5_NS7_6CastOpIS5_EEPS5_lEESB_NS7_3MaxENS_12future_valueIS5_SB_EES5_NS0_19lookback_scan_stateIS5_Lb1ELb1EEEEEvT2_T3_mT5_T4_T7_jPT6_SO_bb
                                        ; -- End function
	.set _ZN7rocprim6detail20lookback_scan_kernelILNS0_25lookback_scan_determinismE0ELb1ENS0_19wrapped_scan_configINS_14default_configE12hip_bfloat16EEN6hipcub22TransformInputIteratorIS5_NS7_6CastOpIS5_EEPS5_lEESB_NS7_3MaxENS_12future_valueIS5_SB_EES5_NS0_19lookback_scan_stateIS5_Lb1ELb1EEEEEvT2_T3_mT5_T4_T7_jPT6_SO_bb.num_vgpr, 0
	.set _ZN7rocprim6detail20lookback_scan_kernelILNS0_25lookback_scan_determinismE0ELb1ENS0_19wrapped_scan_configINS_14default_configE12hip_bfloat16EEN6hipcub22TransformInputIteratorIS5_NS7_6CastOpIS5_EEPS5_lEESB_NS7_3MaxENS_12future_valueIS5_SB_EES5_NS0_19lookback_scan_stateIS5_Lb1ELb1EEEEEvT2_T3_mT5_T4_T7_jPT6_SO_bb.num_agpr, 0
	.set _ZN7rocprim6detail20lookback_scan_kernelILNS0_25lookback_scan_determinismE0ELb1ENS0_19wrapped_scan_configINS_14default_configE12hip_bfloat16EEN6hipcub22TransformInputIteratorIS5_NS7_6CastOpIS5_EEPS5_lEESB_NS7_3MaxENS_12future_valueIS5_SB_EES5_NS0_19lookback_scan_stateIS5_Lb1ELb1EEEEEvT2_T3_mT5_T4_T7_jPT6_SO_bb.numbered_sgpr, 0
	.set _ZN7rocprim6detail20lookback_scan_kernelILNS0_25lookback_scan_determinismE0ELb1ENS0_19wrapped_scan_configINS_14default_configE12hip_bfloat16EEN6hipcub22TransformInputIteratorIS5_NS7_6CastOpIS5_EEPS5_lEESB_NS7_3MaxENS_12future_valueIS5_SB_EES5_NS0_19lookback_scan_stateIS5_Lb1ELb1EEEEEvT2_T3_mT5_T4_T7_jPT6_SO_bb.num_named_barrier, 0
	.set _ZN7rocprim6detail20lookback_scan_kernelILNS0_25lookback_scan_determinismE0ELb1ENS0_19wrapped_scan_configINS_14default_configE12hip_bfloat16EEN6hipcub22TransformInputIteratorIS5_NS7_6CastOpIS5_EEPS5_lEESB_NS7_3MaxENS_12future_valueIS5_SB_EES5_NS0_19lookback_scan_stateIS5_Lb1ELb1EEEEEvT2_T3_mT5_T4_T7_jPT6_SO_bb.private_seg_size, 0
	.set _ZN7rocprim6detail20lookback_scan_kernelILNS0_25lookback_scan_determinismE0ELb1ENS0_19wrapped_scan_configINS_14default_configE12hip_bfloat16EEN6hipcub22TransformInputIteratorIS5_NS7_6CastOpIS5_EEPS5_lEESB_NS7_3MaxENS_12future_valueIS5_SB_EES5_NS0_19lookback_scan_stateIS5_Lb1ELb1EEEEEvT2_T3_mT5_T4_T7_jPT6_SO_bb.uses_vcc, 0
	.set _ZN7rocprim6detail20lookback_scan_kernelILNS0_25lookback_scan_determinismE0ELb1ENS0_19wrapped_scan_configINS_14default_configE12hip_bfloat16EEN6hipcub22TransformInputIteratorIS5_NS7_6CastOpIS5_EEPS5_lEESB_NS7_3MaxENS_12future_valueIS5_SB_EES5_NS0_19lookback_scan_stateIS5_Lb1ELb1EEEEEvT2_T3_mT5_T4_T7_jPT6_SO_bb.uses_flat_scratch, 0
	.set _ZN7rocprim6detail20lookback_scan_kernelILNS0_25lookback_scan_determinismE0ELb1ENS0_19wrapped_scan_configINS_14default_configE12hip_bfloat16EEN6hipcub22TransformInputIteratorIS5_NS7_6CastOpIS5_EEPS5_lEESB_NS7_3MaxENS_12future_valueIS5_SB_EES5_NS0_19lookback_scan_stateIS5_Lb1ELb1EEEEEvT2_T3_mT5_T4_T7_jPT6_SO_bb.has_dyn_sized_stack, 0
	.set _ZN7rocprim6detail20lookback_scan_kernelILNS0_25lookback_scan_determinismE0ELb1ENS0_19wrapped_scan_configINS_14default_configE12hip_bfloat16EEN6hipcub22TransformInputIteratorIS5_NS7_6CastOpIS5_EEPS5_lEESB_NS7_3MaxENS_12future_valueIS5_SB_EES5_NS0_19lookback_scan_stateIS5_Lb1ELb1EEEEEvT2_T3_mT5_T4_T7_jPT6_SO_bb.has_recursion, 0
	.set _ZN7rocprim6detail20lookback_scan_kernelILNS0_25lookback_scan_determinismE0ELb1ENS0_19wrapped_scan_configINS_14default_configE12hip_bfloat16EEN6hipcub22TransformInputIteratorIS5_NS7_6CastOpIS5_EEPS5_lEESB_NS7_3MaxENS_12future_valueIS5_SB_EES5_NS0_19lookback_scan_stateIS5_Lb1ELb1EEEEEvT2_T3_mT5_T4_T7_jPT6_SO_bb.has_indirect_call, 0
	.section	.AMDGPU.csdata,"",@progbits
; Kernel info:
; codeLenInByte = 4
; TotalNumSgprs: 4
; NumVgprs: 0
; ScratchSize: 0
; MemoryBound: 0
; FloatMode: 240
; IeeeMode: 1
; LDSByteSize: 0 bytes/workgroup (compile time only)
; SGPRBlocks: 0
; VGPRBlocks: 0
; NumSGPRsForWavesPerEU: 4
; NumVGPRsForWavesPerEU: 1
; Occupancy: 10
; WaveLimiterHint : 0
; COMPUTE_PGM_RSRC2:SCRATCH_EN: 0
; COMPUTE_PGM_RSRC2:USER_SGPR: 6
; COMPUTE_PGM_RSRC2:TRAP_HANDLER: 0
; COMPUTE_PGM_RSRC2:TGID_X_EN: 1
; COMPUTE_PGM_RSRC2:TGID_Y_EN: 0
; COMPUTE_PGM_RSRC2:TGID_Z_EN: 0
; COMPUTE_PGM_RSRC2:TIDIG_COMP_CNT: 0
	.section	.text._ZN7rocprim6detail20lookback_scan_kernelILNS0_25lookback_scan_determinismE0ELb1ENS0_19wrapped_scan_configINS_14default_configE12hip_bfloat16EEN6hipcub22TransformInputIteratorIS5_NS7_6CastOpIS5_EEPS5_lEESB_NS7_3MaxENS_12future_valueIS5_SB_EES5_NS0_19lookback_scan_stateIS5_Lb0ELb1EEEEEvT2_T3_mT5_T4_T7_jPT6_SO_bb,"axG",@progbits,_ZN7rocprim6detail20lookback_scan_kernelILNS0_25lookback_scan_determinismE0ELb1ENS0_19wrapped_scan_configINS_14default_configE12hip_bfloat16EEN6hipcub22TransformInputIteratorIS5_NS7_6CastOpIS5_EEPS5_lEESB_NS7_3MaxENS_12future_valueIS5_SB_EES5_NS0_19lookback_scan_stateIS5_Lb0ELb1EEEEEvT2_T3_mT5_T4_T7_jPT6_SO_bb,comdat
	.protected	_ZN7rocprim6detail20lookback_scan_kernelILNS0_25lookback_scan_determinismE0ELb1ENS0_19wrapped_scan_configINS_14default_configE12hip_bfloat16EEN6hipcub22TransformInputIteratorIS5_NS7_6CastOpIS5_EEPS5_lEESB_NS7_3MaxENS_12future_valueIS5_SB_EES5_NS0_19lookback_scan_stateIS5_Lb0ELb1EEEEEvT2_T3_mT5_T4_T7_jPT6_SO_bb ; -- Begin function _ZN7rocprim6detail20lookback_scan_kernelILNS0_25lookback_scan_determinismE0ELb1ENS0_19wrapped_scan_configINS_14default_configE12hip_bfloat16EEN6hipcub22TransformInputIteratorIS5_NS7_6CastOpIS5_EEPS5_lEESB_NS7_3MaxENS_12future_valueIS5_SB_EES5_NS0_19lookback_scan_stateIS5_Lb0ELb1EEEEEvT2_T3_mT5_T4_T7_jPT6_SO_bb
	.globl	_ZN7rocprim6detail20lookback_scan_kernelILNS0_25lookback_scan_determinismE0ELb1ENS0_19wrapped_scan_configINS_14default_configE12hip_bfloat16EEN6hipcub22TransformInputIteratorIS5_NS7_6CastOpIS5_EEPS5_lEESB_NS7_3MaxENS_12future_valueIS5_SB_EES5_NS0_19lookback_scan_stateIS5_Lb0ELb1EEEEEvT2_T3_mT5_T4_T7_jPT6_SO_bb
	.p2align	8
	.type	_ZN7rocprim6detail20lookback_scan_kernelILNS0_25lookback_scan_determinismE0ELb1ENS0_19wrapped_scan_configINS_14default_configE12hip_bfloat16EEN6hipcub22TransformInputIteratorIS5_NS7_6CastOpIS5_EEPS5_lEESB_NS7_3MaxENS_12future_valueIS5_SB_EES5_NS0_19lookback_scan_stateIS5_Lb0ELb1EEEEEvT2_T3_mT5_T4_T7_jPT6_SO_bb,@function
_ZN7rocprim6detail20lookback_scan_kernelILNS0_25lookback_scan_determinismE0ELb1ENS0_19wrapped_scan_configINS_14default_configE12hip_bfloat16EEN6hipcub22TransformInputIteratorIS5_NS7_6CastOpIS5_EEPS5_lEESB_NS7_3MaxENS_12future_valueIS5_SB_EES5_NS0_19lookback_scan_stateIS5_Lb0ELb1EEEEEvT2_T3_mT5_T4_T7_jPT6_SO_bb: ; @_ZN7rocprim6detail20lookback_scan_kernelILNS0_25lookback_scan_determinismE0ELb1ENS0_19wrapped_scan_configINS_14default_configE12hip_bfloat16EEN6hipcub22TransformInputIteratorIS5_NS7_6CastOpIS5_EEPS5_lEESB_NS7_3MaxENS_12future_valueIS5_SB_EES5_NS0_19lookback_scan_stateIS5_Lb0ELb1EEEEEvT2_T3_mT5_T4_T7_jPT6_SO_bb
; %bb.0:
	s_load_dwordx2 s[0:1], s[4:5], 0x20
	s_load_dword s2, s[4:5], 0x38
	v_mov_b32_e32 v1, 0
	v_lshlrev_b32_e32 v19, 1, v0
	s_waitcnt lgkmcnt(0)
	global_load_ushort v20, v1, s[0:1]
	s_load_dwordx2 s[18:19], s[4:5], 0x0
	s_load_dwordx4 s[12:15], s[4:5], 0x10
	s_add_i32 s2, s2, -1
	s_mul_i32 s3, s2, 0x1800
	s_mul_i32 s0, s6, 0x1800
	s_mov_b32 s1, 0
	s_waitcnt lgkmcnt(0)
	s_sub_u32 s24, s14, s3
	s_subb_u32 s25, s15, 0
	s_cmp_lg_u32 s6, s2
	s_cselect_b64 s[14:15], -1, 0
	s_lshl_b64 s[16:17], s[0:1], 1
	s_add_u32 s2, s18, s16
	s_addc_u32 s3, s19, s17
	s_mov_b64 s[0:1], -1
	s_and_b64 vcc, exec, s[14:15]
	s_cbranch_vccz .LBB137_2
; %bb.1:
	v_mov_b32_e32 v1, s3
	v_add_co_u32_e32 v3, vcc, s2, v19
	v_addc_co_u32_e32 v4, vcc, 0, v1, vcc
	v_add_co_u32_e32 v1, vcc, 0x1000, v3
	v_addc_co_u32_e32 v2, vcc, 0, v4, vcc
	global_load_ushort v5, v19, s[2:3]
	global_load_ushort v6, v19, s[2:3] offset:512
	global_load_ushort v7, v19, s[2:3] offset:1024
	;; [unrolled: 1-line block ×7, first 2 shown]
	global_load_ushort v13, v[1:2], off
	global_load_ushort v14, v[1:2], off offset:512
	global_load_ushort v15, v[1:2], off offset:1024
	;; [unrolled: 1-line block ×7, first 2 shown]
	v_add_co_u32_e32 v1, vcc, 0x2000, v3
	v_addc_co_u32_e32 v2, vcc, 0, v4, vcc
	global_load_ushort v3, v[1:2], off
	global_load_ushort v4, v[1:2], off offset:512
	global_load_ushort v23, v[1:2], off offset:1024
	;; [unrolled: 1-line block ×7, first 2 shown]
	s_mov_b64 s[0:1], 0
	s_waitcnt vmcnt(23)
	ds_write_b16 v19, v5
	s_waitcnt vmcnt(22)
	ds_write_b16 v19, v6 offset:512
	s_waitcnt vmcnt(21)
	ds_write_b16 v19, v7 offset:1024
	s_waitcnt vmcnt(20)
	ds_write_b16 v19, v8 offset:1536
	s_waitcnt vmcnt(19)
	ds_write_b16 v19, v9 offset:2048
	s_waitcnt vmcnt(18)
	ds_write_b16 v19, v10 offset:2560
	s_waitcnt vmcnt(17)
	ds_write_b16 v19, v11 offset:3072
	s_waitcnt vmcnt(16)
	ds_write_b16 v19, v12 offset:3584
	s_waitcnt vmcnt(15)
	ds_write_b16 v19, v13 offset:4096
	s_waitcnt vmcnt(14)
	ds_write_b16 v19, v14 offset:4608
	s_waitcnt vmcnt(13)
	ds_write_b16 v19, v15 offset:5120
	s_waitcnt vmcnt(12)
	ds_write_b16 v19, v16 offset:5632
	s_waitcnt vmcnt(11)
	ds_write_b16 v19, v17 offset:6144
	s_waitcnt vmcnt(10)
	ds_write_b16 v19, v18 offset:6656
	s_waitcnt vmcnt(9)
	ds_write_b16 v19, v21 offset:7168
	s_waitcnt vmcnt(8)
	ds_write_b16 v19, v22 offset:7680
	s_waitcnt vmcnt(7)
	ds_write_b16 v19, v3 offset:8192
	s_waitcnt vmcnt(6)
	ds_write_b16 v19, v4 offset:8704
	s_waitcnt vmcnt(5)
	ds_write_b16 v19, v23 offset:9216
	s_waitcnt vmcnt(4)
	ds_write_b16 v19, v24 offset:9728
	s_waitcnt vmcnt(3)
	ds_write_b16 v19, v25 offset:10240
	s_waitcnt vmcnt(2)
	ds_write_b16 v19, v26 offset:10752
	s_waitcnt vmcnt(1)
	ds_write_b16 v19, v27 offset:11264
	s_waitcnt vmcnt(0)
	ds_write_b16 v19, v28 offset:11776
	s_waitcnt lgkmcnt(0)
	s_barrier
.LBB137_2:
	s_andn2_b64 vcc, exec, s[0:1]
	v_cmp_gt_u32_e64 s[0:1], s24, v0
	s_cbranch_vccnz .LBB137_52
; %bb.3:
	v_mov_b32_e32 v1, 0
	global_load_ushort v3, v1, s[2:3]
	v_mov_b32_e32 v2, s3
	v_add_co_u32_e32 v1, vcc, s2, v19
	v_addc_co_u32_e32 v2, vcc, 0, v2, vcc
	s_waitcnt vmcnt(0)
	v_mov_b32_e32 v4, v3
	s_and_saveexec_b64 s[2:3], s[0:1]
	s_cbranch_execz .LBB137_5
; %bb.4:
	global_load_ushort v4, v[1:2], off
.LBB137_5:
	s_or_b64 exec, exec, s[2:3]
	v_or_b32_e32 v5, 0x100, v0
	v_cmp_gt_u32_e32 vcc, s24, v5
	v_mov_b32_e32 v5, v3
	s_and_saveexec_b64 s[0:1], vcc
	s_cbranch_execz .LBB137_7
; %bb.6:
	global_load_ushort v5, v[1:2], off offset:512
.LBB137_7:
	s_or_b64 exec, exec, s[0:1]
	v_or_b32_e32 v6, 0x200, v0
	v_cmp_gt_u32_e32 vcc, s24, v6
	v_mov_b32_e32 v6, v3
	s_and_saveexec_b64 s[0:1], vcc
	s_cbranch_execz .LBB137_9
; %bb.8:
	global_load_ushort v6, v[1:2], off offset:1024
.LBB137_9:
	;; [unrolled: 9-line block ×7, first 2 shown]
	s_or_b64 exec, exec, s[0:1]
	v_or_b32_e32 v12, 0x800, v0
	v_cmp_gt_u32_e32 vcc, s24, v12
	v_mov_b32_e32 v12, v3
	s_and_saveexec_b64 s[0:1], vcc
	s_cbranch_execz .LBB137_21
; %bb.20:
	v_add_co_u32_e32 v12, vcc, 0x1000, v1
	v_addc_co_u32_e32 v13, vcc, 0, v2, vcc
	global_load_ushort v12, v[12:13], off
.LBB137_21:
	s_or_b64 exec, exec, s[0:1]
	v_or_b32_e32 v13, 0x900, v0
	v_cmp_gt_u32_e32 vcc, s24, v13
	v_mov_b32_e32 v13, v3
	s_and_saveexec_b64 s[0:1], vcc
	s_cbranch_execz .LBB137_23
; %bb.22:
	v_add_co_u32_e32 v13, vcc, 0x1000, v1
	v_addc_co_u32_e32 v14, vcc, 0, v2, vcc
	global_load_ushort v13, v[13:14], off offset:512
.LBB137_23:
	s_or_b64 exec, exec, s[0:1]
	v_or_b32_e32 v14, 0xa00, v0
	v_cmp_gt_u32_e32 vcc, s24, v14
	v_mov_b32_e32 v14, v3
	s_and_saveexec_b64 s[0:1], vcc
	s_cbranch_execz .LBB137_25
; %bb.24:
	v_add_co_u32_e32 v14, vcc, 0x1000, v1
	v_addc_co_u32_e32 v15, vcc, 0, v2, vcc
	global_load_ushort v14, v[14:15], off offset:1024
.LBB137_25:
	;; [unrolled: 11-line block ×7, first 2 shown]
	s_or_b64 exec, exec, s[0:1]
	v_or_b32_e32 v22, 0x1000, v0
	v_cmp_gt_u32_e32 vcc, s24, v22
	v_mov_b32_e32 v22, v3
	s_and_saveexec_b64 s[0:1], vcc
	s_cbranch_execz .LBB137_37
; %bb.36:
	v_add_co_u32_e32 v22, vcc, 0x2000, v1
	v_addc_co_u32_e32 v23, vcc, 0, v2, vcc
	global_load_ushort v22, v[22:23], off
.LBB137_37:
	s_or_b64 exec, exec, s[0:1]
	v_or_b32_e32 v23, 0x1100, v0
	v_cmp_gt_u32_e32 vcc, s24, v23
	v_mov_b32_e32 v23, v3
	s_and_saveexec_b64 s[0:1], vcc
	s_cbranch_execz .LBB137_39
; %bb.38:
	v_add_co_u32_e32 v23, vcc, 0x2000, v1
	v_addc_co_u32_e32 v24, vcc, 0, v2, vcc
	global_load_ushort v23, v[23:24], off offset:512
.LBB137_39:
	s_or_b64 exec, exec, s[0:1]
	v_or_b32_e32 v24, 0x1200, v0
	v_cmp_gt_u32_e32 vcc, s24, v24
	v_mov_b32_e32 v24, v3
	s_and_saveexec_b64 s[0:1], vcc
	s_cbranch_execz .LBB137_41
; %bb.40:
	v_add_co_u32_e32 v24, vcc, 0x2000, v1
	v_addc_co_u32_e32 v25, vcc, 0, v2, vcc
	global_load_ushort v24, v[24:25], off offset:1024
.LBB137_41:
	;; [unrolled: 11-line block ×6, first 2 shown]
	s_or_b64 exec, exec, s[0:1]
	v_or_b32_e32 v29, 0x1700, v0
	v_cmp_gt_u32_e32 vcc, s24, v29
	s_and_saveexec_b64 s[0:1], vcc
	s_cbranch_execz .LBB137_51
; %bb.50:
	v_add_co_u32_e32 v1, vcc, 0x2000, v1
	v_addc_co_u32_e32 v2, vcc, 0, v2, vcc
	global_load_ushort v3, v[1:2], off offset:3584
.LBB137_51:
	s_or_b64 exec, exec, s[0:1]
	s_waitcnt vmcnt(0)
	ds_write_b16 v19, v4
	ds_write_b16 v19, v5 offset:512
	ds_write_b16 v19, v6 offset:1024
	;; [unrolled: 1-line block ×23, first 2 shown]
	s_waitcnt lgkmcnt(0)
	s_barrier
.LBB137_52:
	v_mul_u32_u24_e32 v21, 48, v0
	ds_read_b128 v[9:12], v21
	ds_read_b128 v[5:8], v21 offset:16
	ds_read_b128 v[1:4], v21 offset:32
	s_load_dwordx2 s[20:21], s[4:5], 0x30
	s_cmp_lg_u32 s6, 0
	v_mbcnt_lo_u32_b32 v59, -1, 0
	s_waitcnt lgkmcnt(0)
	v_lshrrev_b32_e32 v47, 16, v9
	v_lshrrev_b32_e32 v44, 16, v10
	v_lshrrev_b32_e32 v40, 16, v11
	v_lshrrev_b32_e32 v37, 16, v12
	v_lshrrev_b32_e32 v31, 16, v5
	v_lshrrev_b32_e32 v28, 16, v6
	v_lshrrev_b32_e32 v26, 16, v7
	v_lshrrev_b32_e32 v25, 16, v8
	v_lshrrev_b32_e32 v24, 16, v1
	v_lshrrev_b32_e32 v23, 16, v2
	v_lshrrev_b32_e32 v22, 16, v3
	v_lshrrev_b32_e32 v58, 16, v4
	v_lshlrev_b32_e32 v55, 16, v9
	v_lshlrev_b32_e32 v54, 16, v47
	;; [unrolled: 1-line block ×17, first 2 shown]
	v_cmp_lt_f32_e32 vcc, v55, v54
	v_lshlrev_b32_e32 v36, 16, v24
	v_lshlrev_b32_e32 v34, 16, v2
	;; [unrolled: 1-line block ×7, first 2 shown]
	v_lshrrev_b32_e32 v56, 6, v0
	v_or_b32_e32 v57, 63, v0
	s_waitcnt vmcnt(0)
	s_barrier
	s_cbranch_scc0 .LBB137_78
; %bb.53:
	v_cndmask_b32_e32 v13, v9, v47, vcc
	v_lshlrev_b32_e32 v14, 16, v13
	v_cmp_lt_f32_e32 vcc, v14, v53
	v_cndmask_b32_e32 v13, v13, v10, vcc
	v_lshlrev_b32_e32 v14, 16, v13
	v_cmp_lt_f32_e32 vcc, v14, v52
	;; [unrolled: 3-line block ×22, first 2 shown]
	v_cndmask_b32_e32 v13, v13, v58, vcc
	v_and_b32_e32 v15, 0xffff, v13
	v_lshlrev_b32_e32 v61, 16, v13
	v_mbcnt_hi_u32_b32 v18, -1, v59
	v_mov_b32_dpp v16, v15 row_shr:1 row_mask:0xf bank_mask:0xf
	v_lshlrev_b32_e32 v17, 16, v16
	v_cmp_lt_f32_e32 vcc, v17, v61
	v_and_b32_e32 v14, 15, v18
	v_cndmask_b32_e32 v16, v16, v13, vcc
	v_and_b32_e32 v17, 0xffff, v16
	v_cmp_eq_u32_e32 vcc, 0, v14
	v_cndmask_b32_e32 v15, v17, v15, vcc
	v_cndmask_b32_e32 v13, v16, v13, vcc
	v_lshlrev_b32_e32 v61, 16, v15
	v_mov_b32_dpp v16, v15 row_shr:2 row_mask:0xf bank_mask:0xf
	v_lshlrev_b32_e32 v17, 16, v16
	v_cmp_lt_f32_e32 vcc, v17, v61
	v_cndmask_b32_e32 v16, v16, v13, vcc
	v_and_b32_e32 v17, 0xffff, v16
	v_cmp_lt_u32_e32 vcc, 1, v14
	v_cndmask_b32_e32 v15, v15, v17, vcc
	v_cndmask_b32_e32 v13, v13, v16, vcc
	v_lshlrev_b32_e32 v61, 16, v15
	v_mov_b32_dpp v16, v15 row_shr:4 row_mask:0xf bank_mask:0xf
	v_lshlrev_b32_e32 v17, 16, v16
	v_cmp_lt_f32_e32 vcc, v17, v61
	v_cndmask_b32_e32 v16, v16, v13, vcc
	v_and_b32_e32 v17, 0xffff, v16
	v_cmp_lt_u32_e32 vcc, 3, v14
	;; [unrolled: 9-line block ×3, first 2 shown]
	v_cndmask_b32_e32 v14, v15, v17, vcc
	v_lshlrev_b32_e32 v61, 16, v14
	v_cndmask_b32_e32 v13, v13, v16, vcc
	v_mov_b32_dpp v15, v14 row_bcast:15 row_mask:0xf bank_mask:0xf
	v_lshlrev_b32_e32 v17, 16, v15
	v_cmp_lt_f32_e32 vcc, v17, v61
	v_and_b32_e32 v16, 16, v18
	v_cndmask_b32_e32 v15, v15, v13, vcc
	v_and_b32_e32 v17, 0xffff, v15
	v_cmp_eq_u32_e32 vcc, 0, v16
	v_cndmask_b32_e32 v14, v17, v14, vcc
	v_cndmask_b32_e32 v13, v15, v13, vcc
	s_nop 0
	v_mov_b32_dpp v15, v14 row_bcast:31 row_mask:0xf bank_mask:0xf
	v_lshlrev_b32_e32 v16, 16, v15
	v_lshlrev_b32_e32 v14, 16, v14
	v_cmp_lt_f32_e32 vcc, v16, v14
	v_cndmask_b32_e32 v14, v15, v13, vcc
	v_cmp_lt_u32_e32 vcc, 31, v18
	v_cndmask_b32_e32 v13, v13, v14, vcc
	v_cmp_eq_u32_e32 vcc, v0, v57
	s_and_saveexec_b64 s[0:1], vcc
; %bb.54:
	v_lshlrev_b32_e32 v14, 1, v56
	ds_write_b16 v14, v13
; %bb.55:
	s_or_b64 exec, exec, s[0:1]
	v_cmp_gt_u32_e32 vcc, 4, v0
	s_waitcnt lgkmcnt(0)
	s_barrier
	s_and_saveexec_b64 s[0:1], vcc
	s_cbranch_execz .LBB137_57
; %bb.56:
	ds_read_u16 v14, v19
	v_and_b32_e32 v15, 3, v18
	s_waitcnt lgkmcnt(0)
	v_and_b32_e32 v16, 0xffff, v14
	s_nop 1
	v_mov_b32_dpp v61, v16 row_shr:1 row_mask:0xf bank_mask:0xf
	v_lshlrev_b32_e32 v17, 16, v14
	v_lshlrev_b32_e32 v62, 16, v61
	v_cmp_lt_f32_e32 vcc, v62, v17
	v_cndmask_b32_e32 v17, v61, v14, vcc
	v_and_b32_e32 v61, 0xffff, v17
	v_cmp_eq_u32_e32 vcc, 0, v15
	v_cndmask_b32_e32 v16, v61, v16, vcc
	v_cndmask_b32_e32 v14, v17, v14, vcc
	s_nop 0
	v_mov_b32_dpp v17, v16 row_shr:2 row_mask:0xf bank_mask:0xf
	v_lshlrev_b32_e32 v61, 16, v17
	v_lshlrev_b32_e32 v16, 16, v16
	v_cmp_lt_f32_e32 vcc, v61, v16
	v_cndmask_b32_e32 v16, v17, v14, vcc
	v_cmp_lt_u32_e32 vcc, 1, v15
	v_cndmask_b32_e32 v14, v14, v16, vcc
	ds_write_b16 v19, v14
.LBB137_57:
	s_or_b64 exec, exec, s[0:1]
	v_cmp_gt_u32_e32 vcc, 64, v0
	v_cmp_lt_u32_e64 s[0:1], 63, v0
	s_waitcnt lgkmcnt(0)
	s_barrier
                                        ; implicit-def: $vgpr61
	s_and_saveexec_b64 s[2:3], s[0:1]
	s_cbranch_execz .LBB137_59
; %bb.58:
	v_lshl_add_u32 v14, v56, 1, -2
	ds_read_u16 v61, v14
	v_lshlrev_b32_e32 v14, 16, v13
	s_waitcnt lgkmcnt(0)
	v_lshlrev_b32_e32 v15, 16, v61
	v_cmp_lt_f32_e64 s[0:1], v15, v14
	v_cndmask_b32_e64 v13, v61, v13, s[0:1]
.LBB137_59:
	s_or_b64 exec, exec, s[2:3]
	v_subrev_co_u32_e64 v14, s[0:1], 1, v18
	v_and_b32_e32 v15, 64, v18
	v_cmp_lt_i32_e64 s[2:3], v14, v15
	v_cndmask_b32_e64 v14, v14, v18, s[2:3]
	v_lshlrev_b32_e32 v14, 2, v14
	v_and_b32_e32 v13, 0xffff, v13
	ds_bpermute_b32 v62, v14, v13
	s_and_saveexec_b64 s[22:23], vcc
	s_cbranch_execz .LBB137_83
; %bb.60:
	v_mov_b32_e32 v15, 0
	ds_read_u16 v64, v15 offset:6
	s_waitcnt lgkmcnt(0)
	v_and_b32_e32 v63, 0xffff, v64
	s_and_saveexec_b64 s[2:3], s[0:1]
	s_cbranch_execz .LBB137_62
; %bb.61:
	s_add_i32 s8, s6, 64
	s_mov_b32 s9, 0
	s_lshl_b64 s[8:9], s[8:9], 2
	s_add_u32 s8, s20, s8
	v_or_b32_e32 v13, 0x10000, v63
	s_addc_u32 s9, s21, s9
	global_store_dword v15, v13, s[8:9]
.LBB137_62:
	s_or_b64 exec, exec, s[2:3]
	v_xad_u32 v13, v18, -1, s6
	v_add_u32_e32 v14, 64, v13
	v_lshlrev_b64 v[16:17], 2, v[14:15]
	v_mov_b32_e32 v14, s21
	v_add_co_u32_e32 v16, vcc, s20, v16
	v_addc_co_u32_e32 v17, vcc, v14, v17, vcc
	global_load_dword v80, v[16:17], off glc
	s_waitcnt vmcnt(0)
	v_lshrrev_b32_e32 v65, 16, v80
	v_cmp_eq_u16_sdwa s[8:9], v65, v15 src0_sel:BYTE_0 src1_sel:DWORD
	s_and_saveexec_b64 s[2:3], s[8:9]
	s_cbranch_execz .LBB137_66
; %bb.63:
	s_mov_b64 s[8:9], 0
	v_mov_b32_e32 v14, 0
.LBB137_64:                             ; =>This Inner Loop Header: Depth=1
	global_load_dword v80, v[16:17], off glc
	s_waitcnt vmcnt(0)
	v_lshrrev_b32_e32 v65, 16, v80
	v_cmp_ne_u16_sdwa s[10:11], v65, v14 src0_sel:BYTE_0 src1_sel:DWORD
	s_or_b64 s[8:9], s[10:11], s[8:9]
	s_andn2_b64 exec, exec, s[8:9]
	s_cbranch_execnz .LBB137_64
; %bb.65:
	s_or_b64 exec, exec, s[8:9]
.LBB137_66:
	s_or_b64 exec, exec, s[2:3]
	v_and_b32_e32 v75, 63, v18
	v_cmp_ne_u32_e32 vcc, 63, v75
	v_addc_co_u32_e32 v67, vcc, 0, v18, vcc
	v_mov_b32_e32 v66, 2
	v_lshlrev_b64 v[15:16], v18, -1
	v_lshlrev_b32_e32 v67, 2, v67
	v_and_b32_e32 v69, 0xffff, v80
	v_cmp_eq_u16_sdwa s[2:3], v65, v66 src0_sel:BYTE_0 src1_sel:DWORD
	ds_bpermute_b32 v70, v67, v69
	v_and_b32_e32 v14, s3, v16
	v_or_b32_e32 v14, 0x80000000, v14
	v_and_b32_e32 v17, s2, v15
	v_ffbl_b32_e32 v14, v14
	v_add_u32_e32 v14, 32, v14
	v_ffbl_b32_e32 v17, v17
	v_min_u32_e32 v82, v17, v14
	s_waitcnt lgkmcnt(0)
	v_lshlrev_b32_e32 v14, 16, v70
	v_lshlrev_b32_e32 v17, 16, v80
	v_cmp_lt_f32_e32 vcc, v14, v17
	v_add_u32_e32 v68, 1, v18
	v_cndmask_b32_e32 v14, v70, v80, vcc
	v_and_b32_e32 v17, 0xffff, v14
	v_cmp_le_u32_e32 vcc, v68, v82
	v_cmp_gt_u32_e64 s[2:3], 62, v75
	v_cndmask_b32_e32 v17, v69, v17, vcc
	v_cndmask_b32_e64 v69, 0, 2, s[2:3]
	v_add_lshl_u32 v69, v69, v18, 2
	ds_bpermute_b32 v71, v69, v17
	v_lshlrev_b32_e32 v73, 16, v17
	v_cndmask_b32_e32 v14, v80, v14, vcc
	v_add_u32_e32 v70, 2, v18
	v_cmp_gt_u32_e64 s[8:9], 60, v75
	s_waitcnt lgkmcnt(0)
	v_lshlrev_b32_e32 v72, 16, v71
	v_cmp_lt_f32_e64 s[2:3], v72, v73
	v_cndmask_b32_e64 v72, v71, v14, s[2:3]
	v_and_b32_e32 v71, 0xffff, v72
	v_cmp_le_u32_e64 s[2:3], v70, v82
	v_cndmask_b32_e64 v17, v17, v71, s[2:3]
	v_cndmask_b32_e64 v71, 0, 4, s[8:9]
	v_add_lshl_u32 v71, v71, v18, 2
	ds_bpermute_b32 v73, v71, v17
	v_lshlrev_b32_e32 v76, 16, v17
	v_cndmask_b32_e64 v14, v14, v72, s[2:3]
	v_add_u32_e32 v72, 4, v18
	v_cmp_gt_u32_e64 s[10:11], 56, v75
	s_waitcnt lgkmcnt(0)
	v_lshlrev_b32_e32 v74, 16, v73
	v_cmp_lt_f32_e64 s[8:9], v74, v76
	v_cndmask_b32_e64 v74, v73, v14, s[8:9]
	v_and_b32_e32 v73, 0xffff, v74
	v_cmp_le_u32_e64 s[8:9], v72, v82
	v_cndmask_b32_e64 v17, v17, v73, s[8:9]
	v_cndmask_b32_e64 v73, 0, 8, s[10:11]
	v_add_lshl_u32 v73, v73, v18, 2
	ds_bpermute_b32 v76, v73, v17
	v_lshlrev_b32_e32 v78, 16, v17
	s_or_b64 s[2:3], vcc, s[2:3]
	v_cndmask_b32_e64 v14, v14, v74, s[8:9]
	v_add_u32_e32 v74, 8, v18
	s_waitcnt lgkmcnt(0)
	v_lshlrev_b32_e32 v77, 16, v76
	v_cmp_lt_f32_e32 vcc, v77, v78
	v_cndmask_b32_e32 v76, v76, v14, vcc
	s_or_b64 s[8:9], s[8:9], s[2:3]
	v_and_b32_e32 v77, 0xffff, v76
	v_cmp_le_u32_e32 vcc, v74, v82
	v_cmp_gt_u32_e64 s[2:3], 48, v75
	v_cndmask_b32_e32 v77, v17, v77, vcc
	v_cndmask_b32_e64 v17, 0, 16, s[2:3]
	v_add_lshl_u32 v75, v17, v18, 2
	ds_bpermute_b32 v17, v75, v77
	v_lshlrev_b32_e32 v79, 16, v77
	v_cndmask_b32_e32 v14, v14, v76, vcc
	v_add_u32_e32 v76, 16, v18
	s_or_b64 s[8:9], vcc, s[8:9]
	s_waitcnt lgkmcnt(0)
	v_lshlrev_b32_e32 v78, 16, v17
	v_cmp_lt_f32_e64 s[2:3], v78, v79
	v_cmp_le_u32_e32 vcc, v76, v82
	v_cndmask_b32_e64 v17, v17, v14, s[2:3]
	v_mov_b32_e32 v78, 0x80
	v_cndmask_b32_sdwa v77, v77, v17, vcc dst_sel:DWORD dst_unused:UNUSED_PAD src0_sel:DWORD src1_sel:WORD_0
	v_lshl_or_b32 v78, v18, 2, v78
	ds_bpermute_b32 v81, v78, v77
	v_add_u32_e32 v79, 32, v18
	s_or_b64 s[8:9], vcc, s[8:9]
	v_cmp_le_u32_e64 s[2:3], v79, v82
	s_or_b64 s[10:11], s[2:3], s[8:9]
	s_and_saveexec_b64 s[8:9], s[10:11]
	s_cbranch_execz .LBB137_68
; %bb.67:
	s_waitcnt lgkmcnt(0)
	v_lshlrev_b32_e32 v18, 16, v81
	v_lshlrev_b32_e32 v77, 16, v77
	v_cndmask_b32_e32 v14, v14, v17, vcc
	v_cmp_lt_f32_e32 vcc, v18, v77
	v_cndmask_b32_e32 v17, v81, v14, vcc
	v_cndmask_b32_e64 v80, v14, v17, s[2:3]
.LBB137_68:
	s_or_b64 exec, exec, s[8:9]
	v_mov_b32_e32 v14, 0
	s_branch .LBB137_71
.LBB137_69:                             ;   in Loop: Header=BB137_71 Depth=1
	s_or_b64 exec, exec, s[8:9]
	v_lshlrev_b32_e32 v17, 16, v80
	v_lshlrev_b32_e32 v18, 16, v77
	v_cmp_lt_f32_e32 vcc, v17, v18
	v_subrev_u32_e32 v13, 64, v13
	v_cndmask_b32_e32 v80, v80, v77, vcc
	s_mov_b64 s[2:3], 0
.LBB137_70:                             ;   in Loop: Header=BB137_71 Depth=1
	s_and_b64 vcc, exec, s[2:3]
	s_cbranch_vccnz .LBB137_79
.LBB137_71:                             ; =>This Loop Header: Depth=1
                                        ;     Child Loop BB137_74 Depth 2
	v_cmp_ne_u16_sdwa s[2:3], v65, v66 src0_sel:BYTE_0 src1_sel:DWORD
	v_mov_b32_e32 v77, v80
	s_cmp_lg_u64 s[2:3], exec
	s_mov_b64 s[2:3], -1
                                        ; implicit-def: $vgpr80
                                        ; implicit-def: $vgpr65
	s_cbranch_scc1 .LBB137_70
; %bb.72:                               ;   in Loop: Header=BB137_71 Depth=1
	v_lshlrev_b64 v[17:18], 2, v[13:14]
	v_mov_b32_e32 v65, s21
	v_add_co_u32_e32 v17, vcc, s20, v17
	v_addc_co_u32_e32 v18, vcc, v65, v18, vcc
	global_load_dword v80, v[17:18], off glc
	s_waitcnt vmcnt(0)
	v_lshrrev_b32_e32 v65, 16, v80
	v_cmp_eq_u16_sdwa s[8:9], v65, v14 src0_sel:BYTE_0 src1_sel:DWORD
	s_and_saveexec_b64 s[2:3], s[8:9]
	s_cbranch_execz .LBB137_76
; %bb.73:                               ;   in Loop: Header=BB137_71 Depth=1
	s_mov_b64 s[8:9], 0
.LBB137_74:                             ;   Parent Loop BB137_71 Depth=1
                                        ; =>  This Inner Loop Header: Depth=2
	global_load_dword v80, v[17:18], off glc
	s_waitcnt vmcnt(0)
	v_lshrrev_b32_e32 v65, 16, v80
	v_cmp_ne_u16_sdwa s[10:11], v65, v14 src0_sel:BYTE_0 src1_sel:DWORD
	s_or_b64 s[8:9], s[10:11], s[8:9]
	s_andn2_b64 exec, exec, s[8:9]
	s_cbranch_execnz .LBB137_74
; %bb.75:                               ;   in Loop: Header=BB137_71 Depth=1
	s_or_b64 exec, exec, s[8:9]
.LBB137_76:                             ;   in Loop: Header=BB137_71 Depth=1
	s_or_b64 exec, exec, s[2:3]
	s_waitcnt lgkmcnt(0)
	v_and_b32_e32 v81, 0xffff, v80
	v_cmp_eq_u16_sdwa s[2:3], v65, v66 src0_sel:BYTE_0 src1_sel:DWORD
	ds_bpermute_b32 v82, v67, v81
	v_and_b32_e32 v17, s3, v16
	v_or_b32_e32 v17, 0x80000000, v17
	v_and_b32_e32 v18, s2, v15
	v_ffbl_b32_e32 v17, v17
	v_add_u32_e32 v17, 32, v17
	v_ffbl_b32_e32 v18, v18
	v_min_u32_e32 v83, v18, v17
	s_waitcnt lgkmcnt(0)
	v_lshlrev_b32_e32 v17, 16, v82
	v_lshlrev_b32_e32 v18, 16, v80
	v_cmp_lt_f32_e32 vcc, v17, v18
	v_cndmask_b32_e32 v17, v82, v80, vcc
	v_and_b32_e32 v18, 0xffff, v17
	v_cmp_le_u32_e32 vcc, v68, v83
	v_cndmask_b32_e32 v18, v81, v18, vcc
	ds_bpermute_b32 v81, v69, v18
	v_lshlrev_b32_e32 v84, 16, v18
	v_cndmask_b32_e32 v17, v80, v17, vcc
	s_waitcnt lgkmcnt(0)
	v_lshlrev_b32_e32 v82, 16, v81
	v_cmp_lt_f32_e64 s[2:3], v82, v84
	v_cndmask_b32_e64 v81, v81, v17, s[2:3]
	v_and_b32_e32 v82, 0xffff, v81
	v_cmp_le_u32_e64 s[2:3], v70, v83
	v_cndmask_b32_e64 v18, v18, v82, s[2:3]
	ds_bpermute_b32 v82, v71, v18
	v_cndmask_b32_e64 v17, v17, v81, s[2:3]
	v_lshlrev_b32_e32 v84, 16, v18
	s_or_b64 s[2:3], vcc, s[2:3]
	v_cmp_le_u32_e32 vcc, v76, v83
	s_waitcnt lgkmcnt(0)
	v_lshlrev_b32_e32 v81, 16, v82
	v_cmp_lt_f32_e64 s[8:9], v81, v84
	v_cndmask_b32_e64 v81, v82, v17, s[8:9]
	v_and_b32_e32 v82, 0xffff, v81
	v_cmp_le_u32_e64 s[8:9], v72, v83
	v_cndmask_b32_e64 v18, v18, v82, s[8:9]
	ds_bpermute_b32 v82, v73, v18
	v_cndmask_b32_e64 v17, v17, v81, s[8:9]
	v_lshlrev_b32_e32 v84, 16, v18
	s_or_b64 s[8:9], s[8:9], s[2:3]
	s_waitcnt lgkmcnt(0)
	v_lshlrev_b32_e32 v81, 16, v82
	v_cmp_lt_f32_e64 s[10:11], v81, v84
	v_cndmask_b32_e64 v81, v82, v17, s[10:11]
	v_and_b32_e32 v82, 0xffff, v81
	v_cmp_le_u32_e64 s[10:11], v74, v83
	v_cndmask_b32_e64 v82, v18, v82, s[10:11]
	ds_bpermute_b32 v18, v75, v82
	v_cndmask_b32_e64 v17, v17, v81, s[10:11]
	v_lshlrev_b32_e32 v84, 16, v82
	s_waitcnt lgkmcnt(0)
	v_lshlrev_b32_e32 v81, 16, v18
	v_cmp_lt_f32_e64 s[2:3], v81, v84
	v_cndmask_b32_e64 v18, v18, v17, s[2:3]
	v_cndmask_b32_sdwa v82, v82, v18, vcc dst_sel:DWORD dst_unused:UNUSED_PAD src0_sel:DWORD src1_sel:WORD_0
	ds_bpermute_b32 v81, v78, v82
	s_or_b64 s[2:3], s[10:11], s[8:9]
	s_or_b64 s[8:9], vcc, s[2:3]
	v_cmp_le_u32_e64 s[2:3], v79, v83
	s_or_b64 s[10:11], s[2:3], s[8:9]
	s_and_saveexec_b64 s[8:9], s[10:11]
	s_cbranch_execz .LBB137_69
; %bb.77:                               ;   in Loop: Header=BB137_71 Depth=1
	s_waitcnt lgkmcnt(0)
	v_lshlrev_b32_e32 v80, 16, v81
	v_lshlrev_b32_e32 v82, 16, v82
	v_cndmask_b32_e32 v17, v17, v18, vcc
	v_cmp_lt_f32_e32 vcc, v80, v82
	v_cndmask_b32_e32 v18, v81, v17, vcc
	v_cndmask_b32_e64 v80, v17, v18, s[2:3]
	s_branch .LBB137_69
.LBB137_78:
                                        ; implicit-def: $vgpr14
                                        ; implicit-def: $vgpr13
                                        ; implicit-def: $vgpr15
                                        ; implicit-def: $vgpr16
                                        ; implicit-def: $vgpr17
                                        ; implicit-def: $vgpr18
                                        ; implicit-def: $vgpr61
                                        ; implicit-def: $vgpr63
                                        ; implicit-def: $vgpr62
                                        ; implicit-def: $vgpr64
                                        ; implicit-def: $vgpr65
                                        ; implicit-def: $vgpr66
                                        ; implicit-def: $vgpr67
                                        ; implicit-def: $vgpr68
                                        ; implicit-def: $vgpr69
                                        ; implicit-def: $vgpr71
                                        ; implicit-def: $vgpr70
                                        ; implicit-def: $vgpr72
                                        ; implicit-def: $vgpr73
                                        ; implicit-def: $vgpr74
                                        ; implicit-def: $vgpr75
                                        ; implicit-def: $vgpr76
                                        ; implicit-def: $vgpr77
                                        ; implicit-def: $vgpr78
	s_load_dwordx4 s[0:3], s[4:5], 0x40
	s_cbranch_execnz .LBB137_84
	s_branch .LBB137_97
.LBB137_79:
	s_and_saveexec_b64 s[2:3], s[0:1]
	s_cbranch_execz .LBB137_81
; %bb.80:
	v_lshlrev_b32_e32 v13, 16, v77
	v_lshlrev_b32_e32 v14, 16, v64
	s_add_i32 s6, s6, 64
	s_mov_b32 s7, 0
	v_cmp_lt_f32_e32 vcc, v13, v14
	s_lshl_b64 s[6:7], s[6:7], 2
	v_cndmask_b32_e32 v13, v77, v63, vcc
	s_add_u32 s6, s20, s6
	s_mov_b32 s8, 0x20000
	s_addc_u32 s7, s21, s7
	v_mov_b32_e32 v14, 0
	v_or_b32_sdwa v13, v13, s8 dst_sel:DWORD dst_unused:UNUSED_PAD src0_sel:WORD_0 src1_sel:DWORD
	global_store_dword v14, v13, s[6:7]
.LBB137_81:
	s_or_b64 exec, exec, s[2:3]
	v_cmp_eq_u32_e32 vcc, 0, v0
	s_and_b64 exec, exec, vcc
; %bb.82:
	v_mov_b32_e32 v13, 0
	ds_write_b16 v13, v77 offset:6
.LBB137_83:
	s_or_b64 exec, exec, s[22:23]
	v_mov_b32_e32 v13, 0
	s_waitcnt vmcnt(0) lgkmcnt(0)
	s_barrier
	ds_read_u16 v13, v13 offset:6
	v_cndmask_b32_e64 v14, v62, v61, s[0:1]
	v_lshlrev_b32_e32 v15, 16, v14
	s_waitcnt lgkmcnt(0)
	v_lshlrev_b32_e32 v16, 16, v13
	v_cmp_lt_f32_e32 vcc, v16, v15
	v_cndmask_b32_e32 v14, v13, v14, vcc
	v_cmp_eq_u32_e32 vcc, 0, v0
	v_cndmask_b32_e32 v14, v14, v13, vcc
	v_lshlrev_b32_e32 v13, 16, v14
	v_cmp_lt_f32_e32 vcc, v13, v55
	v_cndmask_b32_sdwa v13, v14, v9, vcc dst_sel:DWORD dst_unused:UNUSED_PAD src0_sel:DWORD src1_sel:WORD_0
	v_lshlrev_b32_e32 v15, 16, v13
	v_cmp_lt_f32_e32 vcc, v15, v54
	v_cndmask_b32_sdwa v15, v13, v47, vcc dst_sel:DWORD dst_unused:UNUSED_PAD src0_sel:DWORD src1_sel:WORD_0
	;; [unrolled: 3-line block ×23, first 2 shown]
	s_load_dwordx4 s[0:3], s[4:5], 0x40
	s_branch .LBB137_97
.LBB137_84:
	s_load_dword s6, s[4:5], 0x50
	s_waitcnt lgkmcnt(0)
	s_bitcmp0_b32 s6, 0
	s_cbranch_scc1 .LBB137_86
; %bb.85:
	v_mov_b32_e32 v13, 0
	global_load_ushort v14, v13, s[18:19] offset:-2
	global_load_ushort v15, v13, s[0:1]
	s_waitcnt vmcnt(1)
	v_lshlrev_b32_e32 v13, 16, v14
	s_waitcnt vmcnt(0)
	v_lshlrev_b32_e32 v16, 16, v15
	v_cmp_lt_f32_e32 vcc, v16, v13
	v_cndmask_b32_e32 v20, v15, v14, vcc
.LBB137_86:
	v_cmp_lt_f32_e32 vcc, v55, v54
	v_cndmask_b32_e32 v13, v9, v47, vcc
	v_lshlrev_b32_e32 v14, 16, v13
	v_cmp_lt_f32_e32 vcc, v14, v53
	v_cndmask_b32_e32 v13, v13, v10, vcc
	v_lshlrev_b32_e32 v14, 16, v13
	;; [unrolled: 3-line block ×22, first 2 shown]
	v_cmp_lt_f32_e32 vcc, v14, v60
	v_cndmask_b32_e32 v14, v13, v58, vcc
	v_and_b32_e32 v16, 0xffff, v14
	v_lshlrev_b32_e32 v58, 16, v14
	v_mbcnt_hi_u32_b32 v13, -1, v59
	v_mov_b32_dpp v17, v16 row_shr:1 row_mask:0xf bank_mask:0xf
	v_lshlrev_b32_e32 v18, 16, v17
	v_cmp_lt_f32_e32 vcc, v18, v58
	v_and_b32_e32 v15, 15, v13
	v_cndmask_b32_e32 v17, v17, v14, vcc
	v_and_b32_e32 v18, 0xffff, v17
	v_cmp_eq_u32_e32 vcc, 0, v15
	v_cndmask_b32_e32 v16, v18, v16, vcc
	v_cndmask_b32_e32 v14, v17, v14, vcc
	v_lshlrev_b32_e32 v58, 16, v16
	v_mov_b32_dpp v17, v16 row_shr:2 row_mask:0xf bank_mask:0xf
	v_lshlrev_b32_e32 v18, 16, v17
	v_cmp_lt_f32_e32 vcc, v18, v58
	v_cndmask_b32_e32 v17, v17, v14, vcc
	v_and_b32_e32 v18, 0xffff, v17
	v_cmp_lt_u32_e32 vcc, 1, v15
	v_cndmask_b32_e32 v16, v16, v18, vcc
	v_cndmask_b32_e32 v14, v14, v17, vcc
	v_lshlrev_b32_e32 v58, 16, v16
	v_mov_b32_dpp v17, v16 row_shr:4 row_mask:0xf bank_mask:0xf
	v_lshlrev_b32_e32 v18, 16, v17
	v_cmp_lt_f32_e32 vcc, v18, v58
	v_cndmask_b32_e32 v17, v17, v14, vcc
	v_and_b32_e32 v18, 0xffff, v17
	v_cmp_lt_u32_e32 vcc, 3, v15
	;; [unrolled: 9-line block ×3, first 2 shown]
	v_cndmask_b32_e32 v15, v16, v18, vcc
	v_lshlrev_b32_e32 v58, 16, v15
	v_cndmask_b32_e32 v14, v14, v17, vcc
	v_mov_b32_dpp v16, v15 row_bcast:15 row_mask:0xf bank_mask:0xf
	v_lshlrev_b32_e32 v18, 16, v16
	v_cmp_lt_f32_e32 vcc, v18, v58
	v_and_b32_e32 v17, 16, v13
	v_cndmask_b32_e32 v16, v16, v14, vcc
	v_and_b32_e32 v18, 0xffff, v16
	v_cmp_eq_u32_e32 vcc, 0, v17
	v_cndmask_b32_e32 v15, v18, v15, vcc
	v_cndmask_b32_e32 v14, v16, v14, vcc
	s_nop 0
	v_mov_b32_dpp v16, v15 row_bcast:31 row_mask:0xf bank_mask:0xf
	v_lshlrev_b32_e32 v17, 16, v16
	v_lshlrev_b32_e32 v15, 16, v15
	v_cmp_lt_f32_e32 vcc, v17, v15
	v_cndmask_b32_e32 v15, v16, v14, vcc
	v_cmp_lt_u32_e32 vcc, 31, v13
	v_cndmask_b32_e32 v14, v14, v15, vcc
	v_cmp_eq_u32_e32 vcc, v0, v57
	s_and_saveexec_b64 s[0:1], vcc
; %bb.87:
	v_lshlrev_b32_e32 v15, 1, v56
	ds_write_b16 v15, v14
; %bb.88:
	s_or_b64 exec, exec, s[0:1]
	v_cmp_gt_u32_e32 vcc, 4, v0
	s_waitcnt lgkmcnt(0)
	s_barrier
	s_and_saveexec_b64 s[0:1], vcc
	s_cbranch_execz .LBB137_90
; %bb.89:
	s_movk_i32 s6, 0xffd2
	v_mad_i32_i24 v15, v0, s6, v21
	ds_read_u16 v16, v15
	v_and_b32_e32 v17, 3, v13
	s_waitcnt lgkmcnt(0)
	v_and_b32_e32 v18, 0xffff, v16
	s_nop 1
	v_mov_b32_dpp v58, v18 row_shr:1 row_mask:0xf bank_mask:0xf
	v_lshlrev_b32_e32 v57, 16, v16
	v_lshlrev_b32_e32 v59, 16, v58
	v_cmp_lt_f32_e32 vcc, v59, v57
	v_cndmask_b32_e32 v57, v58, v16, vcc
	v_and_b32_e32 v58, 0xffff, v57
	v_cmp_eq_u32_e32 vcc, 0, v17
	v_cndmask_b32_e32 v18, v58, v18, vcc
	v_cndmask_b32_e32 v16, v57, v16, vcc
	s_nop 0
	v_mov_b32_dpp v57, v18 row_shr:2 row_mask:0xf bank_mask:0xf
	v_lshlrev_b32_e32 v58, 16, v57
	v_lshlrev_b32_e32 v18, 16, v18
	v_cmp_lt_f32_e32 vcc, v58, v18
	v_cndmask_b32_e32 v18, v57, v16, vcc
	v_cmp_lt_u32_e32 vcc, 1, v17
	v_cndmask_b32_e32 v16, v16, v18, vcc
	ds_write_b16 v15, v16
.LBB137_90:
	s_or_b64 exec, exec, s[0:1]
	v_cmp_lt_u32_e32 vcc, 63, v0
	v_lshlrev_b32_e32 v16, 16, v20
	s_waitcnt lgkmcnt(0)
	s_barrier
                                        ; implicit-def: $vgpr15
                                        ; implicit-def: $vgpr57
	s_and_saveexec_b64 s[0:1], vcc
	s_xor_b64 s[0:1], exec, s[0:1]
	s_cbranch_execz .LBB137_92
; %bb.91:
	v_lshl_add_u32 v15, v56, 1, -2
	ds_read_u16 v15, v15
	v_lshlrev_b32_e32 v57, 16, v20
	s_waitcnt lgkmcnt(0)
	v_lshlrev_b32_e32 v16, 16, v15
	v_cmp_lt_f32_e32 vcc, v57, v16
	v_cndmask_b32_e32 v15, v20, v15, vcc
	v_lshlrev_b32_e32 v16, 16, v15
.LBB137_92:
	s_andn2_saveexec_b64 s[0:1], s[0:1]
; %bb.93:
	v_mov_b32_e32 v57, v16
	v_mov_b32_e32 v15, v20
; %bb.94:
	s_or_b64 exec, exec, s[0:1]
	v_lshlrev_b32_e32 v17, 16, v14
	v_cmp_lt_f32_e32 vcc, v16, v17
	v_cndmask_b32_e32 v14, v15, v14, vcc
	v_subrev_co_u32_e32 v16, vcc, 1, v13
	v_and_b32_e32 v17, 64, v13
	v_cmp_lt_i32_e64 s[0:1], v16, v17
	v_cndmask_b32_e64 v13, v16, v13, s[0:1]
	v_lshlrev_b32_e32 v13, 2, v13
	v_and_b32_e32 v14, 0xffff, v14
	ds_bpermute_b32 v13, v13, v14
	v_cmp_eq_u32_e64 s[0:1], 0, v0
	s_waitcnt lgkmcnt(0)
	v_cndmask_b32_e32 v14, v13, v15, vcc
	v_cndmask_b32_e64 v13, v14, v20, s[0:1]
	v_lshlrev_b32_e32 v15, 16, v13
	v_cmp_lt_f32_e32 vcc, v15, v55
	v_cndmask_b32_sdwa v13, v13, v9, vcc dst_sel:DWORD dst_unused:UNUSED_PAD src0_sel:DWORD src1_sel:WORD_0
	v_lshlrev_b32_e32 v9, 16, v13
	v_cmp_lt_f32_e32 vcc, v9, v54
	v_cndmask_b32_sdwa v15, v13, v47, vcc dst_sel:DWORD dst_unused:UNUSED_PAD src0_sel:DWORD src1_sel:WORD_0
	v_lshlrev_b32_e32 v9, 16, v15
	v_cmp_lt_f32_e32 vcc, v9, v53
	v_cndmask_b32_sdwa v16, v15, v10, vcc dst_sel:DWORD dst_unused:UNUSED_PAD src0_sel:DWORD src1_sel:WORD_0
	v_lshlrev_b32_e32 v9, 16, v16
	v_cmp_lt_f32_e32 vcc, v9, v52
	v_cndmask_b32_sdwa v17, v16, v44, vcc dst_sel:DWORD dst_unused:UNUSED_PAD src0_sel:DWORD src1_sel:WORD_0
	v_lshlrev_b32_e32 v9, 16, v17
	v_cmp_lt_f32_e32 vcc, v9, v51
	v_cndmask_b32_sdwa v18, v17, v11, vcc dst_sel:DWORD dst_unused:UNUSED_PAD src0_sel:DWORD src1_sel:WORD_0
	v_lshlrev_b32_e32 v9, 16, v18
	v_cmp_lt_f32_e32 vcc, v9, v50
	v_cndmask_b32_sdwa v61, v18, v40, vcc dst_sel:DWORD dst_unused:UNUSED_PAD src0_sel:DWORD src1_sel:WORD_0
	v_lshlrev_b32_e32 v9, 16, v61
	v_cmp_lt_f32_e32 vcc, v9, v49
	v_cndmask_b32_sdwa v63, v61, v12, vcc dst_sel:DWORD dst_unused:UNUSED_PAD src0_sel:DWORD src1_sel:WORD_0
	v_lshlrev_b32_e32 v9, 16, v63
	v_cmp_lt_f32_e32 vcc, v9, v48
	v_cndmask_b32_sdwa v62, v63, v37, vcc dst_sel:DWORD dst_unused:UNUSED_PAD src0_sel:DWORD src1_sel:WORD_0
	v_lshlrev_b32_e32 v9, 16, v62
	v_cmp_lt_f32_e32 vcc, v9, v46
	v_cndmask_b32_sdwa v64, v62, v5, vcc dst_sel:DWORD dst_unused:UNUSED_PAD src0_sel:DWORD src1_sel:WORD_0
	v_lshlrev_b32_e32 v5, 16, v64
	v_cmp_lt_f32_e32 vcc, v5, v45
	v_cndmask_b32_sdwa v65, v64, v31, vcc dst_sel:DWORD dst_unused:UNUSED_PAD src0_sel:DWORD src1_sel:WORD_0
	v_lshlrev_b32_e32 v5, 16, v65
	v_cmp_lt_f32_e32 vcc, v5, v43
	v_cndmask_b32_sdwa v66, v65, v6, vcc dst_sel:DWORD dst_unused:UNUSED_PAD src0_sel:DWORD src1_sel:WORD_0
	v_lshlrev_b32_e32 v5, 16, v66
	v_cmp_lt_f32_e32 vcc, v5, v42
	v_cndmask_b32_sdwa v67, v66, v28, vcc dst_sel:DWORD dst_unused:UNUSED_PAD src0_sel:DWORD src1_sel:WORD_0
	v_lshlrev_b32_e32 v5, 16, v67
	v_cmp_lt_f32_e32 vcc, v5, v41
	v_cndmask_b32_sdwa v68, v67, v7, vcc dst_sel:DWORD dst_unused:UNUSED_PAD src0_sel:DWORD src1_sel:WORD_0
	v_lshlrev_b32_e32 v5, 16, v68
	v_cmp_lt_f32_e32 vcc, v5, v39
	v_cndmask_b32_sdwa v69, v68, v26, vcc dst_sel:DWORD dst_unused:UNUSED_PAD src0_sel:DWORD src1_sel:WORD_0
	v_lshlrev_b32_e32 v5, 16, v69
	v_cmp_lt_f32_e32 vcc, v5, v38
	v_cndmask_b32_sdwa v71, v69, v8, vcc dst_sel:DWORD dst_unused:UNUSED_PAD src0_sel:DWORD src1_sel:WORD_0
	v_lshlrev_b32_e32 v5, 16, v71
	v_cmp_lt_f32_e32 vcc, v5, v35
	v_cndmask_b32_sdwa v70, v71, v25, vcc dst_sel:DWORD dst_unused:UNUSED_PAD src0_sel:DWORD src1_sel:WORD_0
	v_lshlrev_b32_e32 v5, 16, v70
	v_cmp_lt_f32_e32 vcc, v5, v33
	v_cndmask_b32_sdwa v72, v70, v1, vcc dst_sel:DWORD dst_unused:UNUSED_PAD src0_sel:DWORD src1_sel:WORD_0
	v_lshlrev_b32_e32 v1, 16, v72
	v_cmp_lt_f32_e32 vcc, v1, v36
	v_cndmask_b32_sdwa v73, v72, v24, vcc dst_sel:DWORD dst_unused:UNUSED_PAD src0_sel:DWORD src1_sel:WORD_0
	v_lshlrev_b32_e32 v1, 16, v73
	v_cmp_lt_f32_e32 vcc, v1, v34
	v_cndmask_b32_sdwa v74, v73, v2, vcc dst_sel:DWORD dst_unused:UNUSED_PAD src0_sel:DWORD src1_sel:WORD_0
	v_lshlrev_b32_e32 v1, 16, v74
	v_cmp_lt_f32_e32 vcc, v1, v32
	v_cndmask_b32_sdwa v75, v74, v23, vcc dst_sel:DWORD dst_unused:UNUSED_PAD src0_sel:DWORD src1_sel:WORD_0
	v_lshlrev_b32_e32 v1, 16, v75
	v_cmp_lt_f32_e32 vcc, v1, v30
	v_cndmask_b32_sdwa v76, v75, v3, vcc dst_sel:DWORD dst_unused:UNUSED_PAD src0_sel:DWORD src1_sel:WORD_0
	v_lshlrev_b32_e32 v1, 16, v76
	v_cmp_lt_f32_e32 vcc, v1, v29
	v_cndmask_b32_sdwa v77, v76, v22, vcc dst_sel:DWORD dst_unused:UNUSED_PAD src0_sel:DWORD src1_sel:WORD_0
	v_lshlrev_b32_e32 v1, 16, v77
	v_cmp_lt_f32_e32 vcc, v1, v27
	s_and_saveexec_b64 s[6:7], s[0:1]
	s_cbranch_execz .LBB137_96
; %bb.95:
	v_mov_b32_e32 v1, 0
	ds_read_u16 v2, v1 offset:6
	s_mov_b32 s8, 0x20000
	v_mov_b32_e32 v14, v20
	s_waitcnt lgkmcnt(0)
	v_lshlrev_b32_e32 v3, 16, v2
	v_cmp_lt_f32_e64 s[0:1], v57, v3
	v_cndmask_b32_e64 v2, v20, v2, s[0:1]
	v_or_b32_sdwa v2, v2, s8 dst_sel:DWORD dst_unused:UNUSED_PAD src0_sel:WORD_0 src1_sel:DWORD
	global_store_dword v1, v2, s[20:21] offset:256
.LBB137_96:
	s_or_b64 exec, exec, s[6:7]
	v_cndmask_b32_sdwa v78, v77, v4, vcc dst_sel:DWORD dst_unused:UNUSED_PAD src0_sel:DWORD src1_sel:WORD_0
.LBB137_97:
	s_waitcnt lgkmcnt(0)
	s_add_u32 s0, s12, s16
	s_addc_u32 s1, s13, s17
	s_mov_b64 s[6:7], -1
	s_and_b64 vcc, exec, s[14:15]
	s_waitcnt vmcnt(0)
	s_barrier
	s_cbranch_vccz .LBB137_99
; %bb.98:
	s_mov_b32 s6, 0x5040100
	v_perm_b32 v4, v63, v61, s6
	v_perm_b32 v3, v18, v17, s6
	;; [unrolled: 1-line block ×4, first 2 shown]
	ds_write_b128 v21, v[1:4]
	v_perm_b32 v4, v71, v69, s6
	v_perm_b32 v3, v68, v67, s6
	;; [unrolled: 1-line block ×4, first 2 shown]
	ds_write_b128 v21, v[1:4] offset:16
	v_perm_b32 v4, v78, v77, s6
	v_perm_b32 v3, v76, v75, s6
	;; [unrolled: 1-line block ×4, first 2 shown]
	v_mov_b32_e32 v33, s1
	v_add_co_u32_e32 v34, vcc, s0, v19
	ds_write_b128 v21, v[1:4] offset:32
	s_waitcnt lgkmcnt(0)
	s_barrier
	ds_read_u16 v1, v19
	ds_read_u16 v2, v19 offset:512
	ds_read_u16 v3, v19 offset:1024
	;; [unrolled: 1-line block ×23, first 2 shown]
	v_addc_co_u32_e32 v33, vcc, 0, v33, vcc
	s_movk_i32 s6, 0x1000
	s_waitcnt lgkmcnt(14)
	global_store_short v19, v1, s[0:1]
	global_store_short v19, v2, s[0:1] offset:512
	global_store_short v19, v3, s[0:1] offset:1024
	;; [unrolled: 1-line block ×7, first 2 shown]
	v_add_co_u32_e32 v1, vcc, s6, v34
	v_addc_co_u32_e32 v2, vcc, 0, v33, vcc
	global_store_short v[1:2], v9, off
	global_store_short v[1:2], v10, off offset:512
	s_waitcnt lgkmcnt(13)
	global_store_short v[1:2], v11, off offset:1024
	s_waitcnt lgkmcnt(12)
	;; [unrolled: 2-line block ×6, first 2 shown]
	global_store_short v[1:2], v24, off offset:3584
	v_add_co_u32_e32 v1, vcc, 0x2000, v34
	v_addc_co_u32_e32 v2, vcc, 0, v33, vcc
	s_waitcnt lgkmcnt(7)
	global_store_short v[1:2], v25, off
	s_waitcnt lgkmcnt(6)
	global_store_short v[1:2], v26, off offset:512
	s_waitcnt lgkmcnt(5)
	global_store_short v[1:2], v27, off offset:1024
	;; [unrolled: 2-line block ×7, first 2 shown]
	s_mov_b64 s[6:7], 0
.LBB137_99:
	s_andn2_b64 vcc, exec, s[6:7]
	s_cbranch_vccnz .LBB137_156
; %bb.100:
	s_mov_b32 s6, 0x5040100
	v_perm_b32 v4, v63, v61, s6
	v_perm_b32 v3, v18, v17, s6
	;; [unrolled: 1-line block ×4, first 2 shown]
	ds_write_b128 v21, v[1:4]
	v_perm_b32 v4, v71, v69, s6
	v_perm_b32 v3, v68, v67, s6
	;; [unrolled: 1-line block ×4, first 2 shown]
	ds_write_b128 v21, v[1:4] offset:16
	v_perm_b32 v4, v78, v77, s6
	v_perm_b32 v3, v76, v75, s6
	v_perm_b32 v2, v74, v73, s6
	v_perm_b32 v1, v72, v70, s6
	s_movk_i32 s6, 0xffd2
	ds_write_b128 v21, v[1:4] offset:32
	v_mad_i32_i24 v2, v0, s6, v21
	s_waitcnt vmcnt(0) lgkmcnt(0)
	s_barrier
	ds_read_u16 v5, v2
	ds_read_u16 v4, v2 offset:512
	ds_read_u16 v7, v2 offset:1024
	;; [unrolled: 1-line block ×23, first 2 shown]
	v_mov_b32_e32 v3, s1
	v_add_co_u32_e32 v2, vcc, s0, v19
	v_addc_co_u32_e32 v3, vcc, 0, v3, vcc
	v_mov_b32_e32 v1, 0
	v_cmp_gt_u32_e32 vcc, s24, v0
	s_and_saveexec_b64 s[0:1], vcc
	s_cbranch_execz .LBB137_102
; %bb.101:
	s_waitcnt lgkmcnt(14)
	global_store_short v[2:3], v5, off
.LBB137_102:
	s_or_b64 exec, exec, s[0:1]
	v_or_b32_e32 v19, 0x100, v0
	v_cmp_gt_u32_e32 vcc, s24, v19
	s_and_saveexec_b64 s[0:1], vcc
	s_cbranch_execz .LBB137_104
; %bb.103:
	s_waitcnt lgkmcnt(14)
	global_store_short v[2:3], v4, off offset:512
.LBB137_104:
	s_or_b64 exec, exec, s[0:1]
	v_or_b32_e32 v19, 0x200, v0
	v_cmp_gt_u32_e32 vcc, s24, v19
	s_and_saveexec_b64 s[0:1], vcc
	s_cbranch_execz .LBB137_106
; %bb.105:
	s_waitcnt lgkmcnt(14)
	global_store_short v[2:3], v7, off offset:1024
.LBB137_106:
	;; [unrolled: 9-line block ×7, first 2 shown]
	s_or_b64 exec, exec, s[0:1]
	v_or_b32_e32 v19, 0x800, v0
	v_cmp_gt_u32_e32 vcc, s24, v19
	s_and_saveexec_b64 s[0:1], vcc
	s_cbranch_execz .LBB137_118
; %bb.117:
	v_add_co_u32_e32 v29, vcc, 0x1000, v2
	v_addc_co_u32_e32 v30, vcc, 0, v3, vcc
	s_waitcnt lgkmcnt(14)
	global_store_short v[29:30], v18, off
.LBB137_118:
	s_or_b64 exec, exec, s[0:1]
	v_or_b32_e32 v19, 0x900, v0
	v_cmp_gt_u32_e32 vcc, s24, v19
	s_and_saveexec_b64 s[0:1], vcc
	s_cbranch_execz .LBB137_120
; %bb.119:
	v_add_co_u32_e32 v29, vcc, 0x1000, v2
	v_addc_co_u32_e32 v30, vcc, 0, v3, vcc
	s_waitcnt lgkmcnt(14)
	global_store_short v[29:30], v23, off offset:512
.LBB137_120:
	s_or_b64 exec, exec, s[0:1]
	v_or_b32_e32 v19, 0xa00, v0
	v_cmp_gt_u32_e32 vcc, s24, v19
	s_and_saveexec_b64 s[0:1], vcc
	s_cbranch_execz .LBB137_122
; %bb.121:
	v_add_co_u32_e32 v29, vcc, 0x1000, v2
	v_addc_co_u32_e32 v30, vcc, 0, v3, vcc
	s_waitcnt lgkmcnt(13)
	global_store_short v[29:30], v22, off offset:1024
.LBB137_122:
	;; [unrolled: 11-line block ×7, first 2 shown]
	s_or_b64 exec, exec, s[0:1]
	v_or_b32_e32 v19, 0x1000, v0
	v_cmp_gt_u32_e32 vcc, s24, v19
	s_and_saveexec_b64 s[0:1], vcc
	s_cbranch_execz .LBB137_134
; %bb.133:
	v_add_co_u32_e32 v29, vcc, 0x2000, v2
	v_addc_co_u32_e32 v30, vcc, 0, v3, vcc
	s_waitcnt lgkmcnt(7)
	global_store_short v[29:30], v24, off
.LBB137_134:
	s_or_b64 exec, exec, s[0:1]
	v_or_b32_e32 v19, 0x1100, v0
	v_cmp_gt_u32_e32 vcc, s24, v19
	s_and_saveexec_b64 s[0:1], vcc
	s_cbranch_execz .LBB137_136
; %bb.135:
	v_add_co_u32_e32 v29, vcc, 0x2000, v2
	v_addc_co_u32_e32 v30, vcc, 0, v3, vcc
	s_waitcnt lgkmcnt(6)
	global_store_short v[29:30], v26, off offset:512
.LBB137_136:
	s_or_b64 exec, exec, s[0:1]
	v_or_b32_e32 v19, 0x1200, v0
	v_cmp_gt_u32_e32 vcc, s24, v19
	s_and_saveexec_b64 s[0:1], vcc
	s_cbranch_execz .LBB137_138
; %bb.137:
	v_add_co_u32_e32 v29, vcc, 0x2000, v2
	v_addc_co_u32_e32 v30, vcc, 0, v3, vcc
	s_waitcnt lgkmcnt(5)
	global_store_short v[29:30], v27, off offset:1024
.LBB137_138:
	;; [unrolled: 11-line block ×7, first 2 shown]
	s_or_b64 exec, exec, s[0:1]
	s_load_dword s0, s[4:5], 0x50
	s_waitcnt lgkmcnt(0)
	s_bfe_u32 s0, s0, 0x10008
	s_cmp_eq_u32 s0, 0
	s_cbranch_scc1 .LBB137_156
; %bb.149:
	s_add_u32 s0, s24, -1
	s_addc_u32 s1, s25, -1
	s_mul_i32 s7, s1, 0xaaaaaaab
	s_mul_hi_u32 s8, s0, 0xaaaaaaab
	s_mul_hi_u32 s6, s1, 0xaaaaaaab
	s_add_u32 s7, s7, s8
	s_mul_i32 s5, s0, 0xaaaaaaaa
	s_addc_u32 s6, s6, 0
	s_mul_hi_u32 s4, s0, 0xaaaaaaaa
	s_add_u32 s5, s5, s7
	s_addc_u32 s4, s4, 0
	s_add_u32 s4, s6, s4
	s_addc_u32 s5, 0, 0
	s_mul_i32 s7, s1, 0xaaaaaaaa
	s_mul_hi_u32 s6, s1, 0xaaaaaaaa
	s_add_u32 s4, s7, s4
	s_addc_u32 s5, s6, s5
	s_lshr_b64 s[4:5], s[4:5], 4
	v_cmp_eq_u64_e32 vcc, s[4:5], v[0:1]
	s_and_saveexec_b64 s[4:5], vcc
	s_cbranch_execz .LBB137_156
; %bb.150:
	v_mul_hi_u32_u24_e32 v1, 24, v0
	v_mul_u32_u24_e32 v0, 24, v0
	v_mov_b32_e32 v2, s1
	v_sub_co_u32_e32 v0, vcc, s0, v0
	v_subb_co_u32_e32 v1, vcc, v2, v1, vcc
	v_cmp_lt_i64_e32 vcc, 11, v[0:1]
	s_mov_b64 s[0:1], 0
	s_mov_b64 s[10:11], 0
	;; [unrolled: 1-line block ×4, first 2 shown]
	s_and_saveexec_b64 s[4:5], vcc
	s_xor_b64 s[4:5], exec, s[4:5]
	s_cbranch_execnz .LBB137_157
; %bb.151:
	s_andn2_saveexec_b64 s[4:5], s[4:5]
	s_cbranch_execnz .LBB137_202
.LBB137_152:
	s_or_b64 exec, exec, s[4:5]
	s_and_saveexec_b64 s[4:5], s[10:11]
	s_cbranch_execnz .LBB137_219
.LBB137_153:
	s_or_b64 exec, exec, s[4:5]
	s_and_saveexec_b64 s[4:5], s[8:9]
	s_cbranch_execnz .LBB137_220
.LBB137_154:
	s_or_b64 exec, exec, s[4:5]
	s_and_saveexec_b64 s[4:5], s[6:7]
	s_xor_b64 s[4:5], exec, s[4:5]
	s_cbranch_execnz .LBB137_221
.LBB137_155:
	s_or_b64 exec, exec, s[4:5]
	s_and_b64 exec, exec, s[0:1]
	s_cbranch_execnz .LBB137_222
.LBB137_156:
	s_endpgm
.LBB137_157:
	v_cmp_lt_i64_e32 vcc, 17, v[0:1]
	s_and_saveexec_b64 s[12:13], vcc
	s_xor_b64 s[12:13], exec, s[12:13]
	s_cbranch_execz .LBB137_179
; %bb.158:
	v_cmp_lt_i64_e32 vcc, 20, v[0:1]
	s_and_saveexec_b64 s[14:15], vcc
	s_xor_b64 s[14:15], exec, s[14:15]
	s_cbranch_execz .LBB137_168
; %bb.159:
	v_cmp_lt_i64_e32 vcc, 21, v[0:1]
	s_mov_b64 s[16:17], 0
	s_and_saveexec_b64 s[6:7], vcc
	s_xor_b64 s[6:7], exec, s[6:7]
	s_cbranch_execz .LBB137_165
; %bb.160:
	v_cmp_lt_i64_e32 vcc, 22, v[0:1]
	s_and_saveexec_b64 s[16:17], vcc
	s_xor_b64 s[16:17], exec, s[16:17]
	s_cbranch_execz .LBB137_162
; %bb.161:
	v_mov_b32_e32 v2, 0
	global_store_short v2, v28, s[2:3]
.LBB137_162:
	s_or_saveexec_b64 s[16:17], s[16:17]
	s_mov_b64 s[18:19], 0
	s_xor_b64 exec, exec, s[16:17]
; %bb.163:
	s_mov_b64 s[18:19], exec
; %bb.164:
	s_or_b64 exec, exec, s[16:17]
	s_and_b64 s[16:17], s[18:19], exec
.LBB137_165:
	s_andn2_saveexec_b64 s[6:7], s[6:7]
; %bb.166:
	s_mov_b64 s[8:9], exec
; %bb.167:
	s_or_b64 exec, exec, s[6:7]
	s_and_b64 s[6:7], s[16:17], exec
	s_and_b64 s[8:9], s[8:9], exec
                                        ; implicit-def: $vgpr27
                                        ; implicit-def: $vgpr25
.LBB137_168:
	s_andn2_saveexec_b64 s[14:15], s[14:15]
	s_cbranch_execz .LBB137_178
; %bb.169:
	v_cmp_lt_i64_e32 vcc, 18, v[0:1]
	s_mov_b64 s[16:17], 0
	s_and_saveexec_b64 s[10:11], vcc
	s_xor_b64 s[10:11], exec, s[10:11]
	s_cbranch_execz .LBB137_175
; %bb.170:
	v_cmp_lt_i64_e32 vcc, 19, v[0:1]
	s_and_saveexec_b64 s[18:19], vcc
	s_xor_b64 s[18:19], exec, s[18:19]
; %bb.171:
	s_mov_b64 s[16:17], exec
                                        ; implicit-def: $vgpr25
; %bb.172:
	s_andn2_saveexec_b64 s[18:19], s[18:19]
	s_cbranch_execz .LBB137_174
; %bb.173:
	v_mov_b32_e32 v2, 0
	global_store_short v2, v25, s[2:3]
.LBB137_174:
	s_or_b64 exec, exec, s[18:19]
	s_and_b64 s[16:17], s[16:17], exec
                                        ; implicit-def: $vgpr27
.LBB137_175:
	s_andn2_saveexec_b64 s[10:11], s[10:11]
	s_cbranch_execz .LBB137_177
; %bb.176:
	v_mov_b32_e32 v2, 0
	global_store_short v2, v27, s[2:3]
.LBB137_177:
	s_or_b64 exec, exec, s[10:11]
	s_and_b64 s[10:11], s[16:17], exec
.LBB137_178:
	s_or_b64 exec, exec, s[14:15]
	s_and_b64 s[6:7], s[6:7], exec
	s_and_b64 s[8:9], s[8:9], exec
	;; [unrolled: 1-line block ×3, first 2 shown]
                                        ; implicit-def: $vgpr17
                                        ; implicit-def: $vgpr15
                                        ; implicit-def: $vgpr16
                                        ; implicit-def: $vgpr21
                                        ; implicit-def: $vgpr24
                                        ; implicit-def: $vgpr26
.LBB137_179:
	s_andn2_saveexec_b64 s[12:13], s[12:13]
	s_cbranch_execz .LBB137_201
; %bb.180:
	v_cmp_lt_i64_e32 vcc, 14, v[0:1]
	s_mov_b64 s[14:15], s[6:7]
	s_and_saveexec_b64 s[16:17], vcc
	s_xor_b64 s[16:17], exec, s[16:17]
	s_cbranch_execz .LBB137_190
; %bb.181:
	v_cmp_lt_i64_e32 vcc, 15, v[0:1]
	s_and_saveexec_b64 s[14:15], vcc
	s_xor_b64 s[14:15], exec, s[14:15]
	s_cbranch_execz .LBB137_187
; %bb.182:
	v_cmp_lt_i64_e32 vcc, 16, v[0:1]
	s_and_saveexec_b64 s[18:19], vcc
	s_xor_b64 s[18:19], exec, s[18:19]
	s_cbranch_execz .LBB137_184
; %bb.183:
	v_mov_b32_e32 v2, 0
	global_store_short v2, v26, s[2:3]
                                        ; implicit-def: $vgpr24
.LBB137_184:
	s_andn2_saveexec_b64 s[18:19], s[18:19]
	s_cbranch_execz .LBB137_186
; %bb.185:
	v_mov_b32_e32 v2, 0
	global_store_short v2, v24, s[2:3]
.LBB137_186:
	s_or_b64 exec, exec, s[18:19]
.LBB137_187:
	s_or_saveexec_b64 s[14:15], s[14:15]
	s_mov_b64 s[18:19], s[6:7]
	s_xor_b64 exec, exec, s[14:15]
; %bb.188:
	s_or_b64 s[18:19], s[6:7], exec
; %bb.189:
	s_or_b64 exec, exec, s[14:15]
	s_andn2_b64 s[14:15], s[6:7], exec
	s_and_b64 s[18:19], s[18:19], exec
	s_or_b64 s[14:15], s[14:15], s[18:19]
                                        ; implicit-def: $vgpr16
                                        ; implicit-def: $vgpr21
                                        ; implicit-def: $vgpr15
.LBB137_190:
	s_or_saveexec_b64 s[16:17], s[16:17]
	s_mov_b64 s[18:19], s[8:9]
                                        ; implicit-def: $vgpr11
	s_xor_b64 exec, exec, s[16:17]
	s_cbranch_execz .LBB137_200
; %bb.191:
	v_cmp_lt_i64_e32 vcc, 12, v[0:1]
	s_mov_b64 s[20:21], s[8:9]
	s_mov_b64 s[22:23], s[14:15]
	s_and_saveexec_b64 s[18:19], vcc
	s_xor_b64 s[18:19], exec, s[18:19]
	s_cbranch_execz .LBB137_197
; %bb.192:
	v_cmp_lt_i64_e32 vcc, 13, v[0:1]
	s_mov_b64 s[20:21], s[14:15]
	s_and_saveexec_b64 s[22:23], vcc
	s_xor_b64 s[22:23], exec, s[22:23]
; %bb.193:
	s_or_b64 s[20:21], s[14:15], exec
; %bb.194:
	s_or_saveexec_b64 s[22:23], s[22:23]
	s_mov_b64 s[24:25], s[8:9]
	s_xor_b64 exec, exec, s[22:23]
; %bb.195:
	s_or_b64 s[24:25], s[8:9], exec
; %bb.196:
	s_or_b64 exec, exec, s[22:23]
	s_andn2_b64 s[22:23], s[14:15], exec
	s_and_b64 s[20:21], s[20:21], exec
	s_or_b64 s[22:23], s[22:23], s[20:21]
	s_andn2_b64 s[20:21], s[8:9], exec
	s_and_b64 s[24:25], s[24:25], exec
	s_or_b64 s[20:21], s[20:21], s[24:25]
                                        ; implicit-def: $vgpr21
.LBB137_197:
	s_andn2_saveexec_b64 s[18:19], s[18:19]
; %bb.198:
	s_or_b64 s[20:21], s[20:21], exec
	v_mov_b32_e32 v16, v21
; %bb.199:
	s_or_b64 exec, exec, s[18:19]
	s_andn2_b64 s[14:15], s[14:15], exec
	s_and_b64 s[18:19], s[22:23], exec
	s_or_b64 s[14:15], s[14:15], s[18:19]
	s_andn2_b64 s[18:19], s[8:9], exec
	s_and_b64 s[20:21], s[20:21], exec
	s_or_b64 s[18:19], s[18:19], s[20:21]
	v_mov_b32_e32 v17, v15
	v_mov_b32_e32 v11, v16
.LBB137_200:
	s_or_b64 exec, exec, s[16:17]
	s_andn2_b64 s[6:7], s[6:7], exec
	s_and_b64 s[14:15], s[14:15], exec
	s_or_b64 s[6:7], s[6:7], s[14:15]
	s_andn2_b64 s[8:9], s[8:9], exec
	s_and_b64 s[14:15], s[18:19], exec
	s_or_b64 s[8:9], s[8:9], s[14:15]
	v_mov_b32_e32 v12, v17
.LBB137_201:
	s_or_b64 exec, exec, s[12:13]
	s_and_b64 s[6:7], s[6:7], exec
	s_and_b64 s[8:9], s[8:9], exec
	;; [unrolled: 1-line block ×3, first 2 shown]
                                        ; implicit-def: $vgpr18
                                        ; implicit-def: $vgpr23
                                        ; implicit-def: $vgpr20
                                        ; implicit-def: $vgpr22
                                        ; implicit-def: $vgpr13
                                        ; implicit-def: $vgpr14
	s_andn2_saveexec_b64 s[4:5], s[4:5]
	s_cbranch_execz .LBB137_152
.LBB137_202:
	v_cmp_lt_i64_e32 vcc, 5, v[0:1]
	s_mov_b64 s[14:15], -1
	s_mov_b64 s[12:13], s[10:11]
	s_mov_b64 s[16:17], s[8:9]
	;; [unrolled: 1-line block ×3, first 2 shown]
                                        ; implicit-def: $vgpr10
	s_and_saveexec_b64 s[0:1], vcc
	s_cbranch_execz .LBB137_218
; %bb.203:
	v_cmp_lt_i64_e32 vcc, 8, v[0:1]
	s_mov_b64 s[12:13], s[10:11]
                                        ; implicit-def: $vgpr10
	s_and_saveexec_b64 s[14:15], vcc
	s_xor_b64 s[14:15], exec, s[14:15]
	s_cbranch_execz .LBB137_213
; %bb.204:
	v_cmp_lt_i64_e32 vcc, 9, v[0:1]
	s_and_saveexec_b64 s[12:13], vcc
	s_xor_b64 s[12:13], exec, s[12:13]
	s_cbranch_execz .LBB137_210
; %bb.205:
	v_cmp_lt_i64_e32 vcc, 10, v[0:1]
	s_and_saveexec_b64 s[16:17], vcc
	s_xor_b64 s[16:17], exec, s[16:17]
; %bb.206:
                                        ; implicit-def: $vgpr22
; %bb.207:
	s_andn2_saveexec_b64 s[16:17], s[16:17]
; %bb.208:
	v_mov_b32_e32 v20, v22
; %bb.209:
	s_or_b64 exec, exec, s[16:17]
                                        ; implicit-def: $vgpr23
.LBB137_210:
	s_andn2_saveexec_b64 s[12:13], s[12:13]
; %bb.211:
	v_mov_b32_e32 v20, v23
; %bb.212:
	s_or_b64 exec, exec, s[12:13]
	s_or_b64 s[12:13], s[10:11], exec
	v_mov_b32_e32 v10, v20
                                        ; implicit-def: $vgpr18
.LBB137_213:
	s_or_saveexec_b64 s[14:15], s[14:15]
	s_mov_b64 s[16:17], s[8:9]
	s_mov_b64 s[20:21], s[6:7]
	s_xor_b64 exec, exec, s[14:15]
	s_cbranch_execz .LBB137_217
; %bb.214:
	v_cmp_lt_i64_e32 vcc, 6, v[0:1]
	s_mov_b64 s[20:21], -1
	s_mov_b64 s[18:19], s[12:13]
	s_mov_b64 s[16:17], s[8:9]
	s_and_saveexec_b64 s[22:23], vcc
; %bb.215:
	v_cmp_lt_i64_e32 vcc, 7, v[0:1]
	s_andn2_b64 s[18:19], s[12:13], exec
	s_and_b64 s[24:25], vcc, exec
	s_xor_b64 s[20:21], exec, -1
	s_or_b64 s[16:17], s[8:9], exec
	s_or_b64 s[18:19], s[18:19], s[24:25]
; %bb.216:
	s_or_b64 exec, exec, s[22:23]
	s_andn2_b64 s[22:23], s[6:7], exec
	s_and_b64 s[20:21], s[20:21], exec
	s_or_b64 s[20:21], s[22:23], s[20:21]
	s_andn2_b64 s[22:23], s[8:9], exec
	s_and_b64 s[16:17], s[16:17], exec
	s_andn2_b64 s[12:13], s[12:13], exec
	s_and_b64 s[18:19], s[18:19], exec
	s_or_b64 s[16:17], s[22:23], s[16:17]
	s_or_b64 s[12:13], s[12:13], s[18:19]
	v_mov_b32_e32 v10, v18
.LBB137_217:
	s_or_b64 exec, exec, s[14:15]
	s_andn2_b64 s[18:19], s[6:7], exec
	s_and_b64 s[20:21], s[20:21], exec
	s_or_b64 s[18:19], s[18:19], s[20:21]
	s_andn2_b64 s[20:21], s[8:9], exec
	s_and_b64 s[16:17], s[16:17], exec
	s_or_b64 s[16:17], s[20:21], s[16:17]
	s_andn2_b64 s[20:21], s[10:11], exec
	s_and_b64 s[12:13], s[12:13], exec
	s_xor_b64 s[14:15], exec, -1
	s_or_b64 s[12:13], s[20:21], s[12:13]
.LBB137_218:
	s_or_b64 exec, exec, s[0:1]
	s_and_b64 s[0:1], s[14:15], exec
	s_andn2_b64 s[6:7], s[6:7], exec
	s_and_b64 s[14:15], s[18:19], exec
	s_or_b64 s[6:7], s[6:7], s[14:15]
	s_andn2_b64 s[8:9], s[8:9], exec
	s_and_b64 s[14:15], s[16:17], exec
	s_andn2_b64 s[10:11], s[10:11], exec
	s_and_b64 s[12:13], s[12:13], exec
	s_or_b64 s[8:9], s[8:9], s[14:15]
	s_or_b64 s[10:11], s[10:11], s[12:13]
	v_mov_b32_e32 v12, v13
	v_mov_b32_e32 v11, v14
	s_or_b64 exec, exec, s[4:5]
	s_and_saveexec_b64 s[4:5], s[10:11]
	s_cbranch_execz .LBB137_153
.LBB137_219:
	v_mov_b32_e32 v2, 0
	s_andn2_b64 s[8:9], s[8:9], exec
	global_store_short v2, v10, s[2:3]
	s_or_b64 exec, exec, s[4:5]
	s_and_saveexec_b64 s[4:5], s[8:9]
	s_cbranch_execz .LBB137_154
.LBB137_220:
	v_mov_b32_e32 v2, 0
	global_store_short v2, v11, s[2:3]
	s_or_b64 exec, exec, s[4:5]
	s_and_saveexec_b64 s[4:5], s[6:7]
	s_xor_b64 s[4:5], exec, s[4:5]
	s_cbranch_execz .LBB137_155
.LBB137_221:
	v_mov_b32_e32 v2, 0
	global_store_short v2, v12, s[2:3]
	s_or_b64 exec, exec, s[4:5]
	s_and_b64 exec, exec, s[0:1]
	s_cbranch_execz .LBB137_156
.LBB137_222:
	v_cmp_lt_i64_e32 vcc, 2, v[0:1]
	s_and_saveexec_b64 s[0:1], vcc
	s_xor_b64 s[0:1], exec, s[0:1]
	s_cbranch_execz .LBB137_232
; %bb.223:
	v_cmp_lt_i64_e32 vcc, 3, v[0:1]
	s_and_saveexec_b64 s[4:5], vcc
	s_xor_b64 s[4:5], exec, s[4:5]
	s_cbranch_execz .LBB137_229
; %bb.224:
	;; [unrolled: 5-line block ×3, first 2 shown]
	v_mov_b32_e32 v0, 0
	global_store_short v0, v9, s[2:3]
                                        ; implicit-def: $vgpr6
.LBB137_226:
	s_andn2_saveexec_b64 s[6:7], s[6:7]
	s_cbranch_execz .LBB137_228
; %bb.227:
	v_mov_b32_e32 v0, 0
	global_store_short v0, v6, s[2:3]
.LBB137_228:
	s_or_b64 exec, exec, s[6:7]
                                        ; implicit-def: $vgpr8
.LBB137_229:
	s_andn2_saveexec_b64 s[4:5], s[4:5]
	s_cbranch_execz .LBB137_231
; %bb.230:
	v_mov_b32_e32 v0, 0
	global_store_short v0, v8, s[2:3]
.LBB137_231:
	s_or_b64 exec, exec, s[4:5]
                                        ; implicit-def: $vgpr0_vgpr1
                                        ; implicit-def: $vgpr7
                                        ; implicit-def: $vgpr4
                                        ; implicit-def: $vgpr5
.LBB137_232:
	s_andn2_saveexec_b64 s[0:1], s[0:1]
	s_cbranch_execz .LBB137_156
; %bb.233:
	v_cmp_lt_i64_e32 vcc, 1, v[0:1]
	s_and_saveexec_b64 s[0:1], vcc
	s_xor_b64 s[0:1], exec, s[0:1]
	s_cbranch_execz .LBB137_235
; %bb.234:
	v_mov_b32_e32 v0, 0
	global_store_short v0, v7, s[2:3]
                                        ; implicit-def: $vgpr4
                                        ; implicit-def: $vgpr0_vgpr1
                                        ; implicit-def: $vgpr5
.LBB137_235:
	s_andn2_saveexec_b64 s[0:1], s[0:1]
	s_cbranch_execz .LBB137_156
; %bb.236:
	v_cmp_ne_u64_e32 vcc, 1, v[0:1]
	s_and_saveexec_b64 s[0:1], vcc
	s_xor_b64 s[0:1], exec, s[0:1]
	s_cbranch_execz .LBB137_238
; %bb.237:
	v_mov_b32_e32 v0, 0
	global_store_short v0, v5, s[2:3]
                                        ; implicit-def: $vgpr4
.LBB137_238:
	s_andn2_saveexec_b64 s[0:1], s[0:1]
	s_cbranch_execz .LBB137_156
; %bb.239:
	v_mov_b32_e32 v0, 0
	global_store_short v0, v4, s[2:3]
	s_endpgm
	.section	.rodata,"a",@progbits
	.p2align	6, 0x0
	.amdhsa_kernel _ZN7rocprim6detail20lookback_scan_kernelILNS0_25lookback_scan_determinismE0ELb1ENS0_19wrapped_scan_configINS_14default_configE12hip_bfloat16EEN6hipcub22TransformInputIteratorIS5_NS7_6CastOpIS5_EEPS5_lEESB_NS7_3MaxENS_12future_valueIS5_SB_EES5_NS0_19lookback_scan_stateIS5_Lb0ELb1EEEEEvT2_T3_mT5_T4_T7_jPT6_SO_bb
		.amdhsa_group_segment_fixed_size 12288
		.amdhsa_private_segment_fixed_size 0
		.amdhsa_kernarg_size 84
		.amdhsa_user_sgpr_count 6
		.amdhsa_user_sgpr_private_segment_buffer 1
		.amdhsa_user_sgpr_dispatch_ptr 0
		.amdhsa_user_sgpr_queue_ptr 0
		.amdhsa_user_sgpr_kernarg_segment_ptr 1
		.amdhsa_user_sgpr_dispatch_id 0
		.amdhsa_user_sgpr_flat_scratch_init 0
		.amdhsa_user_sgpr_private_segment_size 0
		.amdhsa_uses_dynamic_stack 0
		.amdhsa_system_sgpr_private_segment_wavefront_offset 0
		.amdhsa_system_sgpr_workgroup_id_x 1
		.amdhsa_system_sgpr_workgroup_id_y 0
		.amdhsa_system_sgpr_workgroup_id_z 0
		.amdhsa_system_sgpr_workgroup_info 0
		.amdhsa_system_vgpr_workitem_id 0
		.amdhsa_next_free_vgpr 85
		.amdhsa_next_free_sgpr 98
		.amdhsa_reserve_vcc 1
		.amdhsa_reserve_flat_scratch 0
		.amdhsa_float_round_mode_32 0
		.amdhsa_float_round_mode_16_64 0
		.amdhsa_float_denorm_mode_32 3
		.amdhsa_float_denorm_mode_16_64 3
		.amdhsa_dx10_clamp 1
		.amdhsa_ieee_mode 1
		.amdhsa_fp16_overflow 0
		.amdhsa_exception_fp_ieee_invalid_op 0
		.amdhsa_exception_fp_denorm_src 0
		.amdhsa_exception_fp_ieee_div_zero 0
		.amdhsa_exception_fp_ieee_overflow 0
		.amdhsa_exception_fp_ieee_underflow 0
		.amdhsa_exception_fp_ieee_inexact 0
		.amdhsa_exception_int_div_zero 0
	.end_amdhsa_kernel
	.section	.text._ZN7rocprim6detail20lookback_scan_kernelILNS0_25lookback_scan_determinismE0ELb1ENS0_19wrapped_scan_configINS_14default_configE12hip_bfloat16EEN6hipcub22TransformInputIteratorIS5_NS7_6CastOpIS5_EEPS5_lEESB_NS7_3MaxENS_12future_valueIS5_SB_EES5_NS0_19lookback_scan_stateIS5_Lb0ELb1EEEEEvT2_T3_mT5_T4_T7_jPT6_SO_bb,"axG",@progbits,_ZN7rocprim6detail20lookback_scan_kernelILNS0_25lookback_scan_determinismE0ELb1ENS0_19wrapped_scan_configINS_14default_configE12hip_bfloat16EEN6hipcub22TransformInputIteratorIS5_NS7_6CastOpIS5_EEPS5_lEESB_NS7_3MaxENS_12future_valueIS5_SB_EES5_NS0_19lookback_scan_stateIS5_Lb0ELb1EEEEEvT2_T3_mT5_T4_T7_jPT6_SO_bb,comdat
.Lfunc_end137:
	.size	_ZN7rocprim6detail20lookback_scan_kernelILNS0_25lookback_scan_determinismE0ELb1ENS0_19wrapped_scan_configINS_14default_configE12hip_bfloat16EEN6hipcub22TransformInputIteratorIS5_NS7_6CastOpIS5_EEPS5_lEESB_NS7_3MaxENS_12future_valueIS5_SB_EES5_NS0_19lookback_scan_stateIS5_Lb0ELb1EEEEEvT2_T3_mT5_T4_T7_jPT6_SO_bb, .Lfunc_end137-_ZN7rocprim6detail20lookback_scan_kernelILNS0_25lookback_scan_determinismE0ELb1ENS0_19wrapped_scan_configINS_14default_configE12hip_bfloat16EEN6hipcub22TransformInputIteratorIS5_NS7_6CastOpIS5_EEPS5_lEESB_NS7_3MaxENS_12future_valueIS5_SB_EES5_NS0_19lookback_scan_stateIS5_Lb0ELb1EEEEEvT2_T3_mT5_T4_T7_jPT6_SO_bb
                                        ; -- End function
	.set _ZN7rocprim6detail20lookback_scan_kernelILNS0_25lookback_scan_determinismE0ELb1ENS0_19wrapped_scan_configINS_14default_configE12hip_bfloat16EEN6hipcub22TransformInputIteratorIS5_NS7_6CastOpIS5_EEPS5_lEESB_NS7_3MaxENS_12future_valueIS5_SB_EES5_NS0_19lookback_scan_stateIS5_Lb0ELb1EEEEEvT2_T3_mT5_T4_T7_jPT6_SO_bb.num_vgpr, 85
	.set _ZN7rocprim6detail20lookback_scan_kernelILNS0_25lookback_scan_determinismE0ELb1ENS0_19wrapped_scan_configINS_14default_configE12hip_bfloat16EEN6hipcub22TransformInputIteratorIS5_NS7_6CastOpIS5_EEPS5_lEESB_NS7_3MaxENS_12future_valueIS5_SB_EES5_NS0_19lookback_scan_stateIS5_Lb0ELb1EEEEEvT2_T3_mT5_T4_T7_jPT6_SO_bb.num_agpr, 0
	.set _ZN7rocprim6detail20lookback_scan_kernelILNS0_25lookback_scan_determinismE0ELb1ENS0_19wrapped_scan_configINS_14default_configE12hip_bfloat16EEN6hipcub22TransformInputIteratorIS5_NS7_6CastOpIS5_EEPS5_lEESB_NS7_3MaxENS_12future_valueIS5_SB_EES5_NS0_19lookback_scan_stateIS5_Lb0ELb1EEEEEvT2_T3_mT5_T4_T7_jPT6_SO_bb.numbered_sgpr, 26
	.set _ZN7rocprim6detail20lookback_scan_kernelILNS0_25lookback_scan_determinismE0ELb1ENS0_19wrapped_scan_configINS_14default_configE12hip_bfloat16EEN6hipcub22TransformInputIteratorIS5_NS7_6CastOpIS5_EEPS5_lEESB_NS7_3MaxENS_12future_valueIS5_SB_EES5_NS0_19lookback_scan_stateIS5_Lb0ELb1EEEEEvT2_T3_mT5_T4_T7_jPT6_SO_bb.num_named_barrier, 0
	.set _ZN7rocprim6detail20lookback_scan_kernelILNS0_25lookback_scan_determinismE0ELb1ENS0_19wrapped_scan_configINS_14default_configE12hip_bfloat16EEN6hipcub22TransformInputIteratorIS5_NS7_6CastOpIS5_EEPS5_lEESB_NS7_3MaxENS_12future_valueIS5_SB_EES5_NS0_19lookback_scan_stateIS5_Lb0ELb1EEEEEvT2_T3_mT5_T4_T7_jPT6_SO_bb.private_seg_size, 0
	.set _ZN7rocprim6detail20lookback_scan_kernelILNS0_25lookback_scan_determinismE0ELb1ENS0_19wrapped_scan_configINS_14default_configE12hip_bfloat16EEN6hipcub22TransformInputIteratorIS5_NS7_6CastOpIS5_EEPS5_lEESB_NS7_3MaxENS_12future_valueIS5_SB_EES5_NS0_19lookback_scan_stateIS5_Lb0ELb1EEEEEvT2_T3_mT5_T4_T7_jPT6_SO_bb.uses_vcc, 1
	.set _ZN7rocprim6detail20lookback_scan_kernelILNS0_25lookback_scan_determinismE0ELb1ENS0_19wrapped_scan_configINS_14default_configE12hip_bfloat16EEN6hipcub22TransformInputIteratorIS5_NS7_6CastOpIS5_EEPS5_lEESB_NS7_3MaxENS_12future_valueIS5_SB_EES5_NS0_19lookback_scan_stateIS5_Lb0ELb1EEEEEvT2_T3_mT5_T4_T7_jPT6_SO_bb.uses_flat_scratch, 0
	.set _ZN7rocprim6detail20lookback_scan_kernelILNS0_25lookback_scan_determinismE0ELb1ENS0_19wrapped_scan_configINS_14default_configE12hip_bfloat16EEN6hipcub22TransformInputIteratorIS5_NS7_6CastOpIS5_EEPS5_lEESB_NS7_3MaxENS_12future_valueIS5_SB_EES5_NS0_19lookback_scan_stateIS5_Lb0ELb1EEEEEvT2_T3_mT5_T4_T7_jPT6_SO_bb.has_dyn_sized_stack, 0
	.set _ZN7rocprim6detail20lookback_scan_kernelILNS0_25lookback_scan_determinismE0ELb1ENS0_19wrapped_scan_configINS_14default_configE12hip_bfloat16EEN6hipcub22TransformInputIteratorIS5_NS7_6CastOpIS5_EEPS5_lEESB_NS7_3MaxENS_12future_valueIS5_SB_EES5_NS0_19lookback_scan_stateIS5_Lb0ELb1EEEEEvT2_T3_mT5_T4_T7_jPT6_SO_bb.has_recursion, 0
	.set _ZN7rocprim6detail20lookback_scan_kernelILNS0_25lookback_scan_determinismE0ELb1ENS0_19wrapped_scan_configINS_14default_configE12hip_bfloat16EEN6hipcub22TransformInputIteratorIS5_NS7_6CastOpIS5_EEPS5_lEESB_NS7_3MaxENS_12future_valueIS5_SB_EES5_NS0_19lookback_scan_stateIS5_Lb0ELb1EEEEEvT2_T3_mT5_T4_T7_jPT6_SO_bb.has_indirect_call, 0
	.section	.AMDGPU.csdata,"",@progbits
; Kernel info:
; codeLenInByte = 9816
; TotalNumSgprs: 30
; NumVgprs: 85
; ScratchSize: 0
; MemoryBound: 0
; FloatMode: 240
; IeeeMode: 1
; LDSByteSize: 12288 bytes/workgroup (compile time only)
; SGPRBlocks: 12
; VGPRBlocks: 21
; NumSGPRsForWavesPerEU: 102
; NumVGPRsForWavesPerEU: 85
; Occupancy: 2
; WaveLimiterHint : 1
; COMPUTE_PGM_RSRC2:SCRATCH_EN: 0
; COMPUTE_PGM_RSRC2:USER_SGPR: 6
; COMPUTE_PGM_RSRC2:TRAP_HANDLER: 0
; COMPUTE_PGM_RSRC2:TGID_X_EN: 1
; COMPUTE_PGM_RSRC2:TGID_Y_EN: 0
; COMPUTE_PGM_RSRC2:TGID_Z_EN: 0
; COMPUTE_PGM_RSRC2:TIDIG_COMP_CNT: 0
	.section	.text._ZN7rocprim6detail18single_scan_kernelILb1ENS0_19wrapped_scan_configINS_14default_configE12hip_bfloat16EEN6hipcub22TransformInputIteratorIS4_NS6_6CastOpIS4_EEPS4_lEESA_NS6_3MaxENS_12future_valueIS4_SA_EES4_EEvT1_mT4_T2_T3_,"axG",@progbits,_ZN7rocprim6detail18single_scan_kernelILb1ENS0_19wrapped_scan_configINS_14default_configE12hip_bfloat16EEN6hipcub22TransformInputIteratorIS4_NS6_6CastOpIS4_EEPS4_lEESA_NS6_3MaxENS_12future_valueIS4_SA_EES4_EEvT1_mT4_T2_T3_,comdat
	.protected	_ZN7rocprim6detail18single_scan_kernelILb1ENS0_19wrapped_scan_configINS_14default_configE12hip_bfloat16EEN6hipcub22TransformInputIteratorIS4_NS6_6CastOpIS4_EEPS4_lEESA_NS6_3MaxENS_12future_valueIS4_SA_EES4_EEvT1_mT4_T2_T3_ ; -- Begin function _ZN7rocprim6detail18single_scan_kernelILb1ENS0_19wrapped_scan_configINS_14default_configE12hip_bfloat16EEN6hipcub22TransformInputIteratorIS4_NS6_6CastOpIS4_EEPS4_lEESA_NS6_3MaxENS_12future_valueIS4_SA_EES4_EEvT1_mT4_T2_T3_
	.globl	_ZN7rocprim6detail18single_scan_kernelILb1ENS0_19wrapped_scan_configINS_14default_configE12hip_bfloat16EEN6hipcub22TransformInputIteratorIS4_NS6_6CastOpIS4_EEPS4_lEESA_NS6_3MaxENS_12future_valueIS4_SA_EES4_EEvT1_mT4_T2_T3_
	.p2align	8
	.type	_ZN7rocprim6detail18single_scan_kernelILb1ENS0_19wrapped_scan_configINS_14default_configE12hip_bfloat16EEN6hipcub22TransformInputIteratorIS4_NS6_6CastOpIS4_EEPS4_lEESA_NS6_3MaxENS_12future_valueIS4_SA_EES4_EEvT1_mT4_T2_T3_,@function
_ZN7rocprim6detail18single_scan_kernelILb1ENS0_19wrapped_scan_configINS_14default_configE12hip_bfloat16EEN6hipcub22TransformInputIteratorIS4_NS6_6CastOpIS4_EEPS4_lEESA_NS6_3MaxENS_12future_valueIS4_SA_EES4_EEvT1_mT4_T2_T3_: ; @_ZN7rocprim6detail18single_scan_kernelILb1ENS0_19wrapped_scan_configINS_14default_configE12hip_bfloat16EEN6hipcub22TransformInputIteratorIS4_NS6_6CastOpIS4_EEPS4_lEESA_NS6_3MaxENS_12future_valueIS4_SA_EES4_EEvT1_mT4_T2_T3_
; %bb.0:
	s_load_dwordx2 s[0:1], s[4:5], 0x0
	s_load_dwordx4 s[48:51], s[4:5], 0x10
	v_mov_b32_e32 v1, 0
	v_lshlrev_b32_e32 v13, 1, v0
	s_waitcnt lgkmcnt(0)
	global_load_ushort v3, v1, s[0:1]
	global_load_ushort v14, v1, s[50:51]
	v_mov_b32_e32 v2, s1
	v_add_co_u32_e32 v1, vcc, s0, v13
	v_addc_co_u32_e32 v2, vcc, 0, v2, vcc
	v_cmp_gt_u32_e64 s[0:1], s48, v0
	s_waitcnt vmcnt(1)
	v_mov_b32_e32 v4, v3
	s_and_saveexec_b64 s[2:3], s[0:1]
	s_cbranch_execz .LBB138_2
; %bb.1:
	global_load_ushort v4, v[1:2], off
.LBB138_2:
	s_or_b64 exec, exec, s[2:3]
	v_or_b32_e32 v5, 0x100, v0
	v_cmp_gt_u32_e64 s[2:3], s48, v5
	v_mov_b32_e32 v5, v3
	s_and_saveexec_b64 s[6:7], s[2:3]
	s_cbranch_execz .LBB138_4
; %bb.3:
	global_load_ushort v5, v[1:2], off offset:512
.LBB138_4:
	s_or_b64 exec, exec, s[6:7]
	v_or_b32_e32 v6, 0x200, v0
	v_cmp_gt_u32_e64 s[50:51], s48, v6
	v_mov_b32_e32 v6, v3
	s_and_saveexec_b64 s[6:7], s[50:51]
	s_cbranch_execz .LBB138_6
; %bb.5:
	global_load_ushort v6, v[1:2], off offset:1024
.LBB138_6:
	;; [unrolled: 9-line block ×7, first 2 shown]
	s_or_b64 exec, exec, s[16:17]
	v_or_b32_e32 v12, 0x800, v0
	v_cmp_gt_u32_e64 s[16:17], s48, v12
	v_mov_b32_e32 v12, v3
	s_and_saveexec_b64 s[18:19], s[16:17]
	s_cbranch_execz .LBB138_18
; %bb.17:
	v_add_co_u32_e32 v15, vcc, 0x1000, v1
	v_addc_co_u32_e32 v16, vcc, 0, v2, vcc
	global_load_ushort v12, v[15:16], off
.LBB138_18:
	s_or_b64 exec, exec, s[18:19]
	v_or_b32_e32 v15, 0x900, v0
	v_cmp_gt_u32_e64 s[18:19], s48, v15
	v_mov_b32_e32 v15, v3
	s_and_saveexec_b64 s[20:21], s[18:19]
	s_cbranch_execz .LBB138_20
; %bb.19:
	v_add_co_u32_e32 v15, vcc, 0x1000, v1
	v_addc_co_u32_e32 v16, vcc, 0, v2, vcc
	global_load_ushort v15, v[15:16], off offset:512
.LBB138_20:
	s_or_b64 exec, exec, s[20:21]
	v_or_b32_e32 v16, 0xa00, v0
	v_cmp_gt_u32_e64 s[20:21], s48, v16
	v_mov_b32_e32 v16, v3
	s_and_saveexec_b64 s[22:23], s[20:21]
	s_cbranch_execz .LBB138_22
; %bb.21:
	v_add_co_u32_e32 v16, vcc, 0x1000, v1
	v_addc_co_u32_e32 v17, vcc, 0, v2, vcc
	global_load_ushort v16, v[16:17], off offset:1024
.LBB138_22:
	;; [unrolled: 11-line block ×7, first 2 shown]
	s_or_b64 exec, exec, s[34:35]
	v_or_b32_e32 v22, 0x1000, v0
	v_cmp_gt_u32_e64 s[34:35], s48, v22
	v_mov_b32_e32 v22, v3
	s_and_saveexec_b64 s[36:37], s[34:35]
	s_cbranch_execz .LBB138_34
; %bb.33:
	v_add_co_u32_e32 v22, vcc, 0x2000, v1
	v_addc_co_u32_e32 v23, vcc, 0, v2, vcc
	global_load_ushort v22, v[22:23], off
.LBB138_34:
	s_or_b64 exec, exec, s[36:37]
	v_or_b32_e32 v23, 0x1100, v0
	v_cmp_gt_u32_e64 s[36:37], s48, v23
	v_mov_b32_e32 v23, v3
	s_and_saveexec_b64 s[38:39], s[36:37]
	s_cbranch_execz .LBB138_36
; %bb.35:
	v_add_co_u32_e32 v23, vcc, 0x2000, v1
	v_addc_co_u32_e32 v24, vcc, 0, v2, vcc
	global_load_ushort v23, v[23:24], off offset:512
.LBB138_36:
	s_or_b64 exec, exec, s[38:39]
	v_or_b32_e32 v24, 0x1200, v0
	v_cmp_gt_u32_e64 s[38:39], s48, v24
	v_mov_b32_e32 v24, v3
	s_and_saveexec_b64 s[40:41], s[38:39]
	s_cbranch_execz .LBB138_38
; %bb.37:
	v_add_co_u32_e32 v24, vcc, 0x2000, v1
	v_addc_co_u32_e32 v25, vcc, 0, v2, vcc
	global_load_ushort v24, v[24:25], off offset:1024
.LBB138_38:
	;; [unrolled: 11-line block ×6, first 2 shown]
	s_or_b64 exec, exec, s[52:53]
	v_or_b32_e32 v29, 0x1700, v0
	v_cmp_gt_u32_e64 s[48:49], s48, v29
	s_and_saveexec_b64 s[52:53], s[48:49]
	s_cbranch_execz .LBB138_48
; %bb.47:
	v_add_co_u32_e32 v1, vcc, 0x2000, v1
	v_addc_co_u32_e32 v2, vcc, 0, v2, vcc
	global_load_ushort v3, v[1:2], off offset:3584
.LBB138_48:
	s_or_b64 exec, exec, s[52:53]
	s_waitcnt vmcnt(0)
	ds_write_b16 v13, v4
	ds_write_b16 v13, v5 offset:512
	ds_write_b16 v13, v6 offset:1024
	;; [unrolled: 1-line block ×23, first 2 shown]
	v_mad_u32_u24 v9, v0, 46, v13
	s_waitcnt lgkmcnt(0)
	s_barrier
	ds_read_b128 v[5:8], v9
	ds_read_b128 v[1:4], v9 offset:16
	s_load_dwordx2 s[52:53], s[4:5], 0x20
	s_waitcnt lgkmcnt(0)
	v_and_b32_e32 v22, 0xffff0000, v5
	v_lshlrev_b32_e32 v24, 16, v5
	v_lshrrev_b32_e32 v23, 16, v5
	v_cmp_lt_f32_e32 vcc, v24, v22
	v_cndmask_b32_e32 v10, v5, v23, vcc
	v_lshlrev_b32_e32 v11, 16, v10
	v_lshlrev_b32_e32 v25, 16, v6
	v_cmp_lt_f32_e32 vcc, v11, v25
	v_cndmask_b32_e32 v10, v10, v6, vcc
	v_lshlrev_b32_e32 v11, 16, v10
	v_and_b32_e32 v26, 0xffff0000, v6
	v_lshrrev_b32_e32 v21, 16, v6
	v_cmp_lt_f32_e32 vcc, v11, v26
	v_cndmask_b32_e32 v10, v10, v21, vcc
	v_lshlrev_b32_e32 v11, 16, v10
	v_lshlrev_b32_e32 v27, 16, v7
	v_cmp_lt_f32_e32 vcc, v11, v27
	v_cndmask_b32_e32 v10, v10, v7, vcc
	v_lshlrev_b32_e32 v11, 16, v10
	v_and_b32_e32 v28, 0xffff0000, v7
	v_lshrrev_b32_e32 v20, 16, v7
	v_cmp_lt_f32_e32 vcc, v11, v28
	v_cndmask_b32_e32 v10, v10, v20, vcc
	v_lshlrev_b32_e32 v11, 16, v10
	v_lshlrev_b32_e32 v29, 16, v8
	v_cmp_lt_f32_e32 vcc, v11, v29
	v_cndmask_b32_e32 v10, v10, v8, vcc
	v_lshlrev_b32_e32 v11, 16, v10
	v_and_b32_e32 v30, 0xffff0000, v8
	v_lshrrev_b32_e32 v19, 16, v8
	v_cmp_lt_f32_e32 vcc, v11, v30
	v_cndmask_b32_e32 v10, v10, v19, vcc
	v_lshlrev_b32_e32 v11, 16, v10
	v_lshlrev_b32_e32 v31, 16, v1
	v_cmp_lt_f32_e32 vcc, v11, v31
	v_cndmask_b32_e32 v10, v10, v1, vcc
	v_lshlrev_b32_e32 v11, 16, v10
	v_and_b32_e32 v32, 0xffff0000, v1
	v_lshrrev_b32_e32 v18, 16, v1
	v_cmp_lt_f32_e32 vcc, v11, v32
	v_cndmask_b32_e32 v10, v10, v18, vcc
	v_lshlrev_b32_e32 v11, 16, v10
	v_lshlrev_b32_e32 v33, 16, v2
	v_cmp_lt_f32_e32 vcc, v11, v33
	v_cndmask_b32_e32 v10, v10, v2, vcc
	v_lshlrev_b32_e32 v11, 16, v10
	v_and_b32_e32 v34, 0xffff0000, v2
	v_lshrrev_b32_e32 v17, 16, v2
	v_cmp_lt_f32_e32 vcc, v11, v34
	v_cndmask_b32_e32 v10, v10, v17, vcc
	v_lshlrev_b32_e32 v11, 16, v10
	v_lshlrev_b32_e32 v35, 16, v3
	v_cmp_lt_f32_e32 vcc, v11, v35
	v_cndmask_b32_e32 v10, v10, v3, vcc
	v_lshlrev_b32_e32 v11, 16, v10
	v_and_b32_e32 v36, 0xffff0000, v3
	v_lshrrev_b32_e32 v16, 16, v3
	v_cmp_lt_f32_e32 vcc, v11, v36
	v_cndmask_b32_e32 v10, v10, v16, vcc
	v_lshlrev_b32_e32 v11, 16, v10
	v_lshlrev_b32_e32 v37, 16, v4
	v_cmp_lt_f32_e32 vcc, v11, v37
	v_cndmask_b32_e32 v39, v10, v4, vcc
	ds_read_b128 v[9:12], v9 offset:32
	v_lshlrev_b32_e32 v40, 16, v39
	v_and_b32_e32 v38, 0xffff0000, v4
	v_lshrrev_b32_e32 v15, 16, v4
	v_cmp_lt_f32_e32 vcc, v40, v38
	v_cndmask_b32_e32 v40, v39, v15, vcc
	v_lshlrev_b32_e32 v41, 16, v40
	s_waitcnt lgkmcnt(0)
	v_lshlrev_b32_e32 v39, 16, v9
	v_cmp_lt_f32_e32 vcc, v41, v39
	v_cndmask_b32_e32 v42, v40, v9, vcc
	v_lshlrev_b32_e32 v43, 16, v42
	v_and_b32_e32 v40, 0xffff0000, v9
	v_lshrrev_b32_e32 v41, 16, v9
	v_cmp_lt_f32_e32 vcc, v43, v40
	v_cndmask_b32_e32 v43, v42, v41, vcc
	v_lshlrev_b32_e32 v44, 16, v43
	v_lshlrev_b32_e32 v42, 16, v10
	v_cmp_lt_f32_e32 vcc, v44, v42
	v_cndmask_b32_e32 v45, v43, v10, vcc
	v_lshlrev_b32_e32 v46, 16, v45
	v_and_b32_e32 v43, 0xffff0000, v10
	v_lshrrev_b32_e32 v44, 16, v10
	v_cmp_lt_f32_e32 vcc, v46, v43
	v_cndmask_b32_e32 v46, v45, v44, vcc
	v_lshlrev_b32_e32 v47, 16, v46
	;; [unrolled: 9-line block ×3, first 2 shown]
	v_lshlrev_b32_e32 v48, 16, v12
	v_cmp_lt_f32_e32 vcc, v50, v48
	v_cndmask_b32_e32 v49, v49, v12, vcc
	v_lshlrev_b32_e32 v50, 16, v49
	v_and_b32_e32 v51, 0xffff0000, v12
	v_lshrrev_b32_e32 v52, 16, v12
	v_cmp_lt_f32_e32 vcc, v50, v51
	v_cndmask_b32_e32 v50, v49, v52, vcc
	v_and_b32_e32 v51, 0xffff, v50
	v_lshlrev_b32_e32 v54, 16, v50
	v_mbcnt_lo_u32_b32 v49, -1, 0
	v_mov_b32_dpp v52, v51 row_shr:1 row_mask:0xf bank_mask:0xf
	v_lshlrev_b32_e32 v53, 16, v52
	v_mbcnt_hi_u32_b32 v49, -1, v49
	v_cmp_lt_f32_e32 vcc, v53, v54
	v_cndmask_b32_e32 v52, v52, v50, vcc
	v_and_b32_e32 v53, 15, v49
	v_and_b32_e32 v54, 0xffff, v52
	v_cmp_eq_u32_e32 vcc, 0, v53
	v_cndmask_b32_e32 v51, v54, v51, vcc
	v_lshlrev_b32_e32 v56, 16, v51
	v_cndmask_b32_e32 v50, v52, v50, vcc
	v_mov_b32_dpp v54, v51 row_shr:2 row_mask:0xf bank_mask:0xf
	v_lshlrev_b32_e32 v55, 16, v54
	v_cmp_lt_f32_e32 vcc, v55, v56
	v_cndmask_b32_e32 v52, v54, v50, vcc
	v_and_b32_e32 v54, 0xffff, v52
	v_cmp_lt_u32_e32 vcc, 1, v53
	v_cndmask_b32_e32 v51, v51, v54, vcc
	v_lshlrev_b32_e32 v56, 16, v51
	v_cndmask_b32_e32 v50, v50, v52, vcc
	v_mov_b32_dpp v54, v51 row_shr:4 row_mask:0xf bank_mask:0xf
	v_lshlrev_b32_e32 v55, 16, v54
	v_cmp_lt_f32_e32 vcc, v55, v56
	v_cndmask_b32_e32 v52, v54, v50, vcc
	v_and_b32_e32 v54, 0xffff, v52
	v_cmp_lt_u32_e32 vcc, 3, v53
	v_cndmask_b32_e32 v51, v51, v54, vcc
	v_lshlrev_b32_e32 v56, 16, v51
	v_cndmask_b32_e32 v50, v50, v52, vcc
	v_mov_b32_dpp v54, v51 row_shr:8 row_mask:0xf bank_mask:0xf
	v_lshlrev_b32_e32 v55, 16, v54
	v_cmp_lt_f32_e32 vcc, v55, v56
	v_cndmask_b32_e32 v52, v54, v50, vcc
	v_and_b32_e32 v54, 0xffff, v52
	v_cmp_lt_u32_e32 vcc, 7, v53
	v_cndmask_b32_e32 v51, v51, v54, vcc
	v_lshlrev_b32_e32 v55, 16, v51
	v_cndmask_b32_e32 v50, v50, v52, vcc
	v_mov_b32_dpp v53, v51 row_bcast:15 row_mask:0xf bank_mask:0xf
	v_lshlrev_b32_e32 v54, 16, v53
	v_cmp_lt_f32_e32 vcc, v54, v55
	v_and_b32_e32 v52, 16, v49
	v_cndmask_b32_e32 v53, v53, v50, vcc
	v_and_b32_e32 v54, 0xffff, v53
	v_cmp_eq_u32_e32 vcc, 0, v52
	v_cndmask_b32_e32 v51, v54, v51, vcc
	v_cndmask_b32_e32 v50, v53, v50, vcc
	s_nop 0
	v_mov_b32_dpp v52, v51 row_bcast:31 row_mask:0xf bank_mask:0xf
	v_lshlrev_b32_e32 v51, 16, v51
	v_lshlrev_b32_e32 v54, 16, v52
	v_cmp_lt_f32_e32 vcc, v54, v51
	v_cndmask_b32_e32 v51, v52, v50, vcc
	v_cmp_lt_u32_e32 vcc, 31, v49
	v_cndmask_b32_e32 v51, v50, v51, vcc
	v_or_b32_e32 v50, 63, v0
	v_cmp_eq_u32_e32 vcc, v0, v50
	v_lshrrev_b32_e32 v52, 6, v0
	s_barrier
	s_and_saveexec_b64 s[4:5], vcc
; %bb.49:
	v_lshlrev_b32_e32 v50, 1, v52
	ds_write_b16 v50, v51
; %bb.50:
	s_or_b64 exec, exec, s[4:5]
	v_cmp_gt_u32_e32 vcc, 4, v0
	s_waitcnt lgkmcnt(0)
	s_barrier
	s_and_saveexec_b64 s[4:5], vcc
	s_cbranch_execz .LBB138_52
; %bb.51:
	ds_read_u16 v50, v13
	v_and_b32_e32 v53, 3, v49
	s_waitcnt lgkmcnt(0)
	v_and_b32_e32 v54, 0xffff, v50
	s_nop 1
	v_mov_b32_dpp v56, v54 row_shr:1 row_mask:0xf bank_mask:0xf
	v_lshlrev_b32_e32 v55, 16, v50
	v_lshlrev_b32_e32 v57, 16, v56
	v_cmp_lt_f32_e32 vcc, v57, v55
	v_cndmask_b32_e32 v55, v56, v50, vcc
	v_and_b32_e32 v56, 0xffff, v55
	v_cmp_eq_u32_e32 vcc, 0, v53
	v_cndmask_b32_e32 v54, v56, v54, vcc
	v_cndmask_b32_e32 v50, v55, v50, vcc
	s_nop 0
	v_mov_b32_dpp v55, v54 row_shr:2 row_mask:0xf bank_mask:0xf
	v_lshlrev_b32_e32 v56, 16, v55
	v_lshlrev_b32_e32 v54, 16, v54
	v_cmp_lt_f32_e32 vcc, v56, v54
	v_cndmask_b32_e32 v54, v55, v50, vcc
	v_cmp_lt_u32_e32 vcc, 1, v53
	v_cndmask_b32_e32 v50, v50, v54, vcc
	ds_write_b16 v13, v50
.LBB138_52:
	s_or_b64 exec, exec, s[4:5]
	v_mul_u32_u24_e32 v50, 46, v0
	v_cmp_lt_u32_e32 vcc, 63, v0
	v_mov_b32_e32 v53, v14
	s_waitcnt lgkmcnt(0)
	s_barrier
	s_and_saveexec_b64 s[4:5], vcc
	s_cbranch_execz .LBB138_54
; %bb.53:
	v_lshl_add_u32 v52, v52, 1, -2
	ds_read_u16 v52, v52
	v_lshlrev_b32_e32 v53, 16, v14
	s_waitcnt lgkmcnt(0)
	v_lshlrev_b32_e32 v54, 16, v52
	v_cmp_lt_f32_e32 vcc, v53, v54
	v_cndmask_b32_e32 v53, v14, v52, vcc
.LBB138_54:
	s_or_b64 exec, exec, s[4:5]
	v_lshlrev_b32_e32 v52, 16, v51
	v_lshlrev_b32_e32 v54, 16, v53
	v_cmp_lt_f32_e32 vcc, v54, v52
	v_cndmask_b32_e32 v51, v53, v51, vcc
	v_subrev_co_u32_e32 v52, vcc, 1, v49
	v_and_b32_e32 v54, 64, v49
	v_cmp_lt_i32_e64 s[4:5], v52, v54
	v_cndmask_b32_e64 v49, v52, v49, s[4:5]
	v_lshlrev_b32_e32 v49, 2, v49
	v_and_b32_e32 v51, 0xffff, v51
	ds_bpermute_b32 v49, v49, v51
	s_mov_b32 s4, 0x5040100
	s_waitcnt lgkmcnt(0)
	s_barrier
	v_cndmask_b32_e32 v49, v49, v53, vcc
	v_cmp_eq_u32_e32 vcc, 0, v0
	v_cndmask_b32_e32 v0, v49, v14, vcc
	v_lshlrev_b32_e32 v14, 16, v0
	v_cmp_gt_f32_e32 vcc, v24, v14
	v_cndmask_b32_e32 v5, v0, v5, vcc
	v_lshlrev_b32_e32 v14, 16, v5
	v_cmp_gt_f32_e32 vcc, v22, v14
	;; [unrolled: 3-line block ×23, first 2 shown]
	v_add_u32_e32 v28, v13, v50
	v_perm_b32 v3, v8, v20, s4
	v_perm_b32 v2, v7, v21, s4
	;; [unrolled: 1-line block ×4, first 2 shown]
	v_cndmask_b32_e32 v12, v27, v12, vcc
	ds_write_b128 v28, v[0:3]
	v_perm_b32 v3, v4, v16, s4
	v_perm_b32 v2, v24, v17, s4
	v_perm_b32 v1, v23, v18, s4
	v_perm_b32 v0, v22, v19, s4
	ds_write_b128 v28, v[0:3] offset:16
	v_perm_b32 v3, v12, v27, s4
	v_perm_b32 v2, v11, v26, s4
	;; [unrolled: 1-line block ×4, first 2 shown]
	ds_write_b128 v28, v[0:3] offset:32
	s_waitcnt lgkmcnt(0)
	s_barrier
	ds_read_u16 v25, v13 offset:512
	ds_read_u16 v24, v13 offset:1024
	;; [unrolled: 1-line block ×23, first 2 shown]
	v_mov_b32_e32 v1, s53
	v_add_co_u32_e32 v0, vcc, s52, v13
	v_addc_co_u32_e32 v1, vcc, 0, v1, vcc
	s_and_saveexec_b64 s[4:5], s[0:1]
	s_cbranch_execnz .LBB138_79
; %bb.55:
	s_or_b64 exec, exec, s[4:5]
	s_and_saveexec_b64 s[0:1], s[2:3]
	s_cbranch_execnz .LBB138_80
.LBB138_56:
	s_or_b64 exec, exec, s[0:1]
	s_and_saveexec_b64 s[0:1], s[50:51]
	s_cbranch_execnz .LBB138_81
.LBB138_57:
	s_or_b64 exec, exec, s[0:1]
	s_and_saveexec_b64 s[0:1], s[6:7]
	s_cbranch_execnz .LBB138_82
.LBB138_58:
	s_or_b64 exec, exec, s[0:1]
	s_and_saveexec_b64 s[0:1], s[8:9]
	s_cbranch_execnz .LBB138_83
.LBB138_59:
	s_or_b64 exec, exec, s[0:1]
	s_and_saveexec_b64 s[0:1], s[10:11]
	s_cbranch_execnz .LBB138_84
.LBB138_60:
	s_or_b64 exec, exec, s[0:1]
	s_and_saveexec_b64 s[0:1], s[12:13]
	s_cbranch_execnz .LBB138_85
.LBB138_61:
	s_or_b64 exec, exec, s[0:1]
	s_and_saveexec_b64 s[0:1], s[14:15]
	s_cbranch_execnz .LBB138_86
.LBB138_62:
	s_or_b64 exec, exec, s[0:1]
	s_and_saveexec_b64 s[0:1], s[16:17]
	s_cbranch_execnz .LBB138_87
.LBB138_63:
	s_or_b64 exec, exec, s[0:1]
	s_and_saveexec_b64 s[0:1], s[18:19]
	s_cbranch_execnz .LBB138_88
.LBB138_64:
	s_or_b64 exec, exec, s[0:1]
	s_and_saveexec_b64 s[0:1], s[20:21]
	s_cbranch_execnz .LBB138_89
.LBB138_65:
	s_or_b64 exec, exec, s[0:1]
	s_and_saveexec_b64 s[0:1], s[22:23]
	s_cbranch_execnz .LBB138_90
.LBB138_66:
	s_or_b64 exec, exec, s[0:1]
	s_and_saveexec_b64 s[0:1], s[24:25]
	s_cbranch_execnz .LBB138_91
.LBB138_67:
	s_or_b64 exec, exec, s[0:1]
	s_and_saveexec_b64 s[0:1], s[26:27]
	s_cbranch_execnz .LBB138_92
.LBB138_68:
	s_or_b64 exec, exec, s[0:1]
	s_and_saveexec_b64 s[0:1], s[28:29]
	s_cbranch_execnz .LBB138_93
.LBB138_69:
	s_or_b64 exec, exec, s[0:1]
	s_and_saveexec_b64 s[0:1], s[30:31]
	s_cbranch_execnz .LBB138_94
.LBB138_70:
	s_or_b64 exec, exec, s[0:1]
	s_and_saveexec_b64 s[0:1], s[34:35]
	s_cbranch_execnz .LBB138_95
.LBB138_71:
	s_or_b64 exec, exec, s[0:1]
	s_and_saveexec_b64 s[0:1], s[36:37]
	s_cbranch_execnz .LBB138_96
.LBB138_72:
	s_or_b64 exec, exec, s[0:1]
	s_and_saveexec_b64 s[0:1], s[38:39]
	s_cbranch_execnz .LBB138_97
.LBB138_73:
	s_or_b64 exec, exec, s[0:1]
	s_and_saveexec_b64 s[0:1], s[40:41]
	s_cbranch_execnz .LBB138_98
.LBB138_74:
	s_or_b64 exec, exec, s[0:1]
	s_and_saveexec_b64 s[0:1], s[42:43]
	s_cbranch_execnz .LBB138_99
.LBB138_75:
	s_or_b64 exec, exec, s[0:1]
	s_and_saveexec_b64 s[0:1], s[44:45]
	s_cbranch_execnz .LBB138_100
.LBB138_76:
	s_or_b64 exec, exec, s[0:1]
	s_and_saveexec_b64 s[0:1], s[46:47]
	s_cbranch_execnz .LBB138_101
.LBB138_77:
	s_or_b64 exec, exec, s[0:1]
	s_and_saveexec_b64 s[0:1], s[48:49]
	s_cbranch_execnz .LBB138_102
.LBB138_78:
	s_endpgm
.LBB138_79:
	ds_read_u16 v13, v13
	s_waitcnt lgkmcnt(0)
	global_store_short v[0:1], v13, off
	s_or_b64 exec, exec, s[4:5]
	s_and_saveexec_b64 s[0:1], s[2:3]
	s_cbranch_execz .LBB138_56
.LBB138_80:
	s_waitcnt lgkmcnt(14)
	global_store_short v[0:1], v25, off offset:512
	s_or_b64 exec, exec, s[0:1]
	s_and_saveexec_b64 s[0:1], s[50:51]
	s_cbranch_execz .LBB138_57
.LBB138_81:
	s_waitcnt lgkmcnt(14)
	global_store_short v[0:1], v24, off offset:1024
	s_or_b64 exec, exec, s[0:1]
	s_and_saveexec_b64 s[0:1], s[6:7]
	s_cbranch_execz .LBB138_58
.LBB138_82:
	s_waitcnt lgkmcnt(14)
	global_store_short v[0:1], v23, off offset:1536
	s_or_b64 exec, exec, s[0:1]
	s_and_saveexec_b64 s[0:1], s[8:9]
	s_cbranch_execz .LBB138_59
.LBB138_83:
	s_waitcnt lgkmcnt(14)
	global_store_short v[0:1], v22, off offset:2048
	s_or_b64 exec, exec, s[0:1]
	s_and_saveexec_b64 s[0:1], s[10:11]
	s_cbranch_execz .LBB138_60
.LBB138_84:
	s_waitcnt lgkmcnt(14)
	global_store_short v[0:1], v21, off offset:2560
	s_or_b64 exec, exec, s[0:1]
	s_and_saveexec_b64 s[0:1], s[12:13]
	s_cbranch_execz .LBB138_61
.LBB138_85:
	s_waitcnt lgkmcnt(14)
	global_store_short v[0:1], v20, off offset:3072
	s_or_b64 exec, exec, s[0:1]
	s_and_saveexec_b64 s[0:1], s[14:15]
	s_cbranch_execz .LBB138_62
.LBB138_86:
	s_waitcnt lgkmcnt(14)
	global_store_short v[0:1], v19, off offset:3584
	s_or_b64 exec, exec, s[0:1]
	s_and_saveexec_b64 s[0:1], s[16:17]
	s_cbranch_execz .LBB138_63
.LBB138_87:
	s_waitcnt lgkmcnt(14)
	v_add_co_u32_e32 v19, vcc, 0x1000, v0
	v_addc_co_u32_e32 v20, vcc, 0, v1, vcc
	global_store_short v[19:20], v18, off
	s_or_b64 exec, exec, s[0:1]
	s_and_saveexec_b64 s[0:1], s[18:19]
	s_cbranch_execz .LBB138_64
.LBB138_88:
	s_waitcnt lgkmcnt(14)
	v_add_co_u32_e32 v18, vcc, 0x1000, v0
	v_addc_co_u32_e32 v19, vcc, 0, v1, vcc
	global_store_short v[18:19], v17, off offset:512
	s_or_b64 exec, exec, s[0:1]
	s_and_saveexec_b64 s[0:1], s[20:21]
	s_cbranch_execz .LBB138_65
.LBB138_89:
	s_waitcnt lgkmcnt(14)
	v_add_co_u32_e32 v17, vcc, 0x1000, v0
	v_addc_co_u32_e32 v18, vcc, 0, v1, vcc
	s_waitcnt lgkmcnt(13)
	global_store_short v[17:18], v16, off offset:1024
	s_or_b64 exec, exec, s[0:1]
	s_and_saveexec_b64 s[0:1], s[22:23]
	s_cbranch_execz .LBB138_66
.LBB138_90:
	s_waitcnt lgkmcnt(13)
	v_add_co_u32_e32 v16, vcc, 0x1000, v0
	v_addc_co_u32_e32 v17, vcc, 0, v1, vcc
	s_waitcnt lgkmcnt(12)
	global_store_short v[16:17], v15, off offset:1536
	s_or_b64 exec, exec, s[0:1]
	s_and_saveexec_b64 s[0:1], s[24:25]
	s_cbranch_execz .LBB138_67
.LBB138_91:
	s_waitcnt lgkmcnt(12)
	v_add_co_u32_e32 v15, vcc, 0x1000, v0
	v_addc_co_u32_e32 v16, vcc, 0, v1, vcc
	s_waitcnt lgkmcnt(11)
	global_store_short v[15:16], v14, off offset:2048
	s_or_b64 exec, exec, s[0:1]
	s_and_saveexec_b64 s[0:1], s[26:27]
	s_cbranch_execz .LBB138_68
.LBB138_92:
	v_add_co_u32_e32 v13, vcc, 0x1000, v0
	s_waitcnt lgkmcnt(11)
	v_addc_co_u32_e32 v14, vcc, 0, v1, vcc
	s_waitcnt lgkmcnt(10)
	global_store_short v[13:14], v12, off offset:2560
	s_or_b64 exec, exec, s[0:1]
	s_and_saveexec_b64 s[0:1], s[28:29]
	s_cbranch_execz .LBB138_69
.LBB138_93:
	s_waitcnt lgkmcnt(10)
	v_add_co_u32_e32 v12, vcc, 0x1000, v0
	v_addc_co_u32_e32 v13, vcc, 0, v1, vcc
	s_waitcnt lgkmcnt(9)
	global_store_short v[12:13], v11, off offset:3072
	s_or_b64 exec, exec, s[0:1]
	s_and_saveexec_b64 s[0:1], s[30:31]
	s_cbranch_execz .LBB138_70
.LBB138_94:
	s_waitcnt lgkmcnt(9)
	v_add_co_u32_e32 v11, vcc, 0x1000, v0
	v_addc_co_u32_e32 v12, vcc, 0, v1, vcc
	s_waitcnt lgkmcnt(8)
	global_store_short v[11:12], v10, off offset:3584
	s_or_b64 exec, exec, s[0:1]
	s_and_saveexec_b64 s[0:1], s[34:35]
	s_cbranch_execz .LBB138_71
.LBB138_95:
	s_waitcnt lgkmcnt(8)
	v_add_co_u32_e32 v10, vcc, 0x2000, v0
	v_addc_co_u32_e32 v11, vcc, 0, v1, vcc
	s_waitcnt lgkmcnt(7)
	global_store_short v[10:11], v9, off
	s_or_b64 exec, exec, s[0:1]
	s_and_saveexec_b64 s[0:1], s[36:37]
	s_cbranch_execz .LBB138_72
.LBB138_96:
	s_waitcnt lgkmcnt(7)
	v_add_co_u32_e32 v9, vcc, 0x2000, v0
	v_addc_co_u32_e32 v10, vcc, 0, v1, vcc
	s_waitcnt lgkmcnt(6)
	global_store_short v[9:10], v8, off offset:512
	s_or_b64 exec, exec, s[0:1]
	s_and_saveexec_b64 s[0:1], s[38:39]
	s_cbranch_execz .LBB138_73
.LBB138_97:
	s_waitcnt lgkmcnt(6)
	v_add_co_u32_e32 v8, vcc, 0x2000, v0
	v_addc_co_u32_e32 v9, vcc, 0, v1, vcc
	s_waitcnt lgkmcnt(5)
	global_store_short v[8:9], v7, off offset:1024
	s_or_b64 exec, exec, s[0:1]
	s_and_saveexec_b64 s[0:1], s[40:41]
	s_cbranch_execz .LBB138_74
.LBB138_98:
	s_waitcnt lgkmcnt(5)
	v_add_co_u32_e32 v7, vcc, 0x2000, v0
	v_addc_co_u32_e32 v8, vcc, 0, v1, vcc
	s_waitcnt lgkmcnt(4)
	global_store_short v[7:8], v6, off offset:1536
	s_or_b64 exec, exec, s[0:1]
	s_and_saveexec_b64 s[0:1], s[42:43]
	s_cbranch_execz .LBB138_75
.LBB138_99:
	s_waitcnt lgkmcnt(4)
	v_add_co_u32_e32 v6, vcc, 0x2000, v0
	v_addc_co_u32_e32 v7, vcc, 0, v1, vcc
	s_waitcnt lgkmcnt(3)
	global_store_short v[6:7], v5, off offset:2048
	s_or_b64 exec, exec, s[0:1]
	s_and_saveexec_b64 s[0:1], s[44:45]
	s_cbranch_execz .LBB138_76
.LBB138_100:
	s_waitcnt lgkmcnt(3)
	v_add_co_u32_e32 v5, vcc, 0x2000, v0
	v_addc_co_u32_e32 v6, vcc, 0, v1, vcc
	s_waitcnt lgkmcnt(2)
	global_store_short v[5:6], v4, off offset:2560
	s_or_b64 exec, exec, s[0:1]
	s_and_saveexec_b64 s[0:1], s[46:47]
	s_cbranch_execz .LBB138_77
.LBB138_101:
	s_waitcnt lgkmcnt(2)
	v_add_co_u32_e32 v4, vcc, 0x2000, v0
	v_addc_co_u32_e32 v5, vcc, 0, v1, vcc
	s_waitcnt lgkmcnt(1)
	global_store_short v[4:5], v3, off offset:3072
	s_or_b64 exec, exec, s[0:1]
	s_and_saveexec_b64 s[0:1], s[48:49]
	s_cbranch_execz .LBB138_78
.LBB138_102:
	v_add_co_u32_e32 v0, vcc, 0x2000, v0
	v_addc_co_u32_e32 v1, vcc, 0, v1, vcc
	s_waitcnt lgkmcnt(0)
	global_store_short v[0:1], v2, off offset:3584
	s_endpgm
	.section	.rodata,"a",@progbits
	.p2align	6, 0x0
	.amdhsa_kernel _ZN7rocprim6detail18single_scan_kernelILb1ENS0_19wrapped_scan_configINS_14default_configE12hip_bfloat16EEN6hipcub22TransformInputIteratorIS4_NS6_6CastOpIS4_EEPS4_lEESA_NS6_3MaxENS_12future_valueIS4_SA_EES4_EEvT1_mT4_T2_T3_
		.amdhsa_group_segment_fixed_size 12288
		.amdhsa_private_segment_fixed_size 0
		.amdhsa_kernarg_size 44
		.amdhsa_user_sgpr_count 6
		.amdhsa_user_sgpr_private_segment_buffer 1
		.amdhsa_user_sgpr_dispatch_ptr 0
		.amdhsa_user_sgpr_queue_ptr 0
		.amdhsa_user_sgpr_kernarg_segment_ptr 1
		.amdhsa_user_sgpr_dispatch_id 0
		.amdhsa_user_sgpr_flat_scratch_init 0
		.amdhsa_user_sgpr_private_segment_size 0
		.amdhsa_uses_dynamic_stack 0
		.amdhsa_system_sgpr_private_segment_wavefront_offset 0
		.amdhsa_system_sgpr_workgroup_id_x 1
		.amdhsa_system_sgpr_workgroup_id_y 0
		.amdhsa_system_sgpr_workgroup_id_z 0
		.amdhsa_system_sgpr_workgroup_info 0
		.amdhsa_system_vgpr_workitem_id 0
		.amdhsa_next_free_vgpr 58
		.amdhsa_next_free_sgpr 98
		.amdhsa_reserve_vcc 1
		.amdhsa_reserve_flat_scratch 0
		.amdhsa_float_round_mode_32 0
		.amdhsa_float_round_mode_16_64 0
		.amdhsa_float_denorm_mode_32 3
		.amdhsa_float_denorm_mode_16_64 3
		.amdhsa_dx10_clamp 1
		.amdhsa_ieee_mode 1
		.amdhsa_fp16_overflow 0
		.amdhsa_exception_fp_ieee_invalid_op 0
		.amdhsa_exception_fp_denorm_src 0
		.amdhsa_exception_fp_ieee_div_zero 0
		.amdhsa_exception_fp_ieee_overflow 0
		.amdhsa_exception_fp_ieee_underflow 0
		.amdhsa_exception_fp_ieee_inexact 0
		.amdhsa_exception_int_div_zero 0
	.end_amdhsa_kernel
	.section	.text._ZN7rocprim6detail18single_scan_kernelILb1ENS0_19wrapped_scan_configINS_14default_configE12hip_bfloat16EEN6hipcub22TransformInputIteratorIS4_NS6_6CastOpIS4_EEPS4_lEESA_NS6_3MaxENS_12future_valueIS4_SA_EES4_EEvT1_mT4_T2_T3_,"axG",@progbits,_ZN7rocprim6detail18single_scan_kernelILb1ENS0_19wrapped_scan_configINS_14default_configE12hip_bfloat16EEN6hipcub22TransformInputIteratorIS4_NS6_6CastOpIS4_EEPS4_lEESA_NS6_3MaxENS_12future_valueIS4_SA_EES4_EEvT1_mT4_T2_T3_,comdat
.Lfunc_end138:
	.size	_ZN7rocprim6detail18single_scan_kernelILb1ENS0_19wrapped_scan_configINS_14default_configE12hip_bfloat16EEN6hipcub22TransformInputIteratorIS4_NS6_6CastOpIS4_EEPS4_lEESA_NS6_3MaxENS_12future_valueIS4_SA_EES4_EEvT1_mT4_T2_T3_, .Lfunc_end138-_ZN7rocprim6detail18single_scan_kernelILb1ENS0_19wrapped_scan_configINS_14default_configE12hip_bfloat16EEN6hipcub22TransformInputIteratorIS4_NS6_6CastOpIS4_EEPS4_lEESA_NS6_3MaxENS_12future_valueIS4_SA_EES4_EEvT1_mT4_T2_T3_
                                        ; -- End function
	.set _ZN7rocprim6detail18single_scan_kernelILb1ENS0_19wrapped_scan_configINS_14default_configE12hip_bfloat16EEN6hipcub22TransformInputIteratorIS4_NS6_6CastOpIS4_EEPS4_lEESA_NS6_3MaxENS_12future_valueIS4_SA_EES4_EEvT1_mT4_T2_T3_.num_vgpr, 58
	.set _ZN7rocprim6detail18single_scan_kernelILb1ENS0_19wrapped_scan_configINS_14default_configE12hip_bfloat16EEN6hipcub22TransformInputIteratorIS4_NS6_6CastOpIS4_EEPS4_lEESA_NS6_3MaxENS_12future_valueIS4_SA_EES4_EEvT1_mT4_T2_T3_.num_agpr, 0
	.set _ZN7rocprim6detail18single_scan_kernelILb1ENS0_19wrapped_scan_configINS_14default_configE12hip_bfloat16EEN6hipcub22TransformInputIteratorIS4_NS6_6CastOpIS4_EEPS4_lEESA_NS6_3MaxENS_12future_valueIS4_SA_EES4_EEvT1_mT4_T2_T3_.numbered_sgpr, 54
	.set _ZN7rocprim6detail18single_scan_kernelILb1ENS0_19wrapped_scan_configINS_14default_configE12hip_bfloat16EEN6hipcub22TransformInputIteratorIS4_NS6_6CastOpIS4_EEPS4_lEESA_NS6_3MaxENS_12future_valueIS4_SA_EES4_EEvT1_mT4_T2_T3_.num_named_barrier, 0
	.set _ZN7rocprim6detail18single_scan_kernelILb1ENS0_19wrapped_scan_configINS_14default_configE12hip_bfloat16EEN6hipcub22TransformInputIteratorIS4_NS6_6CastOpIS4_EEPS4_lEESA_NS6_3MaxENS_12future_valueIS4_SA_EES4_EEvT1_mT4_T2_T3_.private_seg_size, 0
	.set _ZN7rocprim6detail18single_scan_kernelILb1ENS0_19wrapped_scan_configINS_14default_configE12hip_bfloat16EEN6hipcub22TransformInputIteratorIS4_NS6_6CastOpIS4_EEPS4_lEESA_NS6_3MaxENS_12future_valueIS4_SA_EES4_EEvT1_mT4_T2_T3_.uses_vcc, 1
	.set _ZN7rocprim6detail18single_scan_kernelILb1ENS0_19wrapped_scan_configINS_14default_configE12hip_bfloat16EEN6hipcub22TransformInputIteratorIS4_NS6_6CastOpIS4_EEPS4_lEESA_NS6_3MaxENS_12future_valueIS4_SA_EES4_EEvT1_mT4_T2_T3_.uses_flat_scratch, 0
	.set _ZN7rocprim6detail18single_scan_kernelILb1ENS0_19wrapped_scan_configINS_14default_configE12hip_bfloat16EEN6hipcub22TransformInputIteratorIS4_NS6_6CastOpIS4_EEPS4_lEESA_NS6_3MaxENS_12future_valueIS4_SA_EES4_EEvT1_mT4_T2_T3_.has_dyn_sized_stack, 0
	.set _ZN7rocprim6detail18single_scan_kernelILb1ENS0_19wrapped_scan_configINS_14default_configE12hip_bfloat16EEN6hipcub22TransformInputIteratorIS4_NS6_6CastOpIS4_EEPS4_lEESA_NS6_3MaxENS_12future_valueIS4_SA_EES4_EEvT1_mT4_T2_T3_.has_recursion, 0
	.set _ZN7rocprim6detail18single_scan_kernelILb1ENS0_19wrapped_scan_configINS_14default_configE12hip_bfloat16EEN6hipcub22TransformInputIteratorIS4_NS6_6CastOpIS4_EEPS4_lEESA_NS6_3MaxENS_12future_valueIS4_SA_EES4_EEvT1_mT4_T2_T3_.has_indirect_call, 0
	.section	.AMDGPU.csdata,"",@progbits
; Kernel info:
; codeLenInByte = 4248
; TotalNumSgprs: 58
; NumVgprs: 58
; ScratchSize: 0
; MemoryBound: 0
; FloatMode: 240
; IeeeMode: 1
; LDSByteSize: 12288 bytes/workgroup (compile time only)
; SGPRBlocks: 12
; VGPRBlocks: 14
; NumSGPRsForWavesPerEU: 102
; NumVGPRsForWavesPerEU: 58
; Occupancy: 4
; WaveLimiterHint : 0
; COMPUTE_PGM_RSRC2:SCRATCH_EN: 0
; COMPUTE_PGM_RSRC2:USER_SGPR: 6
; COMPUTE_PGM_RSRC2:TRAP_HANDLER: 0
; COMPUTE_PGM_RSRC2:TGID_X_EN: 1
; COMPUTE_PGM_RSRC2:TGID_Y_EN: 0
; COMPUTE_PGM_RSRC2:TGID_Z_EN: 0
; COMPUTE_PGM_RSRC2:TIDIG_COMP_CNT: 0
	.section	.text._ZL18fill_initial_valueI12hip_bfloat16EvPT_S1_,"axG",@progbits,_ZL18fill_initial_valueI12hip_bfloat16EvPT_S1_,comdat
	.globl	_ZL18fill_initial_valueI12hip_bfloat16EvPT_S1_ ; -- Begin function _ZL18fill_initial_valueI12hip_bfloat16EvPT_S1_
	.p2align	8
	.type	_ZL18fill_initial_valueI12hip_bfloat16EvPT_S1_,@function
_ZL18fill_initial_valueI12hip_bfloat16EvPT_S1_: ; @_ZL18fill_initial_valueI12hip_bfloat16EvPT_S1_
; %bb.0:
	s_load_dword s2, s[4:5], 0x8
	s_load_dwordx2 s[0:1], s[4:5], 0x0
	v_mov_b32_e32 v0, 0
	s_waitcnt lgkmcnt(0)
	v_mov_b32_e32 v1, s2
	global_store_short v0, v1, s[0:1]
	s_endpgm
	.section	.rodata,"a",@progbits
	.p2align	6, 0x0
	.amdhsa_kernel _ZL18fill_initial_valueI12hip_bfloat16EvPT_S1_
		.amdhsa_group_segment_fixed_size 0
		.amdhsa_private_segment_fixed_size 0
		.amdhsa_kernarg_size 12
		.amdhsa_user_sgpr_count 6
		.amdhsa_user_sgpr_private_segment_buffer 1
		.amdhsa_user_sgpr_dispatch_ptr 0
		.amdhsa_user_sgpr_queue_ptr 0
		.amdhsa_user_sgpr_kernarg_segment_ptr 1
		.amdhsa_user_sgpr_dispatch_id 0
		.amdhsa_user_sgpr_flat_scratch_init 0
		.amdhsa_user_sgpr_private_segment_size 0
		.amdhsa_uses_dynamic_stack 0
		.amdhsa_system_sgpr_private_segment_wavefront_offset 0
		.amdhsa_system_sgpr_workgroup_id_x 1
		.amdhsa_system_sgpr_workgroup_id_y 0
		.amdhsa_system_sgpr_workgroup_id_z 0
		.amdhsa_system_sgpr_workgroup_info 0
		.amdhsa_system_vgpr_workitem_id 0
		.amdhsa_next_free_vgpr 2
		.amdhsa_next_free_sgpr 6
		.amdhsa_reserve_vcc 0
		.amdhsa_reserve_flat_scratch 0
		.amdhsa_float_round_mode_32 0
		.amdhsa_float_round_mode_16_64 0
		.amdhsa_float_denorm_mode_32 3
		.amdhsa_float_denorm_mode_16_64 3
		.amdhsa_dx10_clamp 1
		.amdhsa_ieee_mode 1
		.amdhsa_fp16_overflow 0
		.amdhsa_exception_fp_ieee_invalid_op 0
		.amdhsa_exception_fp_denorm_src 0
		.amdhsa_exception_fp_ieee_div_zero 0
		.amdhsa_exception_fp_ieee_overflow 0
		.amdhsa_exception_fp_ieee_underflow 0
		.amdhsa_exception_fp_ieee_inexact 0
		.amdhsa_exception_int_div_zero 0
	.end_amdhsa_kernel
	.section	.text._ZL18fill_initial_valueI12hip_bfloat16EvPT_S1_,"axG",@progbits,_ZL18fill_initial_valueI12hip_bfloat16EvPT_S1_,comdat
.Lfunc_end139:
	.size	_ZL18fill_initial_valueI12hip_bfloat16EvPT_S1_, .Lfunc_end139-_ZL18fill_initial_valueI12hip_bfloat16EvPT_S1_
                                        ; -- End function
	.set _ZL18fill_initial_valueI12hip_bfloat16EvPT_S1_.num_vgpr, 2
	.set _ZL18fill_initial_valueI12hip_bfloat16EvPT_S1_.num_agpr, 0
	.set _ZL18fill_initial_valueI12hip_bfloat16EvPT_S1_.numbered_sgpr, 6
	.set _ZL18fill_initial_valueI12hip_bfloat16EvPT_S1_.num_named_barrier, 0
	.set _ZL18fill_initial_valueI12hip_bfloat16EvPT_S1_.private_seg_size, 0
	.set _ZL18fill_initial_valueI12hip_bfloat16EvPT_S1_.uses_vcc, 0
	.set _ZL18fill_initial_valueI12hip_bfloat16EvPT_S1_.uses_flat_scratch, 0
	.set _ZL18fill_initial_valueI12hip_bfloat16EvPT_S1_.has_dyn_sized_stack, 0
	.set _ZL18fill_initial_valueI12hip_bfloat16EvPT_S1_.has_recursion, 0
	.set _ZL18fill_initial_valueI12hip_bfloat16EvPT_S1_.has_indirect_call, 0
	.section	.AMDGPU.csdata,"",@progbits
; Kernel info:
; codeLenInByte = 40
; TotalNumSgprs: 10
; NumVgprs: 2
; ScratchSize: 0
; MemoryBound: 0
; FloatMode: 240
; IeeeMode: 1
; LDSByteSize: 0 bytes/workgroup (compile time only)
; SGPRBlocks: 1
; VGPRBlocks: 0
; NumSGPRsForWavesPerEU: 10
; NumVGPRsForWavesPerEU: 2
; Occupancy: 10
; WaveLimiterHint : 0
; COMPUTE_PGM_RSRC2:SCRATCH_EN: 0
; COMPUTE_PGM_RSRC2:USER_SGPR: 6
; COMPUTE_PGM_RSRC2:TRAP_HANDLER: 0
; COMPUTE_PGM_RSRC2:TGID_X_EN: 1
; COMPUTE_PGM_RSRC2:TGID_Y_EN: 0
; COMPUTE_PGM_RSRC2:TGID_Z_EN: 0
; COMPUTE_PGM_RSRC2:TIDIG_COMP_CNT: 0
	.section	.text._ZN7rocprim6detail31init_lookback_scan_state_kernelINS0_19lookback_scan_stateIdLb1ELb1EEEEEvT_jjPNS4_10value_typeE,"axG",@progbits,_ZN7rocprim6detail31init_lookback_scan_state_kernelINS0_19lookback_scan_stateIdLb1ELb1EEEEEvT_jjPNS4_10value_typeE,comdat
	.protected	_ZN7rocprim6detail31init_lookback_scan_state_kernelINS0_19lookback_scan_stateIdLb1ELb1EEEEEvT_jjPNS4_10value_typeE ; -- Begin function _ZN7rocprim6detail31init_lookback_scan_state_kernelINS0_19lookback_scan_stateIdLb1ELb1EEEEEvT_jjPNS4_10value_typeE
	.globl	_ZN7rocprim6detail31init_lookback_scan_state_kernelINS0_19lookback_scan_stateIdLb1ELb1EEEEEvT_jjPNS4_10value_typeE
	.p2align	8
	.type	_ZN7rocprim6detail31init_lookback_scan_state_kernelINS0_19lookback_scan_stateIdLb1ELb1EEEEEvT_jjPNS4_10value_typeE,@function
_ZN7rocprim6detail31init_lookback_scan_state_kernelINS0_19lookback_scan_stateIdLb1ELb1EEEEEvT_jjPNS4_10value_typeE: ; @_ZN7rocprim6detail31init_lookback_scan_state_kernelINS0_19lookback_scan_stateIdLb1ELb1EEEEEvT_jjPNS4_10value_typeE
; %bb.0:
	s_load_dword s7, s[4:5], 0x24
	s_load_dwordx2 s[8:9], s[4:5], 0x10
	s_load_dwordx4 s[0:3], s[4:5], 0x0
	s_waitcnt lgkmcnt(0)
	s_and_b32 s4, s7, 0xffff
	s_mul_i32 s6, s6, s4
	s_cmp_eq_u64 s[8:9], 0
	v_add_u32_e32 v0, s6, v0
	s_cbranch_scc1 .LBB140_10
; %bb.1:
	s_cmp_lt_u32 s3, s2
	s_cselect_b32 s4, s3, 0
	s_mov_b32 s7, 0
	v_cmp_eq_u32_e32 vcc, s4, v0
	s_and_saveexec_b64 s[4:5], vcc
	s_cbranch_execz .LBB140_9
; %bb.2:
	s_add_i32 s6, s3, 64
	s_lshl_b64 s[6:7], s[6:7], 4
	s_add_u32 s12, s0, s6
	s_addc_u32 s13, s1, s7
	v_mov_b32_e32 v1, s12
	v_mov_b32_e32 v2, s13
	;;#ASMSTART
	global_load_dwordx4 v[1:4], v[1:2] off glc	
s_waitcnt vmcnt(0)
	;;#ASMEND
	v_and_b32_e32 v4, 0xff, v3
	v_mov_b32_e32 v5, 0
	v_cmp_eq_u64_e32 vcc, 0, v[4:5]
	s_mov_b64 s[10:11], 0
	s_and_saveexec_b64 s[6:7], vcc
	s_cbranch_execz .LBB140_8
; %bb.3:
	v_mov_b32_e32 v6, s12
	s_mov_b32 s3, 1
	v_mov_b32_e32 v7, s13
.LBB140_4:                              ; =>This Loop Header: Depth=1
                                        ;     Child Loop BB140_5 Depth 2
	s_mov_b32 s12, s3
.LBB140_5:                              ;   Parent Loop BB140_4 Depth=1
                                        ; =>  This Inner Loop Header: Depth=2
	s_add_i32 s12, s12, -1
	s_cmp_eq_u32 s12, 0
	s_sleep 1
	s_cbranch_scc0 .LBB140_5
; %bb.6:                                ;   in Loop: Header=BB140_4 Depth=1
	s_cmp_lt_u32 s3, 32
	;;#ASMSTART
	global_load_dwordx4 v[1:4], v[6:7] off glc	
s_waitcnt vmcnt(0)
	;;#ASMEND
	s_cselect_b64 s[12:13], -1, 0
	v_and_b32_e32 v4, 0xff, v3
	s_cmp_lg_u64 s[12:13], 0
	v_cmp_ne_u64_e32 vcc, 0, v[4:5]
	s_addc_u32 s3, s3, 0
	s_or_b64 s[10:11], vcc, s[10:11]
	s_andn2_b64 exec, exec, s[10:11]
	s_cbranch_execnz .LBB140_4
; %bb.7:
	s_or_b64 exec, exec, s[10:11]
.LBB140_8:
	s_or_b64 exec, exec, s[6:7]
	v_mov_b32_e32 v3, 0
	global_store_dwordx2 v3, v[1:2], s[8:9]
.LBB140_9:
	s_or_b64 exec, exec, s[4:5]
.LBB140_10:
	v_cmp_gt_u32_e32 vcc, s2, v0
	s_and_saveexec_b64 s[2:3], vcc
	s_cbranch_execnz .LBB140_13
; %bb.11:
	s_or_b64 exec, exec, s[2:3]
	v_cmp_gt_u32_e32 vcc, 64, v0
	s_and_saveexec_b64 s[2:3], vcc
	s_cbranch_execnz .LBB140_14
.LBB140_12:
	s_endpgm
.LBB140_13:
	v_add_u32_e32 v1, 64, v0
	v_mov_b32_e32 v2, 0
	v_lshlrev_b64 v[3:4], 4, v[1:2]
	v_mov_b32_e32 v1, s1
	v_add_co_u32_e32 v5, vcc, s0, v3
	v_addc_co_u32_e32 v6, vcc, v1, v4, vcc
	v_mov_b32_e32 v1, v2
	v_mov_b32_e32 v3, v2
	;; [unrolled: 1-line block ×3, first 2 shown]
	global_store_dwordx4 v[5:6], v[1:4], off
	s_or_b64 exec, exec, s[2:3]
	v_cmp_gt_u32_e32 vcc, 64, v0
	s_and_saveexec_b64 s[2:3], vcc
	s_cbranch_execz .LBB140_12
.LBB140_14:
	v_mov_b32_e32 v1, 0
	v_lshlrev_b64 v[2:3], 4, v[0:1]
	v_mov_b32_e32 v0, s1
	v_add_co_u32_e32 v4, vcc, s0, v2
	v_addc_co_u32_e32 v5, vcc, v0, v3, vcc
	v_mov_b32_e32 v2, 0xff
	v_mov_b32_e32 v0, v1
	;; [unrolled: 1-line block ×3, first 2 shown]
	global_store_dwordx4 v[4:5], v[0:3], off
	s_endpgm
	.section	.rodata,"a",@progbits
	.p2align	6, 0x0
	.amdhsa_kernel _ZN7rocprim6detail31init_lookback_scan_state_kernelINS0_19lookback_scan_stateIdLb1ELb1EEEEEvT_jjPNS4_10value_typeE
		.amdhsa_group_segment_fixed_size 0
		.amdhsa_private_segment_fixed_size 0
		.amdhsa_kernarg_size 280
		.amdhsa_user_sgpr_count 6
		.amdhsa_user_sgpr_private_segment_buffer 1
		.amdhsa_user_sgpr_dispatch_ptr 0
		.amdhsa_user_sgpr_queue_ptr 0
		.amdhsa_user_sgpr_kernarg_segment_ptr 1
		.amdhsa_user_sgpr_dispatch_id 0
		.amdhsa_user_sgpr_flat_scratch_init 0
		.amdhsa_user_sgpr_private_segment_size 0
		.amdhsa_uses_dynamic_stack 0
		.amdhsa_system_sgpr_private_segment_wavefront_offset 0
		.amdhsa_system_sgpr_workgroup_id_x 1
		.amdhsa_system_sgpr_workgroup_id_y 0
		.amdhsa_system_sgpr_workgroup_id_z 0
		.amdhsa_system_sgpr_workgroup_info 0
		.amdhsa_system_vgpr_workitem_id 0
		.amdhsa_next_free_vgpr 8
		.amdhsa_next_free_sgpr 14
		.amdhsa_reserve_vcc 1
		.amdhsa_reserve_flat_scratch 0
		.amdhsa_float_round_mode_32 0
		.amdhsa_float_round_mode_16_64 0
		.amdhsa_float_denorm_mode_32 3
		.amdhsa_float_denorm_mode_16_64 3
		.amdhsa_dx10_clamp 1
		.amdhsa_ieee_mode 1
		.amdhsa_fp16_overflow 0
		.amdhsa_exception_fp_ieee_invalid_op 0
		.amdhsa_exception_fp_denorm_src 0
		.amdhsa_exception_fp_ieee_div_zero 0
		.amdhsa_exception_fp_ieee_overflow 0
		.amdhsa_exception_fp_ieee_underflow 0
		.amdhsa_exception_fp_ieee_inexact 0
		.amdhsa_exception_int_div_zero 0
	.end_amdhsa_kernel
	.section	.text._ZN7rocprim6detail31init_lookback_scan_state_kernelINS0_19lookback_scan_stateIdLb1ELb1EEEEEvT_jjPNS4_10value_typeE,"axG",@progbits,_ZN7rocprim6detail31init_lookback_scan_state_kernelINS0_19lookback_scan_stateIdLb1ELb1EEEEEvT_jjPNS4_10value_typeE,comdat
.Lfunc_end140:
	.size	_ZN7rocprim6detail31init_lookback_scan_state_kernelINS0_19lookback_scan_stateIdLb1ELb1EEEEEvT_jjPNS4_10value_typeE, .Lfunc_end140-_ZN7rocprim6detail31init_lookback_scan_state_kernelINS0_19lookback_scan_stateIdLb1ELb1EEEEEvT_jjPNS4_10value_typeE
                                        ; -- End function
	.set _ZN7rocprim6detail31init_lookback_scan_state_kernelINS0_19lookback_scan_stateIdLb1ELb1EEEEEvT_jjPNS4_10value_typeE.num_vgpr, 8
	.set _ZN7rocprim6detail31init_lookback_scan_state_kernelINS0_19lookback_scan_stateIdLb1ELb1EEEEEvT_jjPNS4_10value_typeE.num_agpr, 0
	.set _ZN7rocprim6detail31init_lookback_scan_state_kernelINS0_19lookback_scan_stateIdLb1ELb1EEEEEvT_jjPNS4_10value_typeE.numbered_sgpr, 14
	.set _ZN7rocprim6detail31init_lookback_scan_state_kernelINS0_19lookback_scan_stateIdLb1ELb1EEEEEvT_jjPNS4_10value_typeE.num_named_barrier, 0
	.set _ZN7rocprim6detail31init_lookback_scan_state_kernelINS0_19lookback_scan_stateIdLb1ELb1EEEEEvT_jjPNS4_10value_typeE.private_seg_size, 0
	.set _ZN7rocprim6detail31init_lookback_scan_state_kernelINS0_19lookback_scan_stateIdLb1ELb1EEEEEvT_jjPNS4_10value_typeE.uses_vcc, 1
	.set _ZN7rocprim6detail31init_lookback_scan_state_kernelINS0_19lookback_scan_stateIdLb1ELb1EEEEEvT_jjPNS4_10value_typeE.uses_flat_scratch, 0
	.set _ZN7rocprim6detail31init_lookback_scan_state_kernelINS0_19lookback_scan_stateIdLb1ELb1EEEEEvT_jjPNS4_10value_typeE.has_dyn_sized_stack, 0
	.set _ZN7rocprim6detail31init_lookback_scan_state_kernelINS0_19lookback_scan_stateIdLb1ELb1EEEEEvT_jjPNS4_10value_typeE.has_recursion, 0
	.set _ZN7rocprim6detail31init_lookback_scan_state_kernelINS0_19lookback_scan_stateIdLb1ELb1EEEEEvT_jjPNS4_10value_typeE.has_indirect_call, 0
	.section	.AMDGPU.csdata,"",@progbits
; Kernel info:
; codeLenInByte = 404
; TotalNumSgprs: 18
; NumVgprs: 8
; ScratchSize: 0
; MemoryBound: 0
; FloatMode: 240
; IeeeMode: 1
; LDSByteSize: 0 bytes/workgroup (compile time only)
; SGPRBlocks: 2
; VGPRBlocks: 1
; NumSGPRsForWavesPerEU: 18
; NumVGPRsForWavesPerEU: 8
; Occupancy: 10
; WaveLimiterHint : 0
; COMPUTE_PGM_RSRC2:SCRATCH_EN: 0
; COMPUTE_PGM_RSRC2:USER_SGPR: 6
; COMPUTE_PGM_RSRC2:TRAP_HANDLER: 0
; COMPUTE_PGM_RSRC2:TGID_X_EN: 1
; COMPUTE_PGM_RSRC2:TGID_Y_EN: 0
; COMPUTE_PGM_RSRC2:TGID_Z_EN: 0
; COMPUTE_PGM_RSRC2:TIDIG_COMP_CNT: 0
	.section	.text._ZN7rocprim6detail31init_lookback_scan_state_kernelINS0_19lookback_scan_stateIdLb0ELb1EEEEEvT_jjPNS4_10value_typeE,"axG",@progbits,_ZN7rocprim6detail31init_lookback_scan_state_kernelINS0_19lookback_scan_stateIdLb0ELb1EEEEEvT_jjPNS4_10value_typeE,comdat
	.protected	_ZN7rocprim6detail31init_lookback_scan_state_kernelINS0_19lookback_scan_stateIdLb0ELb1EEEEEvT_jjPNS4_10value_typeE ; -- Begin function _ZN7rocprim6detail31init_lookback_scan_state_kernelINS0_19lookback_scan_stateIdLb0ELb1EEEEEvT_jjPNS4_10value_typeE
	.globl	_ZN7rocprim6detail31init_lookback_scan_state_kernelINS0_19lookback_scan_stateIdLb0ELb1EEEEEvT_jjPNS4_10value_typeE
	.p2align	8
	.type	_ZN7rocprim6detail31init_lookback_scan_state_kernelINS0_19lookback_scan_stateIdLb0ELb1EEEEEvT_jjPNS4_10value_typeE,@function
_ZN7rocprim6detail31init_lookback_scan_state_kernelINS0_19lookback_scan_stateIdLb0ELb1EEEEEvT_jjPNS4_10value_typeE: ; @_ZN7rocprim6detail31init_lookback_scan_state_kernelINS0_19lookback_scan_stateIdLb0ELb1EEEEEvT_jjPNS4_10value_typeE
; %bb.0:
	s_load_dword s7, s[4:5], 0x24
	s_load_dwordx2 s[8:9], s[4:5], 0x10
	s_load_dwordx4 s[0:3], s[4:5], 0x0
	s_waitcnt lgkmcnt(0)
	s_and_b32 s4, s7, 0xffff
	s_mul_i32 s6, s6, s4
	s_cmp_eq_u64 s[8:9], 0
	v_add_u32_e32 v0, s6, v0
	s_cbranch_scc1 .LBB141_8
; %bb.1:
	s_cmp_lt_u32 s3, s2
	s_cselect_b32 s4, s3, 0
	s_mov_b32 s7, 0
	v_cmp_eq_u32_e32 vcc, s4, v0
	s_and_saveexec_b64 s[4:5], vcc
	s_cbranch_execz .LBB141_7
; %bb.2:
	s_add_i32 s6, s3, 64
	s_lshl_b64 s[6:7], s[6:7], 4
	s_add_u32 s12, s0, s6
	s_addc_u32 s13, s1, s7
	v_mov_b32_e32 v1, s12
	v_mov_b32_e32 v2, s13
	;;#ASMSTART
	global_load_dwordx4 v[1:4], v[1:2] off glc	
s_waitcnt vmcnt(0)
	;;#ASMEND
	v_and_b32_e32 v4, 0xff, v3
	v_mov_b32_e32 v5, 0
	v_cmp_eq_u64_e32 vcc, 0, v[4:5]
	s_mov_b64 s[10:11], 0
	s_and_saveexec_b64 s[6:7], vcc
	s_cbranch_execz .LBB141_6
; %bb.3:
	v_mov_b32_e32 v6, s12
	v_mov_b32_e32 v7, s13
.LBB141_4:                              ; =>This Inner Loop Header: Depth=1
	;;#ASMSTART
	global_load_dwordx4 v[1:4], v[6:7] off glc	
s_waitcnt vmcnt(0)
	;;#ASMEND
	v_and_b32_e32 v4, 0xff, v3
	v_cmp_ne_u64_e32 vcc, 0, v[4:5]
	s_or_b64 s[10:11], vcc, s[10:11]
	s_andn2_b64 exec, exec, s[10:11]
	s_cbranch_execnz .LBB141_4
; %bb.5:
	s_or_b64 exec, exec, s[10:11]
.LBB141_6:
	s_or_b64 exec, exec, s[6:7]
	v_mov_b32_e32 v3, 0
	global_store_dwordx2 v3, v[1:2], s[8:9]
.LBB141_7:
	s_or_b64 exec, exec, s[4:5]
.LBB141_8:
	v_cmp_gt_u32_e32 vcc, s2, v0
	s_and_saveexec_b64 s[2:3], vcc
	s_cbranch_execnz .LBB141_11
; %bb.9:
	s_or_b64 exec, exec, s[2:3]
	v_cmp_gt_u32_e32 vcc, 64, v0
	s_and_saveexec_b64 s[2:3], vcc
	s_cbranch_execnz .LBB141_12
.LBB141_10:
	s_endpgm
.LBB141_11:
	v_add_u32_e32 v1, 64, v0
	v_mov_b32_e32 v2, 0
	v_lshlrev_b64 v[3:4], 4, v[1:2]
	v_mov_b32_e32 v1, s1
	v_add_co_u32_e32 v5, vcc, s0, v3
	v_addc_co_u32_e32 v6, vcc, v1, v4, vcc
	v_mov_b32_e32 v1, v2
	v_mov_b32_e32 v3, v2
	;; [unrolled: 1-line block ×3, first 2 shown]
	global_store_dwordx4 v[5:6], v[1:4], off
	s_or_b64 exec, exec, s[2:3]
	v_cmp_gt_u32_e32 vcc, 64, v0
	s_and_saveexec_b64 s[2:3], vcc
	s_cbranch_execz .LBB141_10
.LBB141_12:
	v_mov_b32_e32 v1, 0
	v_lshlrev_b64 v[2:3], 4, v[0:1]
	v_mov_b32_e32 v0, s1
	v_add_co_u32_e32 v4, vcc, s0, v2
	v_addc_co_u32_e32 v5, vcc, v0, v3, vcc
	v_mov_b32_e32 v2, 0xff
	v_mov_b32_e32 v0, v1
	;; [unrolled: 1-line block ×3, first 2 shown]
	global_store_dwordx4 v[4:5], v[0:3], off
	s_endpgm
	.section	.rodata,"a",@progbits
	.p2align	6, 0x0
	.amdhsa_kernel _ZN7rocprim6detail31init_lookback_scan_state_kernelINS0_19lookback_scan_stateIdLb0ELb1EEEEEvT_jjPNS4_10value_typeE
		.amdhsa_group_segment_fixed_size 0
		.amdhsa_private_segment_fixed_size 0
		.amdhsa_kernarg_size 280
		.amdhsa_user_sgpr_count 6
		.amdhsa_user_sgpr_private_segment_buffer 1
		.amdhsa_user_sgpr_dispatch_ptr 0
		.amdhsa_user_sgpr_queue_ptr 0
		.amdhsa_user_sgpr_kernarg_segment_ptr 1
		.amdhsa_user_sgpr_dispatch_id 0
		.amdhsa_user_sgpr_flat_scratch_init 0
		.amdhsa_user_sgpr_private_segment_size 0
		.amdhsa_uses_dynamic_stack 0
		.amdhsa_system_sgpr_private_segment_wavefront_offset 0
		.amdhsa_system_sgpr_workgroup_id_x 1
		.amdhsa_system_sgpr_workgroup_id_y 0
		.amdhsa_system_sgpr_workgroup_id_z 0
		.amdhsa_system_sgpr_workgroup_info 0
		.amdhsa_system_vgpr_workitem_id 0
		.amdhsa_next_free_vgpr 8
		.amdhsa_next_free_sgpr 14
		.amdhsa_reserve_vcc 1
		.amdhsa_reserve_flat_scratch 0
		.amdhsa_float_round_mode_32 0
		.amdhsa_float_round_mode_16_64 0
		.amdhsa_float_denorm_mode_32 3
		.amdhsa_float_denorm_mode_16_64 3
		.amdhsa_dx10_clamp 1
		.amdhsa_ieee_mode 1
		.amdhsa_fp16_overflow 0
		.amdhsa_exception_fp_ieee_invalid_op 0
		.amdhsa_exception_fp_denorm_src 0
		.amdhsa_exception_fp_ieee_div_zero 0
		.amdhsa_exception_fp_ieee_overflow 0
		.amdhsa_exception_fp_ieee_underflow 0
		.amdhsa_exception_fp_ieee_inexact 0
		.amdhsa_exception_int_div_zero 0
	.end_amdhsa_kernel
	.section	.text._ZN7rocprim6detail31init_lookback_scan_state_kernelINS0_19lookback_scan_stateIdLb0ELb1EEEEEvT_jjPNS4_10value_typeE,"axG",@progbits,_ZN7rocprim6detail31init_lookback_scan_state_kernelINS0_19lookback_scan_stateIdLb0ELb1EEEEEvT_jjPNS4_10value_typeE,comdat
.Lfunc_end141:
	.size	_ZN7rocprim6detail31init_lookback_scan_state_kernelINS0_19lookback_scan_stateIdLb0ELb1EEEEEvT_jjPNS4_10value_typeE, .Lfunc_end141-_ZN7rocprim6detail31init_lookback_scan_state_kernelINS0_19lookback_scan_stateIdLb0ELb1EEEEEvT_jjPNS4_10value_typeE
                                        ; -- End function
	.set _ZN7rocprim6detail31init_lookback_scan_state_kernelINS0_19lookback_scan_stateIdLb0ELb1EEEEEvT_jjPNS4_10value_typeE.num_vgpr, 8
	.set _ZN7rocprim6detail31init_lookback_scan_state_kernelINS0_19lookback_scan_stateIdLb0ELb1EEEEEvT_jjPNS4_10value_typeE.num_agpr, 0
	.set _ZN7rocprim6detail31init_lookback_scan_state_kernelINS0_19lookback_scan_stateIdLb0ELb1EEEEEvT_jjPNS4_10value_typeE.numbered_sgpr, 14
	.set _ZN7rocprim6detail31init_lookback_scan_state_kernelINS0_19lookback_scan_stateIdLb0ELb1EEEEEvT_jjPNS4_10value_typeE.num_named_barrier, 0
	.set _ZN7rocprim6detail31init_lookback_scan_state_kernelINS0_19lookback_scan_stateIdLb0ELb1EEEEEvT_jjPNS4_10value_typeE.private_seg_size, 0
	.set _ZN7rocprim6detail31init_lookback_scan_state_kernelINS0_19lookback_scan_stateIdLb0ELb1EEEEEvT_jjPNS4_10value_typeE.uses_vcc, 1
	.set _ZN7rocprim6detail31init_lookback_scan_state_kernelINS0_19lookback_scan_stateIdLb0ELb1EEEEEvT_jjPNS4_10value_typeE.uses_flat_scratch, 0
	.set _ZN7rocprim6detail31init_lookback_scan_state_kernelINS0_19lookback_scan_stateIdLb0ELb1EEEEEvT_jjPNS4_10value_typeE.has_dyn_sized_stack, 0
	.set _ZN7rocprim6detail31init_lookback_scan_state_kernelINS0_19lookback_scan_stateIdLb0ELb1EEEEEvT_jjPNS4_10value_typeE.has_recursion, 0
	.set _ZN7rocprim6detail31init_lookback_scan_state_kernelINS0_19lookback_scan_stateIdLb0ELb1EEEEEvT_jjPNS4_10value_typeE.has_indirect_call, 0
	.section	.AMDGPU.csdata,"",@progbits
; Kernel info:
; codeLenInByte = 364
; TotalNumSgprs: 18
; NumVgprs: 8
; ScratchSize: 0
; MemoryBound: 0
; FloatMode: 240
; IeeeMode: 1
; LDSByteSize: 0 bytes/workgroup (compile time only)
; SGPRBlocks: 2
; VGPRBlocks: 1
; NumSGPRsForWavesPerEU: 18
; NumVGPRsForWavesPerEU: 8
; Occupancy: 10
; WaveLimiterHint : 0
; COMPUTE_PGM_RSRC2:SCRATCH_EN: 0
; COMPUTE_PGM_RSRC2:USER_SGPR: 6
; COMPUTE_PGM_RSRC2:TRAP_HANDLER: 0
; COMPUTE_PGM_RSRC2:TGID_X_EN: 1
; COMPUTE_PGM_RSRC2:TGID_Y_EN: 0
; COMPUTE_PGM_RSRC2:TGID_Z_EN: 0
; COMPUTE_PGM_RSRC2:TIDIG_COMP_CNT: 0
	.section	.text._ZN7rocprim6detail20lookback_scan_kernelILNS0_25lookback_scan_determinismE0ELb1ENS0_19wrapped_scan_configINS_14default_configEdEEN6hipcub22TransformInputIteratorIiNS6_6CastOpIiEEPilEEPdNS6_3SumENS_12future_valueIdSC_EEdNS0_19lookback_scan_stateIdLb1ELb1EEEEEvT2_T3_mT5_T4_T7_jPT6_SO_bb,"axG",@progbits,_ZN7rocprim6detail20lookback_scan_kernelILNS0_25lookback_scan_determinismE0ELb1ENS0_19wrapped_scan_configINS_14default_configEdEEN6hipcub22TransformInputIteratorIiNS6_6CastOpIiEEPilEEPdNS6_3SumENS_12future_valueIdSC_EEdNS0_19lookback_scan_stateIdLb1ELb1EEEEEvT2_T3_mT5_T4_T7_jPT6_SO_bb,comdat
	.protected	_ZN7rocprim6detail20lookback_scan_kernelILNS0_25lookback_scan_determinismE0ELb1ENS0_19wrapped_scan_configINS_14default_configEdEEN6hipcub22TransformInputIteratorIiNS6_6CastOpIiEEPilEEPdNS6_3SumENS_12future_valueIdSC_EEdNS0_19lookback_scan_stateIdLb1ELb1EEEEEvT2_T3_mT5_T4_T7_jPT6_SO_bb ; -- Begin function _ZN7rocprim6detail20lookback_scan_kernelILNS0_25lookback_scan_determinismE0ELb1ENS0_19wrapped_scan_configINS_14default_configEdEEN6hipcub22TransformInputIteratorIiNS6_6CastOpIiEEPilEEPdNS6_3SumENS_12future_valueIdSC_EEdNS0_19lookback_scan_stateIdLb1ELb1EEEEEvT2_T3_mT5_T4_T7_jPT6_SO_bb
	.globl	_ZN7rocprim6detail20lookback_scan_kernelILNS0_25lookback_scan_determinismE0ELb1ENS0_19wrapped_scan_configINS_14default_configEdEEN6hipcub22TransformInputIteratorIiNS6_6CastOpIiEEPilEEPdNS6_3SumENS_12future_valueIdSC_EEdNS0_19lookback_scan_stateIdLb1ELb1EEEEEvT2_T3_mT5_T4_T7_jPT6_SO_bb
	.p2align	8
	.type	_ZN7rocprim6detail20lookback_scan_kernelILNS0_25lookback_scan_determinismE0ELb1ENS0_19wrapped_scan_configINS_14default_configEdEEN6hipcub22TransformInputIteratorIiNS6_6CastOpIiEEPilEEPdNS6_3SumENS_12future_valueIdSC_EEdNS0_19lookback_scan_stateIdLb1ELb1EEEEEvT2_T3_mT5_T4_T7_jPT6_SO_bb,@function
_ZN7rocprim6detail20lookback_scan_kernelILNS0_25lookback_scan_determinismE0ELb1ENS0_19wrapped_scan_configINS_14default_configEdEEN6hipcub22TransformInputIteratorIiNS6_6CastOpIiEEPilEEPdNS6_3SumENS_12future_valueIdSC_EEdNS0_19lookback_scan_stateIdLb1ELb1EEEEEvT2_T3_mT5_T4_T7_jPT6_SO_bb: ; @_ZN7rocprim6detail20lookback_scan_kernelILNS0_25lookback_scan_determinismE0ELb1ENS0_19wrapped_scan_configINS_14default_configEdEEN6hipcub22TransformInputIteratorIiNS6_6CastOpIiEEPilEEPdNS6_3SumENS_12future_valueIdSC_EEdNS0_19lookback_scan_stateIdLb1ELb1EEEEEvT2_T3_mT5_T4_T7_jPT6_SO_bb
; %bb.0:
	s_endpgm
	.section	.rodata,"a",@progbits
	.p2align	6, 0x0
	.amdhsa_kernel _ZN7rocprim6detail20lookback_scan_kernelILNS0_25lookback_scan_determinismE0ELb1ENS0_19wrapped_scan_configINS_14default_configEdEEN6hipcub22TransformInputIteratorIiNS6_6CastOpIiEEPilEEPdNS6_3SumENS_12future_valueIdSC_EEdNS0_19lookback_scan_stateIdLb1ELb1EEEEEvT2_T3_mT5_T4_T7_jPT6_SO_bb
		.amdhsa_group_segment_fixed_size 0
		.amdhsa_private_segment_fixed_size 0
		.amdhsa_kernarg_size 84
		.amdhsa_user_sgpr_count 6
		.amdhsa_user_sgpr_private_segment_buffer 1
		.amdhsa_user_sgpr_dispatch_ptr 0
		.amdhsa_user_sgpr_queue_ptr 0
		.amdhsa_user_sgpr_kernarg_segment_ptr 1
		.amdhsa_user_sgpr_dispatch_id 0
		.amdhsa_user_sgpr_flat_scratch_init 0
		.amdhsa_user_sgpr_private_segment_size 0
		.amdhsa_uses_dynamic_stack 0
		.amdhsa_system_sgpr_private_segment_wavefront_offset 0
		.amdhsa_system_sgpr_workgroup_id_x 1
		.amdhsa_system_sgpr_workgroup_id_y 0
		.amdhsa_system_sgpr_workgroup_id_z 0
		.amdhsa_system_sgpr_workgroup_info 0
		.amdhsa_system_vgpr_workitem_id 0
		.amdhsa_next_free_vgpr 1
		.amdhsa_next_free_sgpr 0
		.amdhsa_reserve_vcc 0
		.amdhsa_reserve_flat_scratch 0
		.amdhsa_float_round_mode_32 0
		.amdhsa_float_round_mode_16_64 0
		.amdhsa_float_denorm_mode_32 3
		.amdhsa_float_denorm_mode_16_64 3
		.amdhsa_dx10_clamp 1
		.amdhsa_ieee_mode 1
		.amdhsa_fp16_overflow 0
		.amdhsa_exception_fp_ieee_invalid_op 0
		.amdhsa_exception_fp_denorm_src 0
		.amdhsa_exception_fp_ieee_div_zero 0
		.amdhsa_exception_fp_ieee_overflow 0
		.amdhsa_exception_fp_ieee_underflow 0
		.amdhsa_exception_fp_ieee_inexact 0
		.amdhsa_exception_int_div_zero 0
	.end_amdhsa_kernel
	.section	.text._ZN7rocprim6detail20lookback_scan_kernelILNS0_25lookback_scan_determinismE0ELb1ENS0_19wrapped_scan_configINS_14default_configEdEEN6hipcub22TransformInputIteratorIiNS6_6CastOpIiEEPilEEPdNS6_3SumENS_12future_valueIdSC_EEdNS0_19lookback_scan_stateIdLb1ELb1EEEEEvT2_T3_mT5_T4_T7_jPT6_SO_bb,"axG",@progbits,_ZN7rocprim6detail20lookback_scan_kernelILNS0_25lookback_scan_determinismE0ELb1ENS0_19wrapped_scan_configINS_14default_configEdEEN6hipcub22TransformInputIteratorIiNS6_6CastOpIiEEPilEEPdNS6_3SumENS_12future_valueIdSC_EEdNS0_19lookback_scan_stateIdLb1ELb1EEEEEvT2_T3_mT5_T4_T7_jPT6_SO_bb,comdat
.Lfunc_end142:
	.size	_ZN7rocprim6detail20lookback_scan_kernelILNS0_25lookback_scan_determinismE0ELb1ENS0_19wrapped_scan_configINS_14default_configEdEEN6hipcub22TransformInputIteratorIiNS6_6CastOpIiEEPilEEPdNS6_3SumENS_12future_valueIdSC_EEdNS0_19lookback_scan_stateIdLb1ELb1EEEEEvT2_T3_mT5_T4_T7_jPT6_SO_bb, .Lfunc_end142-_ZN7rocprim6detail20lookback_scan_kernelILNS0_25lookback_scan_determinismE0ELb1ENS0_19wrapped_scan_configINS_14default_configEdEEN6hipcub22TransformInputIteratorIiNS6_6CastOpIiEEPilEEPdNS6_3SumENS_12future_valueIdSC_EEdNS0_19lookback_scan_stateIdLb1ELb1EEEEEvT2_T3_mT5_T4_T7_jPT6_SO_bb
                                        ; -- End function
	.set _ZN7rocprim6detail20lookback_scan_kernelILNS0_25lookback_scan_determinismE0ELb1ENS0_19wrapped_scan_configINS_14default_configEdEEN6hipcub22TransformInputIteratorIiNS6_6CastOpIiEEPilEEPdNS6_3SumENS_12future_valueIdSC_EEdNS0_19lookback_scan_stateIdLb1ELb1EEEEEvT2_T3_mT5_T4_T7_jPT6_SO_bb.num_vgpr, 0
	.set _ZN7rocprim6detail20lookback_scan_kernelILNS0_25lookback_scan_determinismE0ELb1ENS0_19wrapped_scan_configINS_14default_configEdEEN6hipcub22TransformInputIteratorIiNS6_6CastOpIiEEPilEEPdNS6_3SumENS_12future_valueIdSC_EEdNS0_19lookback_scan_stateIdLb1ELb1EEEEEvT2_T3_mT5_T4_T7_jPT6_SO_bb.num_agpr, 0
	.set _ZN7rocprim6detail20lookback_scan_kernelILNS0_25lookback_scan_determinismE0ELb1ENS0_19wrapped_scan_configINS_14default_configEdEEN6hipcub22TransformInputIteratorIiNS6_6CastOpIiEEPilEEPdNS6_3SumENS_12future_valueIdSC_EEdNS0_19lookback_scan_stateIdLb1ELb1EEEEEvT2_T3_mT5_T4_T7_jPT6_SO_bb.numbered_sgpr, 0
	.set _ZN7rocprim6detail20lookback_scan_kernelILNS0_25lookback_scan_determinismE0ELb1ENS0_19wrapped_scan_configINS_14default_configEdEEN6hipcub22TransformInputIteratorIiNS6_6CastOpIiEEPilEEPdNS6_3SumENS_12future_valueIdSC_EEdNS0_19lookback_scan_stateIdLb1ELb1EEEEEvT2_T3_mT5_T4_T7_jPT6_SO_bb.num_named_barrier, 0
	.set _ZN7rocprim6detail20lookback_scan_kernelILNS0_25lookback_scan_determinismE0ELb1ENS0_19wrapped_scan_configINS_14default_configEdEEN6hipcub22TransformInputIteratorIiNS6_6CastOpIiEEPilEEPdNS6_3SumENS_12future_valueIdSC_EEdNS0_19lookback_scan_stateIdLb1ELb1EEEEEvT2_T3_mT5_T4_T7_jPT6_SO_bb.private_seg_size, 0
	.set _ZN7rocprim6detail20lookback_scan_kernelILNS0_25lookback_scan_determinismE0ELb1ENS0_19wrapped_scan_configINS_14default_configEdEEN6hipcub22TransformInputIteratorIiNS6_6CastOpIiEEPilEEPdNS6_3SumENS_12future_valueIdSC_EEdNS0_19lookback_scan_stateIdLb1ELb1EEEEEvT2_T3_mT5_T4_T7_jPT6_SO_bb.uses_vcc, 0
	.set _ZN7rocprim6detail20lookback_scan_kernelILNS0_25lookback_scan_determinismE0ELb1ENS0_19wrapped_scan_configINS_14default_configEdEEN6hipcub22TransformInputIteratorIiNS6_6CastOpIiEEPilEEPdNS6_3SumENS_12future_valueIdSC_EEdNS0_19lookback_scan_stateIdLb1ELb1EEEEEvT2_T3_mT5_T4_T7_jPT6_SO_bb.uses_flat_scratch, 0
	.set _ZN7rocprim6detail20lookback_scan_kernelILNS0_25lookback_scan_determinismE0ELb1ENS0_19wrapped_scan_configINS_14default_configEdEEN6hipcub22TransformInputIteratorIiNS6_6CastOpIiEEPilEEPdNS6_3SumENS_12future_valueIdSC_EEdNS0_19lookback_scan_stateIdLb1ELb1EEEEEvT2_T3_mT5_T4_T7_jPT6_SO_bb.has_dyn_sized_stack, 0
	.set _ZN7rocprim6detail20lookback_scan_kernelILNS0_25lookback_scan_determinismE0ELb1ENS0_19wrapped_scan_configINS_14default_configEdEEN6hipcub22TransformInputIteratorIiNS6_6CastOpIiEEPilEEPdNS6_3SumENS_12future_valueIdSC_EEdNS0_19lookback_scan_stateIdLb1ELb1EEEEEvT2_T3_mT5_T4_T7_jPT6_SO_bb.has_recursion, 0
	.set _ZN7rocprim6detail20lookback_scan_kernelILNS0_25lookback_scan_determinismE0ELb1ENS0_19wrapped_scan_configINS_14default_configEdEEN6hipcub22TransformInputIteratorIiNS6_6CastOpIiEEPilEEPdNS6_3SumENS_12future_valueIdSC_EEdNS0_19lookback_scan_stateIdLb1ELb1EEEEEvT2_T3_mT5_T4_T7_jPT6_SO_bb.has_indirect_call, 0
	.section	.AMDGPU.csdata,"",@progbits
; Kernel info:
; codeLenInByte = 4
; TotalNumSgprs: 4
; NumVgprs: 0
; ScratchSize: 0
; MemoryBound: 0
; FloatMode: 240
; IeeeMode: 1
; LDSByteSize: 0 bytes/workgroup (compile time only)
; SGPRBlocks: 0
; VGPRBlocks: 0
; NumSGPRsForWavesPerEU: 4
; NumVGPRsForWavesPerEU: 1
; Occupancy: 10
; WaveLimiterHint : 0
; COMPUTE_PGM_RSRC2:SCRATCH_EN: 0
; COMPUTE_PGM_RSRC2:USER_SGPR: 6
; COMPUTE_PGM_RSRC2:TRAP_HANDLER: 0
; COMPUTE_PGM_RSRC2:TGID_X_EN: 1
; COMPUTE_PGM_RSRC2:TGID_Y_EN: 0
; COMPUTE_PGM_RSRC2:TGID_Z_EN: 0
; COMPUTE_PGM_RSRC2:TIDIG_COMP_CNT: 0
	.section	.text._ZN7rocprim6detail20lookback_scan_kernelILNS0_25lookback_scan_determinismE0ELb1ENS0_19wrapped_scan_configINS_14default_configEdEEN6hipcub22TransformInputIteratorIiNS6_6CastOpIiEEPilEEPdNS6_3SumENS_12future_valueIdSC_EEdNS0_19lookback_scan_stateIdLb0ELb1EEEEEvT2_T3_mT5_T4_T7_jPT6_SO_bb,"axG",@progbits,_ZN7rocprim6detail20lookback_scan_kernelILNS0_25lookback_scan_determinismE0ELb1ENS0_19wrapped_scan_configINS_14default_configEdEEN6hipcub22TransformInputIteratorIiNS6_6CastOpIiEEPilEEPdNS6_3SumENS_12future_valueIdSC_EEdNS0_19lookback_scan_stateIdLb0ELb1EEEEEvT2_T3_mT5_T4_T7_jPT6_SO_bb,comdat
	.protected	_ZN7rocprim6detail20lookback_scan_kernelILNS0_25lookback_scan_determinismE0ELb1ENS0_19wrapped_scan_configINS_14default_configEdEEN6hipcub22TransformInputIteratorIiNS6_6CastOpIiEEPilEEPdNS6_3SumENS_12future_valueIdSC_EEdNS0_19lookback_scan_stateIdLb0ELb1EEEEEvT2_T3_mT5_T4_T7_jPT6_SO_bb ; -- Begin function _ZN7rocprim6detail20lookback_scan_kernelILNS0_25lookback_scan_determinismE0ELb1ENS0_19wrapped_scan_configINS_14default_configEdEEN6hipcub22TransformInputIteratorIiNS6_6CastOpIiEEPilEEPdNS6_3SumENS_12future_valueIdSC_EEdNS0_19lookback_scan_stateIdLb0ELb1EEEEEvT2_T3_mT5_T4_T7_jPT6_SO_bb
	.globl	_ZN7rocprim6detail20lookback_scan_kernelILNS0_25lookback_scan_determinismE0ELb1ENS0_19wrapped_scan_configINS_14default_configEdEEN6hipcub22TransformInputIteratorIiNS6_6CastOpIiEEPilEEPdNS6_3SumENS_12future_valueIdSC_EEdNS0_19lookback_scan_stateIdLb0ELb1EEEEEvT2_T3_mT5_T4_T7_jPT6_SO_bb
	.p2align	8
	.type	_ZN7rocprim6detail20lookback_scan_kernelILNS0_25lookback_scan_determinismE0ELb1ENS0_19wrapped_scan_configINS_14default_configEdEEN6hipcub22TransformInputIteratorIiNS6_6CastOpIiEEPilEEPdNS6_3SumENS_12future_valueIdSC_EEdNS0_19lookback_scan_stateIdLb0ELb1EEEEEvT2_T3_mT5_T4_T7_jPT6_SO_bb,@function
_ZN7rocprim6detail20lookback_scan_kernelILNS0_25lookback_scan_determinismE0ELb1ENS0_19wrapped_scan_configINS_14default_configEdEEN6hipcub22TransformInputIteratorIiNS6_6CastOpIiEEPilEEPdNS6_3SumENS_12future_valueIdSC_EEdNS0_19lookback_scan_stateIdLb0ELb1EEEEEvT2_T3_mT5_T4_T7_jPT6_SO_bb: ; @_ZN7rocprim6detail20lookback_scan_kernelILNS0_25lookback_scan_determinismE0ELb1ENS0_19wrapped_scan_configINS_14default_configEdEEN6hipcub22TransformInputIteratorIiNS6_6CastOpIiEEPilEEPdNS6_3SumENS_12future_valueIdSC_EEdNS0_19lookback_scan_stateIdLb0ELb1EEEEEvT2_T3_mT5_T4_T7_jPT6_SO_bb
; %bb.0:
	s_load_dwordx2 s[0:1], s[4:5], 0x20
	s_load_dword s2, s[4:5], 0x38
	s_load_dwordx2 s[14:15], s[4:5], 0x0
	s_load_dwordx4 s[8:11], s[4:5], 0x10
	s_mul_i32 s12, s6, 0x500
	s_waitcnt lgkmcnt(0)
	s_load_dwordx2 s[16:17], s[0:1], 0x0
	s_add_i32 s0, s2, -1
	s_mul_i32 s1, s0, 0x500
	s_sub_u32 s26, s10, s1
	s_subb_u32 s27, s11, 0
	s_mov_b32 s13, 0
	s_cmp_lg_u32 s6, s0
	s_cselect_b64 s[10:11], -1, 0
	s_lshl_b64 s[0:1], s[12:13], 2
	s_add_u32 s2, s14, s0
	s_addc_u32 s3, s15, s1
	s_mov_b64 s[0:1], -1
	s_and_b64 vcc, exec, s[10:11]
	v_lshlrev_b32_e32 v3, 2, v0
	v_lshlrev_b32_e32 v39, 3, v0
	s_cbranch_vccz .LBB143_2
; %bb.1:
	v_mov_b32_e32 v1, s3
	v_add_co_u32_e32 v2, vcc, s2, v3
	v_addc_co_u32_e32 v4, vcc, 0, v1, vcc
	s_movk_i32 s0, 0x1000
	v_add_co_u32_e32 v1, vcc, s0, v2
	global_load_dword v5, v3, s[2:3]
	global_load_dword v6, v3, s[2:3] offset:512
	global_load_dword v7, v3, s[2:3] offset:1024
	global_load_dword v8, v3, s[2:3] offset:1536
	global_load_dword v10, v3, s[2:3] offset:2048
	global_load_dword v12, v3, s[2:3] offset:2560
	global_load_dword v14, v3, s[2:3] offset:3072
	global_load_dword v16, v3, s[2:3] offset:3584
	v_addc_co_u32_e32 v2, vcc, 0, v4, vcc
	global_load_dword v18, v[1:2], off
	global_load_dword v20, v[1:2], off offset:512
	s_mov_b64 s[0:1], 0
	s_waitcnt vmcnt(9)
	v_cvt_f64_i32_e32 v[1:2], v5
	s_waitcnt vmcnt(8)
	v_cvt_f64_i32_e32 v[4:5], v6
	;; [unrolled: 2-line block ×10, first 2 shown]
	ds_write2st64_b64 v39, v[1:2], v[4:5] offset1:2
	ds_write2st64_b64 v39, v[6:7], v[8:9] offset0:4 offset1:6
	ds_write2st64_b64 v39, v[10:11], v[12:13] offset0:8 offset1:10
	;; [unrolled: 1-line block ×4, first 2 shown]
	s_waitcnt lgkmcnt(0)
	s_barrier
.LBB143_2:
	s_andn2_b64 vcc, exec, s[0:1]
	v_cmp_gt_u32_e64 s[0:1], s26, v0
	s_cbranch_vccnz .LBB143_24
; %bb.3:
	s_load_dword s7, s[2:3], 0x0
	v_mov_b32_e32 v4, s3
	v_add_co_u32_e32 v5, vcc, s2, v3
	v_addc_co_u32_e32 v6, vcc, 0, v4, vcc
	s_waitcnt lgkmcnt(0)
	v_cvt_f64_i32_e32 v[1:2], s7
	v_mov_b32_e32 v4, v2
	v_mov_b32_e32 v3, v1
	s_and_saveexec_b64 s[2:3], s[0:1]
	s_cbranch_execz .LBB143_5
; %bb.4:
	global_load_dword v3, v[5:6], off
	s_waitcnt vmcnt(0)
	v_cvt_f64_i32_e32 v[3:4], v3
.LBB143_5:
	s_or_b64 exec, exec, s[2:3]
	v_or_b32_e32 v7, 0x80, v0
	v_cmp_gt_u32_e32 vcc, s26, v7
	v_mov_b32_e32 v8, v2
	v_mov_b32_e32 v7, v1
	s_and_saveexec_b64 s[0:1], vcc
	s_cbranch_execz .LBB143_7
; %bb.6:
	global_load_dword v7, v[5:6], off offset:512
	s_waitcnt vmcnt(0)
	v_cvt_f64_i32_e32 v[7:8], v7
.LBB143_7:
	s_or_b64 exec, exec, s[0:1]
	v_or_b32_e32 v9, 0x100, v0
	v_cmp_gt_u32_e32 vcc, s26, v9
	v_mov_b32_e32 v10, v2
	v_mov_b32_e32 v9, v1
	s_and_saveexec_b64 s[0:1], vcc
	s_cbranch_execz .LBB143_9
; %bb.8:
	global_load_dword v9, v[5:6], off offset:1024
	s_waitcnt vmcnt(0)
	v_cvt_f64_i32_e32 v[9:10], v9
.LBB143_9:
	;; [unrolled: 12-line block ×7, first 2 shown]
	s_or_b64 exec, exec, s[0:1]
	v_or_b32_e32 v21, 0x400, v0
	v_cmp_gt_u32_e32 vcc, s26, v21
	v_mov_b32_e32 v22, v2
	v_mov_b32_e32 v21, v1
	s_and_saveexec_b64 s[0:1], vcc
	s_cbranch_execz .LBB143_21
; %bb.20:
	v_add_co_u32_e32 v21, vcc, 0x1000, v5
	v_addc_co_u32_e32 v22, vcc, 0, v6, vcc
	global_load_dword v21, v[21:22], off
	s_waitcnt vmcnt(0)
	v_cvt_f64_i32_e32 v[21:22], v21
.LBB143_21:
	s_or_b64 exec, exec, s[0:1]
	v_or_b32_e32 v23, 0x480, v0
	v_cmp_gt_u32_e32 vcc, s26, v23
	s_and_saveexec_b64 s[0:1], vcc
	s_cbranch_execz .LBB143_23
; %bb.22:
	v_add_co_u32_e32 v1, vcc, 0x1000, v5
	v_addc_co_u32_e32 v2, vcc, 0, v6, vcc
	global_load_dword v1, v[1:2], off offset:512
	s_waitcnt vmcnt(0)
	v_cvt_f64_i32_e32 v[1:2], v1
.LBB143_23:
	s_or_b64 exec, exec, s[0:1]
	ds_write2st64_b64 v39, v[3:4], v[7:8] offset1:2
	ds_write2st64_b64 v39, v[9:10], v[11:12] offset0:4 offset1:6
	ds_write2st64_b64 v39, v[13:14], v[15:16] offset0:8 offset1:10
	;; [unrolled: 1-line block ×4, first 2 shown]
	s_waitcnt lgkmcnt(0)
	s_barrier
.LBB143_24:
	v_mul_u32_u24_e32 v40, 0x50, v0
	s_waitcnt lgkmcnt(0)
	ds_read_b128 v[5:8], v40
	ds_read_b128 v[1:4], v40 offset:16
	s_load_dwordx2 s[18:19], s[4:5], 0x30
	ds_read_b128 v[17:20], v40 offset:32
	ds_read_b128 v[13:16], v40 offset:48
	s_cmp_lg_u32 s6, 0
	s_waitcnt lgkmcnt(0)
	v_add_f64 v[9:10], v[5:6], v[7:8]
	v_lshrrev_b32_e32 v41, 2, v0
	v_cmp_gt_u32_e32 vcc, 64, v0
	v_add_f64 v[29:30], v[1:2], v[9:10]
	ds_read_b128 v[9:12], v40 offset:64
	s_waitcnt lgkmcnt(0)
	s_barrier
	s_cbranch_scc0 .LBB143_74
; %bb.25:
	v_add_f64 v[21:22], v[3:4], v[29:30]
	v_add_f64 v[21:22], v[17:18], v[21:22]
	;; [unrolled: 1-line block ×7, first 2 shown]
	v_and_b32_e32 v21, 24, v41
	v_lshl_add_u32 v21, v0, 3, v21
	ds_write_b64 v21, v[31:32]
	s_waitcnt lgkmcnt(0)
	s_barrier
	s_and_saveexec_b64 s[2:3], vcc
	s_cbranch_execz .LBB143_37
; %bb.26:
	v_lshrrev_b32_e32 v21, 1, v0
	v_and_b32_e32 v21, 56, v21
	v_lshlrev_b32_e32 v22, 4, v0
	v_add_u32_e32 v33, v21, v22
	ds_read2_b64 v[21:24], v33 offset1:1
	v_mbcnt_lo_u32_b32 v27, -1, 0
	v_mbcnt_hi_u32_b32 v34, -1, v27
	v_and_b32_e32 v35, 15, v34
	v_cmp_ne_u32_e64 s[0:1], 0, v35
	s_waitcnt lgkmcnt(0)
	v_add_f64 v[25:26], v[21:22], v[23:24]
	s_nop 1
	v_mov_b32_dpp v27, v25 row_shr:1 row_mask:0xf bank_mask:0xf
	v_mov_b32_dpp v28, v26 row_shr:1 row_mask:0xf bank_mask:0xf
	s_and_saveexec_b64 s[20:21], s[0:1]
; %bb.27:
	v_add_f64 v[25:26], v[25:26], v[27:28]
; %bb.28:
	s_or_b64 exec, exec, s[20:21]
	s_nop 0
	v_mov_b32_dpp v27, v25 row_shr:2 row_mask:0xf bank_mask:0xf
	v_mov_b32_dpp v28, v26 row_shr:2 row_mask:0xf bank_mask:0xf
	v_cmp_lt_u32_e64 s[0:1], 1, v35
	s_and_saveexec_b64 s[20:21], s[0:1]
; %bb.29:
	v_add_f64 v[25:26], v[25:26], v[27:28]
; %bb.30:
	s_or_b64 exec, exec, s[20:21]
	s_nop 0
	v_mov_b32_dpp v27, v25 row_shr:4 row_mask:0xf bank_mask:0xf
	v_mov_b32_dpp v28, v26 row_shr:4 row_mask:0xf bank_mask:0xf
	v_cmp_lt_u32_e64 s[0:1], 3, v35
	;; [unrolled: 9-line block ×3, first 2 shown]
	s_and_saveexec_b64 s[20:21], s[0:1]
; %bb.33:
	v_add_f64 v[25:26], v[25:26], v[27:28]
; %bb.34:
	s_or_b64 exec, exec, s[20:21]
	v_and_b32_e32 v35, 16, v34
	v_mov_b32_dpp v27, v25 row_bcast:15 row_mask:0xf bank_mask:0xf
	v_mov_b32_dpp v28, v26 row_bcast:15 row_mask:0xf bank_mask:0xf
	v_cmp_ne_u32_e64 s[0:1], 0, v35
	s_and_saveexec_b64 s[20:21], s[0:1]
; %bb.35:
	v_add_f64 v[25:26], v[25:26], v[27:28]
; %bb.36:
	s_or_b64 exec, exec, s[20:21]
	s_nop 0
	v_mov_b32_dpp v27, v25 row_bcast:31 row_mask:0xf bank_mask:0xf
	v_mov_b32_dpp v28, v26 row_bcast:31 row_mask:0xf bank_mask:0xf
	v_add_f64 v[27:28], v[25:26], v[27:28]
	v_add_u32_e32 v35, -1, v34
	v_and_b32_e32 v36, 64, v34
	v_cmp_lt_i32_e64 s[0:1], v35, v36
	v_cndmask_b32_e64 v35, v35, v34, s[0:1]
	v_cmp_lt_u32_e64 s[0:1], 31, v34
	v_cndmask_b32_e64 v26, v26, v28, s[0:1]
	v_cndmask_b32_e64 v25, v25, v27, s[0:1]
	v_lshlrev_b32_e32 v27, 2, v35
	ds_bpermute_b32 v25, v27, v25
	ds_bpermute_b32 v26, v27, v26
	v_cmp_eq_u32_e64 s[0:1], 0, v0
	s_waitcnt lgkmcnt(0)
	v_add_f64 v[21:22], v[21:22], v[25:26]
	v_cndmask_b32_e64 v22, v22, v32, s[0:1]
	v_cndmask_b32_e64 v21, v21, v31, s[0:1]
	v_add_f64 v[23:24], v[23:24], v[21:22]
	ds_write2_b64 v33, v[21:22], v[23:24] offset1:1
.LBB143_37:
	s_or_b64 exec, exec, s[2:3]
	v_cmp_eq_u32_e64 s[0:1], 0, v0
	v_cmp_ne_u32_e64 s[2:3], 0, v0
	s_waitcnt lgkmcnt(0)
	s_barrier
	s_and_saveexec_b64 s[20:21], s[2:3]
; %bb.38:
	v_add_u32_e32 v21, -1, v0
	v_lshrrev_b32_e32 v22, 2, v21
	v_and_b32_e32 v22, 0x3ffffff8, v22
	v_lshl_add_u32 v21, v21, 3, v22
	ds_read_b64 v[31:32], v21
; %bb.39:
	s_or_b64 exec, exec, s[20:21]
	s_and_saveexec_b64 s[20:21], vcc
	s_cbranch_execz .LBB143_79
; %bb.40:
	v_mov_b32_e32 v24, 0
	ds_read_b64 v[21:22], v24 offset:1040
	v_mbcnt_lo_u32_b32 v23, -1, 0
	v_mbcnt_hi_u32_b32 v36, -1, v23
	s_mov_b32 s25, 0
	v_cmp_eq_u32_e64 s[2:3], 0, v36
	s_and_saveexec_b64 s[22:23], s[2:3]
	s_cbranch_execz .LBB143_42
; %bb.41:
	s_add_i32 s24, s6, 64
	s_lshl_b64 s[24:25], s[24:25], 4
	s_add_u32 s24, s18, s24
	s_addc_u32 s25, s19, s25
	v_mov_b32_e32 v26, s25
	v_mov_b32_e32 v23, 1
	;; [unrolled: 1-line block ×3, first 2 shown]
	s_waitcnt lgkmcnt(0)
	;;#ASMSTART
	global_store_dwordx4 v[25:26], v[21:24] off	
s_waitcnt vmcnt(0)
	;;#ASMEND
.LBB143_42:
	s_or_b64 exec, exec, s[22:23]
	v_xad_u32 v33, v36, -1, s6
	v_add_u32_e32 v23, 64, v33
	v_lshlrev_b64 v[25:26], 4, v[23:24]
	v_mov_b32_e32 v23, s19
	v_add_co_u32_e32 v34, vcc, s18, v25
	v_addc_co_u32_e32 v35, vcc, v23, v26, vcc
	;;#ASMSTART
	global_load_dwordx4 v[25:28], v[34:35] off glc	
s_waitcnt vmcnt(0)
	;;#ASMEND
	v_cmp_eq_u16_sdwa s[24:25], v27, v24 src0_sel:BYTE_0 src1_sel:DWORD
	s_and_saveexec_b64 s[22:23], s[24:25]
	s_cbranch_execz .LBB143_46
; %bb.43:
	s_mov_b64 s[24:25], 0
	v_mov_b32_e32 v23, 0
.LBB143_44:                             ; =>This Inner Loop Header: Depth=1
	;;#ASMSTART
	global_load_dwordx4 v[25:28], v[34:35] off glc	
s_waitcnt vmcnt(0)
	;;#ASMEND
	v_cmp_ne_u16_sdwa s[28:29], v27, v23 src0_sel:BYTE_0 src1_sel:DWORD
	s_or_b64 s[24:25], s[28:29], s[24:25]
	s_andn2_b64 exec, exec, s[24:25]
	s_cbranch_execnz .LBB143_44
; %bb.45:
	s_or_b64 exec, exec, s[24:25]
.LBB143_46:
	s_or_b64 exec, exec, s[22:23]
	v_and_b32_e32 v37, 63, v36
	v_mov_b32_e32 v28, 2
	v_lshlrev_b64 v[23:24], v36, -1
	v_cmp_ne_u32_e32 vcc, 63, v37
	v_cmp_eq_u16_sdwa s[22:23], v27, v28 src0_sel:BYTE_0 src1_sel:DWORD
	v_addc_co_u32_e32 v34, vcc, 0, v36, vcc
	v_and_b32_e32 v28, s23, v24
	v_lshlrev_b32_e32 v42, 2, v34
	v_or_b32_e32 v28, 0x80000000, v28
	ds_bpermute_b32 v34, v42, v25
	ds_bpermute_b32 v35, v42, v26
	v_and_b32_e32 v38, s22, v23
	v_ffbl_b32_e32 v28, v28
	v_add_u32_e32 v28, 32, v28
	v_ffbl_b32_e32 v38, v38
	v_min_u32_e32 v28, v38, v28
	v_add_u32_e32 v43, 1, v36
	v_cmp_le_u32_e32 vcc, v43, v28
	s_and_saveexec_b64 s[22:23], vcc
	s_cbranch_execz .LBB143_48
; %bb.47:
	s_waitcnt lgkmcnt(0)
	v_add_f64 v[25:26], v[25:26], v[34:35]
.LBB143_48:
	s_or_b64 exec, exec, s[22:23]
	v_cmp_gt_u32_e32 vcc, 62, v37
	s_waitcnt lgkmcnt(1)
	v_cndmask_b32_e64 v34, 0, 2, vcc
	v_add_lshl_u32 v44, v34, v36, 2
	ds_bpermute_b32 v34, v44, v25
	s_waitcnt lgkmcnt(1)
	ds_bpermute_b32 v35, v44, v26
	v_add_u32_e32 v45, 2, v36
	v_cmp_le_u32_e32 vcc, v45, v28
	s_and_saveexec_b64 s[22:23], vcc
	s_cbranch_execz .LBB143_50
; %bb.49:
	s_waitcnt lgkmcnt(0)
	v_add_f64 v[25:26], v[25:26], v[34:35]
.LBB143_50:
	s_or_b64 exec, exec, s[22:23]
	v_cmp_gt_u32_e32 vcc, 60, v37
	s_waitcnt lgkmcnt(1)
	v_cndmask_b32_e64 v34, 0, 4, vcc
	v_add_lshl_u32 v46, v34, v36, 2
	ds_bpermute_b32 v34, v46, v25
	s_waitcnt lgkmcnt(1)
	ds_bpermute_b32 v35, v46, v26
	;; [unrolled: 16-line block ×4, first 2 shown]
	v_add_u32_e32 v51, 16, v36
	v_cmp_le_u32_e32 vcc, v51, v28
	s_and_saveexec_b64 s[22:23], vcc
	s_cbranch_execz .LBB143_56
; %bb.55:
	s_waitcnt lgkmcnt(0)
	v_add_f64 v[25:26], v[25:26], v[34:35]
.LBB143_56:
	s_or_b64 exec, exec, s[22:23]
	s_waitcnt lgkmcnt(1)
	v_mov_b32_e32 v34, 0x80
	v_lshl_or_b32 v52, v36, 2, v34
	ds_bpermute_b32 v34, v52, v25
	s_waitcnt lgkmcnt(1)
	ds_bpermute_b32 v35, v52, v26
	v_add_u32_e32 v53, 32, v36
	v_cmp_gt_u32_e32 vcc, v53, v28
	v_mov_b32_e32 v54, 2
	s_waitcnt lgkmcnt(0)
	v_add_f64 v[37:38], v[25:26], v[34:35]
	v_mov_b32_e32 v34, 0
	v_cndmask_b32_e32 v26, v38, v26, vcc
	v_cndmask_b32_e32 v25, v37, v25, vcc
	s_branch .LBB143_59
.LBB143_57:                             ;   in Loop: Header=BB143_59 Depth=1
	s_or_b64 exec, exec, s[22:23]
	s_waitcnt lgkmcnt(1)
	ds_bpermute_b32 v37, v52, v25
	s_waitcnt lgkmcnt(1)
	ds_bpermute_b32 v38, v52, v26
	v_cmp_gt_u32_e32 vcc, v53, v28
	v_subrev_u32_e32 v33, 64, v33
	s_mov_b64 s[22:23], 0
	s_waitcnt lgkmcnt(0)
	v_add_f64 v[37:38], v[25:26], v[37:38]
	v_cndmask_b32_e32 v26, v38, v26, vcc
	v_cndmask_b32_e32 v25, v37, v25, vcc
	v_add_f64 v[25:26], v[35:36], v[25:26]
.LBB143_58:                             ;   in Loop: Header=BB143_59 Depth=1
	s_and_b64 vcc, exec, s[22:23]
	s_cbranch_vccnz .LBB143_75
.LBB143_59:                             ; =>This Loop Header: Depth=1
                                        ;     Child Loop BB143_62 Depth 2
	v_mov_b32_e32 v36, v26
	v_cmp_ne_u16_sdwa s[22:23], v27, v54 src0_sel:BYTE_0 src1_sel:DWORD
	v_mov_b32_e32 v35, v25
	s_cmp_lg_u64 s[22:23], exec
	s_mov_b64 s[22:23], -1
                                        ; implicit-def: $vgpr25_vgpr26
                                        ; implicit-def: $vgpr27
	s_cbranch_scc1 .LBB143_58
; %bb.60:                               ;   in Loop: Header=BB143_59 Depth=1
	v_lshlrev_b64 v[25:26], 4, v[33:34]
	v_mov_b32_e32 v27, s19
	v_add_co_u32_e32 v37, vcc, s18, v25
	v_addc_co_u32_e32 v38, vcc, v27, v26, vcc
	;;#ASMSTART
	global_load_dwordx4 v[25:28], v[37:38] off glc	
s_waitcnt vmcnt(0)
	;;#ASMEND
	v_cmp_eq_u16_sdwa s[24:25], v27, v34 src0_sel:BYTE_0 src1_sel:DWORD
	s_and_saveexec_b64 s[22:23], s[24:25]
	s_cbranch_execz .LBB143_64
; %bb.61:                               ;   in Loop: Header=BB143_59 Depth=1
	s_mov_b64 s[24:25], 0
.LBB143_62:                             ;   Parent Loop BB143_59 Depth=1
                                        ; =>  This Inner Loop Header: Depth=2
	;;#ASMSTART
	global_load_dwordx4 v[25:28], v[37:38] off glc	
s_waitcnt vmcnt(0)
	;;#ASMEND
	v_cmp_ne_u16_sdwa s[28:29], v27, v34 src0_sel:BYTE_0 src1_sel:DWORD
	s_or_b64 s[24:25], s[28:29], s[24:25]
	s_andn2_b64 exec, exec, s[24:25]
	s_cbranch_execnz .LBB143_62
; %bb.63:                               ;   in Loop: Header=BB143_59 Depth=1
	s_or_b64 exec, exec, s[24:25]
.LBB143_64:                             ;   in Loop: Header=BB143_59 Depth=1
	s_or_b64 exec, exec, s[22:23]
	v_cmp_eq_u16_sdwa s[22:23], v27, v54 src0_sel:BYTE_0 src1_sel:DWORD
	v_and_b32_e32 v28, s23, v24
	v_or_b32_e32 v28, 0x80000000, v28
	ds_bpermute_b32 v37, v42, v25
	ds_bpermute_b32 v38, v42, v26
	v_and_b32_e32 v55, s22, v23
	v_ffbl_b32_e32 v28, v28
	v_add_u32_e32 v28, 32, v28
	v_ffbl_b32_e32 v55, v55
	v_min_u32_e32 v28, v55, v28
	v_cmp_le_u32_e32 vcc, v43, v28
	s_and_saveexec_b64 s[22:23], vcc
	s_cbranch_execz .LBB143_66
; %bb.65:                               ;   in Loop: Header=BB143_59 Depth=1
	s_waitcnt lgkmcnt(0)
	v_add_f64 v[25:26], v[25:26], v[37:38]
.LBB143_66:                             ;   in Loop: Header=BB143_59 Depth=1
	s_or_b64 exec, exec, s[22:23]
	s_waitcnt lgkmcnt(1)
	ds_bpermute_b32 v37, v44, v25
	s_waitcnt lgkmcnt(1)
	ds_bpermute_b32 v38, v44, v26
	v_cmp_le_u32_e32 vcc, v45, v28
	s_and_saveexec_b64 s[22:23], vcc
	s_cbranch_execz .LBB143_68
; %bb.67:                               ;   in Loop: Header=BB143_59 Depth=1
	s_waitcnt lgkmcnt(0)
	v_add_f64 v[25:26], v[25:26], v[37:38]
.LBB143_68:                             ;   in Loop: Header=BB143_59 Depth=1
	s_or_b64 exec, exec, s[22:23]
	s_waitcnt lgkmcnt(1)
	ds_bpermute_b32 v37, v46, v25
	s_waitcnt lgkmcnt(1)
	ds_bpermute_b32 v38, v46, v26
	;; [unrolled: 12-line block ×4, first 2 shown]
	v_cmp_le_u32_e32 vcc, v51, v28
	s_and_saveexec_b64 s[22:23], vcc
	s_cbranch_execz .LBB143_57
; %bb.73:                               ;   in Loop: Header=BB143_59 Depth=1
	s_waitcnt lgkmcnt(0)
	v_add_f64 v[25:26], v[25:26], v[37:38]
	s_branch .LBB143_57
.LBB143_74:
                                        ; implicit-def: $vgpr21_vgpr22
	s_load_dwordx4 s[0:3], s[4:5], 0x40
	s_cbranch_execnz .LBB143_80
	s_branch .LBB143_99
.LBB143_75:
	s_and_saveexec_b64 s[22:23], s[2:3]
	s_cbranch_execz .LBB143_77
; %bb.76:
	s_add_i32 s2, s6, 64
	s_mov_b32 s3, 0
	s_lshl_b64 s[2:3], s[2:3], 4
	s_add_u32 s2, s18, s2
	s_addc_u32 s3, s19, s3
	v_mov_b32_e32 v26, s3
	v_add_f64 v[21:22], v[21:22], v[35:36]
	v_mov_b32_e32 v23, 2
	v_mov_b32_e32 v24, 0
	;; [unrolled: 1-line block ×3, first 2 shown]
	;;#ASMSTART
	global_store_dwordx4 v[25:26], v[21:24] off	
s_waitcnt vmcnt(0)
	;;#ASMEND
.LBB143_77:
	s_or_b64 exec, exec, s[22:23]
	s_and_b64 exec, exec, s[0:1]
; %bb.78:
	v_mov_b32_e32 v21, 0
	ds_write_b64 v21, v[35:36]
.LBB143_79:
	s_or_b64 exec, exec, s[20:21]
	v_mov_b32_e32 v21, 0
	s_waitcnt lgkmcnt(0)
	s_barrier
	ds_read_b64 v[21:22], v21
	s_waitcnt lgkmcnt(0)
	v_add_f64 v[23:24], v[31:32], v[21:22]
	v_cndmask_b32_e64 v22, v24, v22, s[0:1]
	v_cndmask_b32_e64 v21, v23, v21, s[0:1]
	s_load_dwordx4 s[0:3], s[4:5], 0x40
	s_branch .LBB143_99
.LBB143_80:
	s_load_dword s6, s[4:5], 0x50
	v_mov_b32_e32 v26, s17
	v_mov_b32_e32 v25, s16
	s_waitcnt lgkmcnt(0)
	s_bitcmp0_b32 s6, 0
	s_cbranch_scc1 .LBB143_82
; %bb.81:
	v_mov_b32_e32 v23, 0
	global_load_dword v24, v23, s[14:15] offset:-4
	global_load_dwordx2 v[21:22], v23, s[0:1]
	s_waitcnt vmcnt(1)
	v_cvt_f64_i32_e32 v[23:24], v24
	s_waitcnt vmcnt(0)
	v_add_f64 v[25:26], v[21:22], v[23:24]
.LBB143_82:
	v_add_f64 v[21:22], v[3:4], v[29:30]
	v_cmp_gt_u32_e32 vcc, 64, v0
	v_add_f64 v[21:22], v[17:18], v[21:22]
	v_add_f64 v[21:22], v[19:20], v[21:22]
	;; [unrolled: 1-line block ×6, first 2 shown]
	v_and_b32_e32 v21, 24, v41
	v_lshl_add_u32 v21, v0, 3, v21
	ds_write_b64 v21, v[11:12]
	s_waitcnt lgkmcnt(0)
	s_barrier
	s_and_saveexec_b64 s[0:1], vcc
	s_cbranch_execz .LBB143_94
; %bb.83:
	v_lshrrev_b32_e32 v21, 1, v0
	v_and_b32_e32 v21, 56, v21
	v_lshlrev_b32_e32 v22, 4, v0
	v_add_u32_e32 v31, v21, v22
	ds_read2_b64 v[21:24], v31 offset1:1
	v_mbcnt_lo_u32_b32 v29, -1, 0
	v_mbcnt_hi_u32_b32 v32, -1, v29
	v_and_b32_e32 v33, 15, v32
	v_cmp_ne_u32_e32 vcc, 0, v33
	s_waitcnt lgkmcnt(0)
	v_add_f64 v[27:28], v[21:22], v[23:24]
	s_nop 1
	v_mov_b32_dpp v29, v27 row_shr:1 row_mask:0xf bank_mask:0xf
	v_mov_b32_dpp v30, v28 row_shr:1 row_mask:0xf bank_mask:0xf
	s_and_saveexec_b64 s[6:7], vcc
; %bb.84:
	v_add_f64 v[27:28], v[27:28], v[29:30]
; %bb.85:
	s_or_b64 exec, exec, s[6:7]
	s_nop 0
	v_mov_b32_dpp v29, v27 row_shr:2 row_mask:0xf bank_mask:0xf
	v_mov_b32_dpp v30, v28 row_shr:2 row_mask:0xf bank_mask:0xf
	v_cmp_lt_u32_e32 vcc, 1, v33
	s_and_saveexec_b64 s[6:7], vcc
; %bb.86:
	v_add_f64 v[27:28], v[27:28], v[29:30]
; %bb.87:
	s_or_b64 exec, exec, s[6:7]
	s_nop 0
	v_mov_b32_dpp v29, v27 row_shr:4 row_mask:0xf bank_mask:0xf
	v_mov_b32_dpp v30, v28 row_shr:4 row_mask:0xf bank_mask:0xf
	v_cmp_lt_u32_e32 vcc, 3, v33
	;; [unrolled: 9-line block ×3, first 2 shown]
	s_and_saveexec_b64 s[6:7], vcc
; %bb.90:
	v_add_f64 v[27:28], v[27:28], v[29:30]
; %bb.91:
	s_or_b64 exec, exec, s[6:7]
	v_and_b32_e32 v33, 16, v32
	v_mov_b32_dpp v29, v27 row_bcast:15 row_mask:0xf bank_mask:0xf
	v_mov_b32_dpp v30, v28 row_bcast:15 row_mask:0xf bank_mask:0xf
	v_cmp_ne_u32_e32 vcc, 0, v33
	s_and_saveexec_b64 s[6:7], vcc
; %bb.92:
	v_add_f64 v[27:28], v[27:28], v[29:30]
; %bb.93:
	s_or_b64 exec, exec, s[6:7]
	s_nop 0
	v_mov_b32_dpp v29, v27 row_bcast:31 row_mask:0xf bank_mask:0xf
	v_mov_b32_dpp v30, v28 row_bcast:31 row_mask:0xf bank_mask:0xf
	v_add_f64 v[29:30], v[27:28], v[29:30]
	v_add_u32_e32 v33, -1, v32
	v_and_b32_e32 v34, 64, v32
	v_cmp_lt_i32_e32 vcc, v33, v34
	v_cndmask_b32_e32 v33, v33, v32, vcc
	v_cmp_lt_u32_e32 vcc, 31, v32
	v_cndmask_b32_e32 v28, v28, v30, vcc
	v_cndmask_b32_e32 v27, v27, v29, vcc
	v_lshlrev_b32_e32 v29, 2, v33
	ds_bpermute_b32 v27, v29, v27
	ds_bpermute_b32 v28, v29, v28
	v_cmp_eq_u32_e32 vcc, 0, v0
	s_waitcnt lgkmcnt(0)
	v_add_f64 v[21:22], v[21:22], v[27:28]
	v_cndmask_b32_e32 v12, v22, v12, vcc
	v_cndmask_b32_e32 v11, v21, v11, vcc
	v_add_f64 v[21:22], v[23:24], v[11:12]
	ds_write2_b64 v31, v[11:12], v[21:22] offset1:1
.LBB143_94:
	s_or_b64 exec, exec, s[0:1]
	v_mov_b32_e32 v21, v25
	v_cmp_eq_u32_e32 vcc, 0, v0
	v_cmp_ne_u32_e64 s[0:1], 0, v0
	v_mov_b32_e32 v22, v26
	s_waitcnt lgkmcnt(0)
	s_barrier
	s_and_saveexec_b64 s[6:7], s[0:1]
	s_cbranch_execz .LBB143_96
; %bb.95:
	v_add_u32_e32 v11, -1, v0
	v_lshrrev_b32_e32 v12, 2, v11
	v_and_b32_e32 v12, 0x3ffffff8, v12
	v_lshl_add_u32 v11, v11, 3, v12
	ds_read_b64 v[11:12], v11
	s_waitcnt lgkmcnt(0)
	v_add_f64 v[21:22], v[25:26], v[11:12]
.LBB143_96:
	s_or_b64 exec, exec, s[6:7]
	s_and_saveexec_b64 s[0:1], vcc
	s_cbranch_execz .LBB143_98
; %bb.97:
	v_mov_b32_e32 v27, 0
	ds_read_b64 v[11:12], v27 offset:1040
	s_add_u32 s6, s18, 0x400
	s_addc_u32 s7, s19, 0
	s_waitcnt lgkmcnt(0)
	v_add_f64 v[24:25], v[25:26], v[11:12]
	v_mov_b32_e32 v12, s7
	v_mov_b32_e32 v26, 2
	;; [unrolled: 1-line block ×3, first 2 shown]
	;;#ASMSTART
	global_store_dwordx4 v[11:12], v[24:27] off	
s_waitcnt vmcnt(0)
	;;#ASMEND
.LBB143_98:
	s_or_b64 exec, exec, s[0:1]
.LBB143_99:
	v_add_f64 v[23:24], v[5:6], v[21:22]
	s_waitcnt lgkmcnt(0)
	s_lshl_b64 s[0:1], s[12:13], 3
	s_add_u32 s0, s8, s0
	s_addc_u32 s1, s9, s1
	s_mov_b64 s[6:7], -1
	s_and_b64 vcc, exec, s[10:11]
	s_barrier
	v_add_f64 v[29:30], v[7:8], v[23:24]
	v_add_f64 v[31:32], v[1:2], v[29:30]
	;; [unrolled: 1-line block ×8, first 2 shown]
	s_cbranch_vccz .LBB143_101
; %bb.100:
	ds_write_b128 v40, v[21:24]
	ds_write_b128 v40, v[29:32] offset:16
	ds_write_b128 v40, v[25:28] offset:32
	ds_write_b128 v40, v[5:8] offset:48
	ds_write_b128 v40, v[1:4] offset:64
	s_waitcnt lgkmcnt(0)
	s_barrier
	ds_read2st64_b64 v[9:12], v39 offset1:2
	ds_read2st64_b64 v[13:16], v39 offset0:4 offset1:6
	ds_read2st64_b64 v[17:20], v39 offset0:8 offset1:10
	;; [unrolled: 1-line block ×4, first 2 shown]
	v_mov_b32_e32 v37, s1
	v_add_co_u32_e32 v38, vcc, s0, v39
	v_addc_co_u32_e32 v37, vcc, 0, v37, vcc
	s_movk_i32 s6, 0x1000
	s_waitcnt lgkmcnt(4)
	global_store_dwordx2 v39, v[9:10], s[0:1]
	global_store_dwordx2 v39, v[11:12], s[0:1] offset:1024
	s_waitcnt lgkmcnt(3)
	global_store_dwordx2 v39, v[13:14], s[0:1] offset:2048
	global_store_dwordx2 v39, v[15:16], s[0:1] offset:3072
	v_add_co_u32_e32 v9, vcc, s6, v38
	v_addc_co_u32_e32 v10, vcc, 0, v37, vcc
	s_waitcnt lgkmcnt(2)
	global_store_dwordx2 v[9:10], v[17:18], off
	global_store_dwordx2 v[9:10], v[19:20], off offset:1024
	s_waitcnt lgkmcnt(1)
	global_store_dwordx2 v[9:10], v[33:34], off offset:2048
	global_store_dwordx2 v[9:10], v[35:36], off offset:3072
	v_add_co_u32_e32 v9, vcc, 0x2000, v38
	v_addc_co_u32_e32 v10, vcc, 0, v37, vcc
	s_waitcnt lgkmcnt(0)
	global_store_dwordx2 v[9:10], v[41:42], off
	global_store_dwordx2 v[9:10], v[43:44], off offset:1024
	s_mov_b64 s[6:7], 0
.LBB143_101:
	s_andn2_b64 vcc, exec, s[6:7]
	s_cbranch_vccnz .LBB143_157
; %bb.102:
	s_movk_i32 s6, 0xffb8
	v_mad_i32_i24 v18, v0, s6, v40
	ds_write_b128 v40, v[21:24]
	ds_write_b128 v40, v[29:32] offset:16
	ds_write_b128 v40, v[25:28] offset:32
	;; [unrolled: 1-line block ×4, first 2 shown]
	s_waitcnt vmcnt(0) lgkmcnt(0)
	s_barrier
	ds_read2st64_b64 v[2:5], v18 offset1:2
	ds_read2st64_b64 v[10:13], v18 offset0:4 offset1:6
	ds_read2st64_b64 v[6:9], v18 offset0:8 offset1:10
	;; [unrolled: 1-line block ×4, first 2 shown]
	v_mov_b32_e32 v23, s1
	v_add_co_u32_e32 v22, vcc, s0, v39
	v_addc_co_u32_e32 v23, vcc, 0, v23, vcc
	v_mov_b32_e32 v1, 0
	v_cmp_gt_u32_e32 vcc, s26, v0
	s_and_saveexec_b64 s[0:1], vcc
	s_cbranch_execz .LBB143_104
; %bb.103:
	s_waitcnt lgkmcnt(4)
	global_store_dwordx2 v[22:23], v[2:3], off
.LBB143_104:
	s_or_b64 exec, exec, s[0:1]
	v_or_b32_e32 v24, 0x80, v0
	v_cmp_gt_u32_e32 vcc, s26, v24
	s_and_saveexec_b64 s[0:1], vcc
	s_cbranch_execz .LBB143_106
; %bb.105:
	s_waitcnt lgkmcnt(4)
	global_store_dwordx2 v[22:23], v[4:5], off offset:1024
.LBB143_106:
	s_or_b64 exec, exec, s[0:1]
	v_or_b32_e32 v24, 0x100, v0
	v_cmp_gt_u32_e32 vcc, s26, v24
	s_and_saveexec_b64 s[0:1], vcc
	s_cbranch_execz .LBB143_108
; %bb.107:
	s_waitcnt lgkmcnt(3)
	global_store_dwordx2 v[22:23], v[10:11], off offset:2048
.LBB143_108:
	;; [unrolled: 9-line block ×3, first 2 shown]
	s_or_b64 exec, exec, s[0:1]
	v_or_b32_e32 v24, 0x200, v0
	v_cmp_gt_u32_e32 vcc, s26, v24
	s_and_saveexec_b64 s[0:1], vcc
	s_cbranch_execz .LBB143_112
; %bb.111:
	v_add_co_u32_e32 v24, vcc, 0x1000, v22
	v_addc_co_u32_e32 v25, vcc, 0, v23, vcc
	s_waitcnt lgkmcnt(2)
	global_store_dwordx2 v[24:25], v[6:7], off
.LBB143_112:
	s_or_b64 exec, exec, s[0:1]
	v_or_b32_e32 v24, 0x280, v0
	v_cmp_gt_u32_e32 vcc, s26, v24
	s_and_saveexec_b64 s[0:1], vcc
	s_cbranch_execz .LBB143_114
; %bb.113:
	v_add_co_u32_e32 v24, vcc, 0x1000, v22
	v_addc_co_u32_e32 v25, vcc, 0, v23, vcc
	s_waitcnt lgkmcnt(2)
	global_store_dwordx2 v[24:25], v[8:9], off offset:1024
.LBB143_114:
	s_or_b64 exec, exec, s[0:1]
	v_or_b32_e32 v24, 0x300, v0
	v_cmp_gt_u32_e32 vcc, s26, v24
	s_and_saveexec_b64 s[0:1], vcc
	s_cbranch_execz .LBB143_116
; %bb.115:
	v_add_co_u32_e32 v24, vcc, 0x1000, v22
	v_addc_co_u32_e32 v25, vcc, 0, v23, vcc
	s_waitcnt lgkmcnt(1)
	global_store_dwordx2 v[24:25], v[14:15], off offset:2048
.LBB143_116:
	;; [unrolled: 11-line block ×3, first 2 shown]
	s_or_b64 exec, exec, s[0:1]
	v_or_b32_e32 v24, 0x400, v0
	v_cmp_gt_u32_e32 vcc, s26, v24
	s_and_saveexec_b64 s[0:1], vcc
	s_cbranch_execz .LBB143_120
; %bb.119:
	v_add_co_u32_e32 v24, vcc, 0x2000, v22
	v_addc_co_u32_e32 v25, vcc, 0, v23, vcc
	s_waitcnt lgkmcnt(0)
	global_store_dwordx2 v[24:25], v[18:19], off
.LBB143_120:
	s_or_b64 exec, exec, s[0:1]
	v_or_b32_e32 v24, 0x480, v0
	v_cmp_gt_u32_e32 vcc, s26, v24
	s_and_saveexec_b64 s[0:1], vcc
	s_cbranch_execz .LBB143_122
; %bb.121:
	v_add_co_u32_e32 v22, vcc, 0x2000, v22
	v_addc_co_u32_e32 v23, vcc, 0, v23, vcc
	s_waitcnt lgkmcnt(0)
	global_store_dwordx2 v[22:23], v[20:21], off offset:1024
.LBB143_122:
	s_or_b64 exec, exec, s[0:1]
	s_load_dword s0, s[4:5], 0x50
	s_waitcnt lgkmcnt(0)
	s_bfe_u32 s0, s0, 0x10008
	s_cmp_eq_u32 s0, 0
	s_cbranch_scc1 .LBB143_157
; %bb.123:
	s_add_u32 s0, s26, -1
	s_addc_u32 s1, s27, -1
	s_mul_i32 s7, s1, 0xcccccccd
	s_mul_hi_u32 s8, s0, 0xcccccccd
	s_mul_hi_u32 s6, s1, 0xcccccccd
	s_add_u32 s7, s7, s8
	s_mul_i32 s5, s0, 0xcccccccc
	s_addc_u32 s6, s6, 0
	s_mul_hi_u32 s4, s0, 0xcccccccc
	s_add_u32 s5, s5, s7
	s_addc_u32 s4, s4, 0
	s_add_u32 s4, s6, s4
	s_addc_u32 s5, 0, 0
	s_mul_i32 s7, s1, 0xcccccccc
	s_mul_hi_u32 s6, s1, 0xcccccccc
	s_add_u32 s4, s7, s4
	s_addc_u32 s5, s6, s5
	s_lshr_b64 s[4:5], s[4:5], 3
	v_cmp_eq_u64_e32 vcc, s[4:5], v[0:1]
	s_and_saveexec_b64 s[4:5], vcc
	s_cbranch_execz .LBB143_157
; %bb.124:
	v_mul_hi_u32_u24_e32 v1, 10, v0
	v_mul_u32_u24_e32 v0, 10, v0
	v_mov_b32_e32 v22, s1
	v_sub_co_u32_e32 v0, vcc, s0, v0
	v_subb_co_u32_e32 v1, vcc, v22, v1, vcc
	v_cmp_lt_i64_e32 vcc, 4, v[0:1]
	s_and_saveexec_b64 s[0:1], vcc
	s_xor_b64 s[0:1], exec, s[0:1]
	s_cbranch_execz .LBB143_142
; %bb.125:
	v_cmp_lt_i64_e32 vcc, 6, v[0:1]
	s_and_saveexec_b64 s[4:5], vcc
	s_xor_b64 s[4:5], exec, s[4:5]
	s_cbranch_execz .LBB143_135
; %bb.126:
	;; [unrolled: 5-line block ×4, first 2 shown]
	v_mov_b32_e32 v0, 0
	global_store_dwordx2 v0, v[20:21], s[2:3]
                                        ; implicit-def: $vgpr18_vgpr19_vgpr20_vgpr21
.LBB143_129:
	s_andn2_saveexec_b64 s[8:9], s[8:9]
	s_cbranch_execz .LBB143_131
; %bb.130:
	v_mov_b32_e32 v0, 0
	global_store_dwordx2 v0, v[18:19], s[2:3]
.LBB143_131:
	s_or_b64 exec, exec, s[8:9]
                                        ; implicit-def: $vgpr14_vgpr15_vgpr16_vgpr17
.LBB143_132:
	s_andn2_saveexec_b64 s[6:7], s[6:7]
	s_cbranch_execz .LBB143_134
; %bb.133:
	v_mov_b32_e32 v0, 0
	global_store_dwordx2 v0, v[16:17], s[2:3]
.LBB143_134:
	s_or_b64 exec, exec, s[6:7]
                                        ; implicit-def: $vgpr6_vgpr7_vgpr8_vgpr9
                                        ; implicit-def: $vgpr0_vgpr1
                                        ; implicit-def: $vgpr14_vgpr15_vgpr16_vgpr17
.LBB143_135:
	s_andn2_saveexec_b64 s[4:5], s[4:5]
	s_cbranch_execz .LBB143_141
; %bb.136:
	v_cmp_lt_i64_e32 vcc, 5, v[0:1]
	s_and_saveexec_b64 s[6:7], vcc
	s_xor_b64 s[6:7], exec, s[6:7]
	s_cbranch_execz .LBB143_138
; %bb.137:
	v_mov_b32_e32 v0, 0
	global_store_dwordx2 v0, v[14:15], s[2:3]
                                        ; implicit-def: $vgpr6_vgpr7_vgpr8_vgpr9
.LBB143_138:
	s_andn2_saveexec_b64 s[6:7], s[6:7]
	s_cbranch_execz .LBB143_140
; %bb.139:
	v_mov_b32_e32 v0, 0
	global_store_dwordx2 v0, v[8:9], s[2:3]
.LBB143_140:
	s_or_b64 exec, exec, s[6:7]
.LBB143_141:
	s_or_b64 exec, exec, s[4:5]
                                        ; implicit-def: $vgpr0_vgpr1
                                        ; implicit-def: $vgpr10_vgpr11_vgpr12_vgpr13
                                        ; implicit-def: $vgpr2_vgpr3_vgpr4_vgpr5
                                        ; implicit-def: $vgpr6_vgpr7_vgpr8_vgpr9
.LBB143_142:
	s_andn2_saveexec_b64 s[0:1], s[0:1]
	s_cbranch_execz .LBB143_157
; %bb.143:
	v_cmp_lt_i64_e32 vcc, 2, v[0:1]
	s_and_saveexec_b64 s[0:1], vcc
	s_xor_b64 s[0:1], exec, s[0:1]
	s_cbranch_execz .LBB143_149
; %bb.144:
	v_cmp_lt_i64_e32 vcc, 3, v[0:1]
	s_and_saveexec_b64 s[4:5], vcc
	s_xor_b64 s[4:5], exec, s[4:5]
	s_cbranch_execz .LBB143_146
; %bb.145:
	v_mov_b32_e32 v0, 0
	global_store_dwordx2 v0, v[6:7], s[2:3]
                                        ; implicit-def: $vgpr10_vgpr11_vgpr12_vgpr13
.LBB143_146:
	s_andn2_saveexec_b64 s[4:5], s[4:5]
	s_cbranch_execz .LBB143_148
; %bb.147:
	v_mov_b32_e32 v0, 0
	global_store_dwordx2 v0, v[12:13], s[2:3]
.LBB143_148:
	s_or_b64 exec, exec, s[4:5]
                                        ; implicit-def: $vgpr0_vgpr1
                                        ; implicit-def: $vgpr10_vgpr11_vgpr12_vgpr13
                                        ; implicit-def: $vgpr2_vgpr3_vgpr4_vgpr5
.LBB143_149:
	s_andn2_saveexec_b64 s[0:1], s[0:1]
	s_cbranch_execz .LBB143_157
; %bb.150:
	v_cmp_lt_i64_e32 vcc, 1, v[0:1]
	s_and_saveexec_b64 s[0:1], vcc
	s_xor_b64 s[0:1], exec, s[0:1]
	s_cbranch_execz .LBB143_152
; %bb.151:
	v_mov_b32_e32 v0, 0
	global_store_dwordx2 v0, v[10:11], s[2:3]
                                        ; implicit-def: $vgpr2_vgpr3_vgpr4_vgpr5
                                        ; implicit-def: $vgpr0_vgpr1
.LBB143_152:
	s_andn2_saveexec_b64 s[0:1], s[0:1]
	s_cbranch_execz .LBB143_157
; %bb.153:
	v_cmp_ne_u64_e32 vcc, 1, v[0:1]
	s_and_saveexec_b64 s[0:1], vcc
	s_xor_b64 s[0:1], exec, s[0:1]
	s_cbranch_execz .LBB143_155
; %bb.154:
	v_mov_b32_e32 v0, 0
	global_store_dwordx2 v0, v[2:3], s[2:3]
                                        ; implicit-def: $vgpr2_vgpr3_vgpr4_vgpr5
.LBB143_155:
	s_andn2_saveexec_b64 s[0:1], s[0:1]
	s_cbranch_execz .LBB143_157
; %bb.156:
	v_mov_b32_e32 v0, 0
	global_store_dwordx2 v0, v[4:5], s[2:3]
.LBB143_157:
	s_endpgm
	.section	.rodata,"a",@progbits
	.p2align	6, 0x0
	.amdhsa_kernel _ZN7rocprim6detail20lookback_scan_kernelILNS0_25lookback_scan_determinismE0ELb1ENS0_19wrapped_scan_configINS_14default_configEdEEN6hipcub22TransformInputIteratorIiNS6_6CastOpIiEEPilEEPdNS6_3SumENS_12future_valueIdSC_EEdNS0_19lookback_scan_stateIdLb0ELb1EEEEEvT2_T3_mT5_T4_T7_jPT6_SO_bb
		.amdhsa_group_segment_fixed_size 10240
		.amdhsa_private_segment_fixed_size 0
		.amdhsa_kernarg_size 84
		.amdhsa_user_sgpr_count 6
		.amdhsa_user_sgpr_private_segment_buffer 1
		.amdhsa_user_sgpr_dispatch_ptr 0
		.amdhsa_user_sgpr_queue_ptr 0
		.amdhsa_user_sgpr_kernarg_segment_ptr 1
		.amdhsa_user_sgpr_dispatch_id 0
		.amdhsa_user_sgpr_flat_scratch_init 0
		.amdhsa_user_sgpr_private_segment_size 0
		.amdhsa_uses_dynamic_stack 0
		.amdhsa_system_sgpr_private_segment_wavefront_offset 0
		.amdhsa_system_sgpr_workgroup_id_x 1
		.amdhsa_system_sgpr_workgroup_id_y 0
		.amdhsa_system_sgpr_workgroup_id_z 0
		.amdhsa_system_sgpr_workgroup_info 0
		.amdhsa_system_vgpr_workitem_id 0
		.amdhsa_next_free_vgpr 65
		.amdhsa_next_free_sgpr 98
		.amdhsa_reserve_vcc 1
		.amdhsa_reserve_flat_scratch 0
		.amdhsa_float_round_mode_32 0
		.amdhsa_float_round_mode_16_64 0
		.amdhsa_float_denorm_mode_32 3
		.amdhsa_float_denorm_mode_16_64 3
		.amdhsa_dx10_clamp 1
		.amdhsa_ieee_mode 1
		.amdhsa_fp16_overflow 0
		.amdhsa_exception_fp_ieee_invalid_op 0
		.amdhsa_exception_fp_denorm_src 0
		.amdhsa_exception_fp_ieee_div_zero 0
		.amdhsa_exception_fp_ieee_overflow 0
		.amdhsa_exception_fp_ieee_underflow 0
		.amdhsa_exception_fp_ieee_inexact 0
		.amdhsa_exception_int_div_zero 0
	.end_amdhsa_kernel
	.section	.text._ZN7rocprim6detail20lookback_scan_kernelILNS0_25lookback_scan_determinismE0ELb1ENS0_19wrapped_scan_configINS_14default_configEdEEN6hipcub22TransformInputIteratorIiNS6_6CastOpIiEEPilEEPdNS6_3SumENS_12future_valueIdSC_EEdNS0_19lookback_scan_stateIdLb0ELb1EEEEEvT2_T3_mT5_T4_T7_jPT6_SO_bb,"axG",@progbits,_ZN7rocprim6detail20lookback_scan_kernelILNS0_25lookback_scan_determinismE0ELb1ENS0_19wrapped_scan_configINS_14default_configEdEEN6hipcub22TransformInputIteratorIiNS6_6CastOpIiEEPilEEPdNS6_3SumENS_12future_valueIdSC_EEdNS0_19lookback_scan_stateIdLb0ELb1EEEEEvT2_T3_mT5_T4_T7_jPT6_SO_bb,comdat
.Lfunc_end143:
	.size	_ZN7rocprim6detail20lookback_scan_kernelILNS0_25lookback_scan_determinismE0ELb1ENS0_19wrapped_scan_configINS_14default_configEdEEN6hipcub22TransformInputIteratorIiNS6_6CastOpIiEEPilEEPdNS6_3SumENS_12future_valueIdSC_EEdNS0_19lookback_scan_stateIdLb0ELb1EEEEEvT2_T3_mT5_T4_T7_jPT6_SO_bb, .Lfunc_end143-_ZN7rocprim6detail20lookback_scan_kernelILNS0_25lookback_scan_determinismE0ELb1ENS0_19wrapped_scan_configINS_14default_configEdEEN6hipcub22TransformInputIteratorIiNS6_6CastOpIiEEPilEEPdNS6_3SumENS_12future_valueIdSC_EEdNS0_19lookback_scan_stateIdLb0ELb1EEEEEvT2_T3_mT5_T4_T7_jPT6_SO_bb
                                        ; -- End function
	.set _ZN7rocprim6detail20lookback_scan_kernelILNS0_25lookback_scan_determinismE0ELb1ENS0_19wrapped_scan_configINS_14default_configEdEEN6hipcub22TransformInputIteratorIiNS6_6CastOpIiEEPilEEPdNS6_3SumENS_12future_valueIdSC_EEdNS0_19lookback_scan_stateIdLb0ELb1EEEEEvT2_T3_mT5_T4_T7_jPT6_SO_bb.num_vgpr, 56
	.set _ZN7rocprim6detail20lookback_scan_kernelILNS0_25lookback_scan_determinismE0ELb1ENS0_19wrapped_scan_configINS_14default_configEdEEN6hipcub22TransformInputIteratorIiNS6_6CastOpIiEEPilEEPdNS6_3SumENS_12future_valueIdSC_EEdNS0_19lookback_scan_stateIdLb0ELb1EEEEEvT2_T3_mT5_T4_T7_jPT6_SO_bb.num_agpr, 0
	.set _ZN7rocprim6detail20lookback_scan_kernelILNS0_25lookback_scan_determinismE0ELb1ENS0_19wrapped_scan_configINS_14default_configEdEEN6hipcub22TransformInputIteratorIiNS6_6CastOpIiEEPilEEPdNS6_3SumENS_12future_valueIdSC_EEdNS0_19lookback_scan_stateIdLb0ELb1EEEEEvT2_T3_mT5_T4_T7_jPT6_SO_bb.numbered_sgpr, 30
	.set _ZN7rocprim6detail20lookback_scan_kernelILNS0_25lookback_scan_determinismE0ELb1ENS0_19wrapped_scan_configINS_14default_configEdEEN6hipcub22TransformInputIteratorIiNS6_6CastOpIiEEPilEEPdNS6_3SumENS_12future_valueIdSC_EEdNS0_19lookback_scan_stateIdLb0ELb1EEEEEvT2_T3_mT5_T4_T7_jPT6_SO_bb.num_named_barrier, 0
	.set _ZN7rocprim6detail20lookback_scan_kernelILNS0_25lookback_scan_determinismE0ELb1ENS0_19wrapped_scan_configINS_14default_configEdEEN6hipcub22TransformInputIteratorIiNS6_6CastOpIiEEPilEEPdNS6_3SumENS_12future_valueIdSC_EEdNS0_19lookback_scan_stateIdLb0ELb1EEEEEvT2_T3_mT5_T4_T7_jPT6_SO_bb.private_seg_size, 0
	.set _ZN7rocprim6detail20lookback_scan_kernelILNS0_25lookback_scan_determinismE0ELb1ENS0_19wrapped_scan_configINS_14default_configEdEEN6hipcub22TransformInputIteratorIiNS6_6CastOpIiEEPilEEPdNS6_3SumENS_12future_valueIdSC_EEdNS0_19lookback_scan_stateIdLb0ELb1EEEEEvT2_T3_mT5_T4_T7_jPT6_SO_bb.uses_vcc, 1
	.set _ZN7rocprim6detail20lookback_scan_kernelILNS0_25lookback_scan_determinismE0ELb1ENS0_19wrapped_scan_configINS_14default_configEdEEN6hipcub22TransformInputIteratorIiNS6_6CastOpIiEEPilEEPdNS6_3SumENS_12future_valueIdSC_EEdNS0_19lookback_scan_stateIdLb0ELb1EEEEEvT2_T3_mT5_T4_T7_jPT6_SO_bb.uses_flat_scratch, 0
	.set _ZN7rocprim6detail20lookback_scan_kernelILNS0_25lookback_scan_determinismE0ELb1ENS0_19wrapped_scan_configINS_14default_configEdEEN6hipcub22TransformInputIteratorIiNS6_6CastOpIiEEPilEEPdNS6_3SumENS_12future_valueIdSC_EEdNS0_19lookback_scan_stateIdLb0ELb1EEEEEvT2_T3_mT5_T4_T7_jPT6_SO_bb.has_dyn_sized_stack, 0
	.set _ZN7rocprim6detail20lookback_scan_kernelILNS0_25lookback_scan_determinismE0ELb1ENS0_19wrapped_scan_configINS_14default_configEdEEN6hipcub22TransformInputIteratorIiNS6_6CastOpIiEEPilEEPdNS6_3SumENS_12future_valueIdSC_EEdNS0_19lookback_scan_stateIdLb0ELb1EEEEEvT2_T3_mT5_T4_T7_jPT6_SO_bb.has_recursion, 0
	.set _ZN7rocprim6detail20lookback_scan_kernelILNS0_25lookback_scan_determinismE0ELb1ENS0_19wrapped_scan_configINS_14default_configEdEEN6hipcub22TransformInputIteratorIiNS6_6CastOpIiEEPilEEPdNS6_3SumENS_12future_valueIdSC_EEdNS0_19lookback_scan_stateIdLb0ELb1EEEEEvT2_T3_mT5_T4_T7_jPT6_SO_bb.has_indirect_call, 0
	.section	.AMDGPU.csdata,"",@progbits
; Kernel info:
; codeLenInByte = 5104
; TotalNumSgprs: 34
; NumVgprs: 56
; ScratchSize: 0
; MemoryBound: 0
; FloatMode: 240
; IeeeMode: 1
; LDSByteSize: 10240 bytes/workgroup (compile time only)
; SGPRBlocks: 12
; VGPRBlocks: 16
; NumSGPRsForWavesPerEU: 102
; NumVGPRsForWavesPerEU: 65
; Occupancy: 3
; WaveLimiterHint : 1
; COMPUTE_PGM_RSRC2:SCRATCH_EN: 0
; COMPUTE_PGM_RSRC2:USER_SGPR: 6
; COMPUTE_PGM_RSRC2:TRAP_HANDLER: 0
; COMPUTE_PGM_RSRC2:TGID_X_EN: 1
; COMPUTE_PGM_RSRC2:TGID_Y_EN: 0
; COMPUTE_PGM_RSRC2:TGID_Z_EN: 0
; COMPUTE_PGM_RSRC2:TIDIG_COMP_CNT: 0
	.section	.text._ZN7rocprim6detail16transform_kernelINS0_24wrapped_transform_configINS_14default_configEdEEdPdS5_NS_8identityIdEEEEvT1_mT2_T3_,"axG",@progbits,_ZN7rocprim6detail16transform_kernelINS0_24wrapped_transform_configINS_14default_configEdEEdPdS5_NS_8identityIdEEEEvT1_mT2_T3_,comdat
	.protected	_ZN7rocprim6detail16transform_kernelINS0_24wrapped_transform_configINS_14default_configEdEEdPdS5_NS_8identityIdEEEEvT1_mT2_T3_ ; -- Begin function _ZN7rocprim6detail16transform_kernelINS0_24wrapped_transform_configINS_14default_configEdEEdPdS5_NS_8identityIdEEEEvT1_mT2_T3_
	.globl	_ZN7rocprim6detail16transform_kernelINS0_24wrapped_transform_configINS_14default_configEdEEdPdS5_NS_8identityIdEEEEvT1_mT2_T3_
	.p2align	8
	.type	_ZN7rocprim6detail16transform_kernelINS0_24wrapped_transform_configINS_14default_configEdEEdPdS5_NS_8identityIdEEEEvT1_mT2_T3_,@function
_ZN7rocprim6detail16transform_kernelINS0_24wrapped_transform_configINS_14default_configEdEEdPdS5_NS_8identityIdEEEEvT1_mT2_T3_: ; @_ZN7rocprim6detail16transform_kernelINS0_24wrapped_transform_configINS_14default_configEdEEdPdS5_NS_8identityIdEEEEvT1_mT2_T3_
; %bb.0:
	s_load_dword s7, s[4:5], 0x20
	s_load_dwordx4 s[0:3], s[4:5], 0x0
	s_lshl_b32 s8, s6, 10
	s_waitcnt lgkmcnt(0)
	s_add_i32 s7, s7, -1
	s_cmp_lg_u32 s6, s7
	s_cselect_b64 s[6:7], -1, 0
	s_sub_i32 s2, s2, s8
	v_cmp_gt_u32_e32 vcc, s2, v0
	s_or_b64 s[2:3], vcc, s[6:7]
	s_and_saveexec_b64 s[6:7], s[2:3]
	s_cbranch_execz .LBB144_2
; %bb.1:
	s_load_dwordx2 s[2:3], s[4:5], 0x10
	s_mov_b32 s9, 0
	s_lshl_b64 s[4:5], s[8:9], 3
	v_lshlrev_b32_e32 v2, 3, v0
	s_waitcnt lgkmcnt(0)
	s_add_u32 s2, s2, s4
	s_addc_u32 s3, s3, s5
	s_add_u32 s0, s0, s4
	s_addc_u32 s1, s1, s5
	global_load_dwordx2 v[0:1], v2, s[0:1]
	s_waitcnt vmcnt(0)
	global_store_dwordx2 v2, v[0:1], s[2:3]
.LBB144_2:
	s_endpgm
	.section	.rodata,"a",@progbits
	.p2align	6, 0x0
	.amdhsa_kernel _ZN7rocprim6detail16transform_kernelINS0_24wrapped_transform_configINS_14default_configEdEEdPdS5_NS_8identityIdEEEEvT1_mT2_T3_
		.amdhsa_group_segment_fixed_size 0
		.amdhsa_private_segment_fixed_size 0
		.amdhsa_kernarg_size 288
		.amdhsa_user_sgpr_count 6
		.amdhsa_user_sgpr_private_segment_buffer 1
		.amdhsa_user_sgpr_dispatch_ptr 0
		.amdhsa_user_sgpr_queue_ptr 0
		.amdhsa_user_sgpr_kernarg_segment_ptr 1
		.amdhsa_user_sgpr_dispatch_id 0
		.amdhsa_user_sgpr_flat_scratch_init 0
		.amdhsa_user_sgpr_private_segment_size 0
		.amdhsa_uses_dynamic_stack 0
		.amdhsa_system_sgpr_private_segment_wavefront_offset 0
		.amdhsa_system_sgpr_workgroup_id_x 1
		.amdhsa_system_sgpr_workgroup_id_y 0
		.amdhsa_system_sgpr_workgroup_id_z 0
		.amdhsa_system_sgpr_workgroup_info 0
		.amdhsa_system_vgpr_workitem_id 0
		.amdhsa_next_free_vgpr 3
		.amdhsa_next_free_sgpr 10
		.amdhsa_reserve_vcc 1
		.amdhsa_reserve_flat_scratch 0
		.amdhsa_float_round_mode_32 0
		.amdhsa_float_round_mode_16_64 0
		.amdhsa_float_denorm_mode_32 3
		.amdhsa_float_denorm_mode_16_64 3
		.amdhsa_dx10_clamp 1
		.amdhsa_ieee_mode 1
		.amdhsa_fp16_overflow 0
		.amdhsa_exception_fp_ieee_invalid_op 0
		.amdhsa_exception_fp_denorm_src 0
		.amdhsa_exception_fp_ieee_div_zero 0
		.amdhsa_exception_fp_ieee_overflow 0
		.amdhsa_exception_fp_ieee_underflow 0
		.amdhsa_exception_fp_ieee_inexact 0
		.amdhsa_exception_int_div_zero 0
	.end_amdhsa_kernel
	.section	.text._ZN7rocprim6detail16transform_kernelINS0_24wrapped_transform_configINS_14default_configEdEEdPdS5_NS_8identityIdEEEEvT1_mT2_T3_,"axG",@progbits,_ZN7rocprim6detail16transform_kernelINS0_24wrapped_transform_configINS_14default_configEdEEdPdS5_NS_8identityIdEEEEvT1_mT2_T3_,comdat
.Lfunc_end144:
	.size	_ZN7rocprim6detail16transform_kernelINS0_24wrapped_transform_configINS_14default_configEdEEdPdS5_NS_8identityIdEEEEvT1_mT2_T3_, .Lfunc_end144-_ZN7rocprim6detail16transform_kernelINS0_24wrapped_transform_configINS_14default_configEdEEdPdS5_NS_8identityIdEEEEvT1_mT2_T3_
                                        ; -- End function
	.set _ZN7rocprim6detail16transform_kernelINS0_24wrapped_transform_configINS_14default_configEdEEdPdS5_NS_8identityIdEEEEvT1_mT2_T3_.num_vgpr, 3
	.set _ZN7rocprim6detail16transform_kernelINS0_24wrapped_transform_configINS_14default_configEdEEdPdS5_NS_8identityIdEEEEvT1_mT2_T3_.num_agpr, 0
	.set _ZN7rocprim6detail16transform_kernelINS0_24wrapped_transform_configINS_14default_configEdEEdPdS5_NS_8identityIdEEEEvT1_mT2_T3_.numbered_sgpr, 10
	.set _ZN7rocprim6detail16transform_kernelINS0_24wrapped_transform_configINS_14default_configEdEEdPdS5_NS_8identityIdEEEEvT1_mT2_T3_.num_named_barrier, 0
	.set _ZN7rocprim6detail16transform_kernelINS0_24wrapped_transform_configINS_14default_configEdEEdPdS5_NS_8identityIdEEEEvT1_mT2_T3_.private_seg_size, 0
	.set _ZN7rocprim6detail16transform_kernelINS0_24wrapped_transform_configINS_14default_configEdEEdPdS5_NS_8identityIdEEEEvT1_mT2_T3_.uses_vcc, 1
	.set _ZN7rocprim6detail16transform_kernelINS0_24wrapped_transform_configINS_14default_configEdEEdPdS5_NS_8identityIdEEEEvT1_mT2_T3_.uses_flat_scratch, 0
	.set _ZN7rocprim6detail16transform_kernelINS0_24wrapped_transform_configINS_14default_configEdEEdPdS5_NS_8identityIdEEEEvT1_mT2_T3_.has_dyn_sized_stack, 0
	.set _ZN7rocprim6detail16transform_kernelINS0_24wrapped_transform_configINS_14default_configEdEEdPdS5_NS_8identityIdEEEEvT1_mT2_T3_.has_recursion, 0
	.set _ZN7rocprim6detail16transform_kernelINS0_24wrapped_transform_configINS_14default_configEdEEdPdS5_NS_8identityIdEEEEvT1_mT2_T3_.has_indirect_call, 0
	.section	.AMDGPU.csdata,"",@progbits
; Kernel info:
; codeLenInByte = 120
; TotalNumSgprs: 14
; NumVgprs: 3
; ScratchSize: 0
; MemoryBound: 0
; FloatMode: 240
; IeeeMode: 1
; LDSByteSize: 0 bytes/workgroup (compile time only)
; SGPRBlocks: 1
; VGPRBlocks: 0
; NumSGPRsForWavesPerEU: 14
; NumVGPRsForWavesPerEU: 3
; Occupancy: 10
; WaveLimiterHint : 0
; COMPUTE_PGM_RSRC2:SCRATCH_EN: 0
; COMPUTE_PGM_RSRC2:USER_SGPR: 6
; COMPUTE_PGM_RSRC2:TRAP_HANDLER: 0
; COMPUTE_PGM_RSRC2:TGID_X_EN: 1
; COMPUTE_PGM_RSRC2:TGID_Y_EN: 0
; COMPUTE_PGM_RSRC2:TGID_Z_EN: 0
; COMPUTE_PGM_RSRC2:TIDIG_COMP_CNT: 0
	.section	.text._ZN7rocprim6detail18single_scan_kernelILb1ENS0_19wrapped_scan_configINS_14default_configEdEEN6hipcub22TransformInputIteratorIiNS5_6CastOpIiEEPilEEPdNS5_3SumENS_12future_valueIdSB_EEdEEvT1_mT4_T2_T3_,"axG",@progbits,_ZN7rocprim6detail18single_scan_kernelILb1ENS0_19wrapped_scan_configINS_14default_configEdEEN6hipcub22TransformInputIteratorIiNS5_6CastOpIiEEPilEEPdNS5_3SumENS_12future_valueIdSB_EEdEEvT1_mT4_T2_T3_,comdat
	.protected	_ZN7rocprim6detail18single_scan_kernelILb1ENS0_19wrapped_scan_configINS_14default_configEdEEN6hipcub22TransformInputIteratorIiNS5_6CastOpIiEEPilEEPdNS5_3SumENS_12future_valueIdSB_EEdEEvT1_mT4_T2_T3_ ; -- Begin function _ZN7rocprim6detail18single_scan_kernelILb1ENS0_19wrapped_scan_configINS_14default_configEdEEN6hipcub22TransformInputIteratorIiNS5_6CastOpIiEEPilEEPdNS5_3SumENS_12future_valueIdSB_EEdEEvT1_mT4_T2_T3_
	.globl	_ZN7rocprim6detail18single_scan_kernelILb1ENS0_19wrapped_scan_configINS_14default_configEdEEN6hipcub22TransformInputIteratorIiNS5_6CastOpIiEEPilEEPdNS5_3SumENS_12future_valueIdSB_EEdEEvT1_mT4_T2_T3_
	.p2align	8
	.type	_ZN7rocprim6detail18single_scan_kernelILb1ENS0_19wrapped_scan_configINS_14default_configEdEEN6hipcub22TransformInputIteratorIiNS5_6CastOpIiEEPilEEPdNS5_3SumENS_12future_valueIdSB_EEdEEvT1_mT4_T2_T3_,@function
_ZN7rocprim6detail18single_scan_kernelILb1ENS0_19wrapped_scan_configINS_14default_configEdEEN6hipcub22TransformInputIteratorIiNS5_6CastOpIiEEPilEEPdNS5_3SumENS_12future_valueIdSB_EEdEEvT1_mT4_T2_T3_: ; @_ZN7rocprim6detail18single_scan_kernelILb1ENS0_19wrapped_scan_configINS_14default_configEdEEN6hipcub22TransformInputIteratorIiNS5_6CastOpIiEEPilEEPdNS5_3SumENS_12future_valueIdSB_EEdEEvT1_mT4_T2_T3_
; %bb.0:
	s_load_dwordx2 s[0:1], s[4:5], 0x0
	s_load_dwordx4 s[24:27], s[4:5], 0x10
	v_lshlrev_b32_e32 v3, 2, v0
	s_waitcnt lgkmcnt(0)
	s_load_dword s2, s[0:1], 0x0
	v_mov_b32_e32 v4, s1
	v_add_co_u32_e32 v5, vcc, s0, v3
	v_addc_co_u32_e32 v6, vcc, 0, v4, vcc
	s_waitcnt lgkmcnt(0)
	v_cvt_f64_i32_e32 v[1:2], s2
	v_cmp_gt_u32_e64 s[0:1], s24, v0
	v_mov_b32_e32 v4, v2
	v_mov_b32_e32 v3, v1
	s_and_saveexec_b64 s[2:3], s[0:1]
	s_cbranch_execz .LBB145_2
; %bb.1:
	global_load_dword v3, v[5:6], off
	s_waitcnt vmcnt(0)
	v_cvt_f64_i32_e32 v[3:4], v3
.LBB145_2:
	s_or_b64 exec, exec, s[2:3]
	v_or_b32_e32 v7, 0x80, v0
	v_cmp_gt_u32_e64 s[2:3], s24, v7
	v_mov_b32_e32 v8, v2
	v_mov_b32_e32 v7, v1
	s_and_saveexec_b64 s[6:7], s[2:3]
	s_cbranch_execz .LBB145_4
; %bb.3:
	global_load_dword v7, v[5:6], off offset:512
	s_waitcnt vmcnt(0)
	v_cvt_f64_i32_e32 v[7:8], v7
.LBB145_4:
	s_or_b64 exec, exec, s[6:7]
	v_or_b32_e32 v9, 0x100, v0
	v_cmp_gt_u32_e64 s[20:21], s24, v9
	v_mov_b32_e32 v10, v2
	v_mov_b32_e32 v9, v1
	s_and_saveexec_b64 s[6:7], s[20:21]
	s_cbranch_execz .LBB145_6
; %bb.5:
	global_load_dword v9, v[5:6], off offset:1024
	s_waitcnt vmcnt(0)
	v_cvt_f64_i32_e32 v[9:10], v9
.LBB145_6:
	;; [unrolled: 12-line block ×7, first 2 shown]
	s_or_b64 exec, exec, s[16:17]
	v_or_b32_e32 v21, 0x400, v0
	v_cmp_gt_u32_e64 s[16:17], s24, v21
	v_mov_b32_e32 v22, v2
	v_mov_b32_e32 v21, v1
	s_and_saveexec_b64 s[18:19], s[16:17]
	s_cbranch_execz .LBB145_18
; %bb.17:
	v_add_co_u32_e32 v21, vcc, 0x1000, v5
	v_addc_co_u32_e32 v22, vcc, 0, v6, vcc
	global_load_dword v21, v[21:22], off
	s_waitcnt vmcnt(0)
	v_cvt_f64_i32_e32 v[21:22], v21
.LBB145_18:
	s_or_b64 exec, exec, s[18:19]
	s_load_dwordx2 s[4:5], s[4:5], 0x20
	v_or_b32_e32 v23, 0x480, v0
	v_cmp_gt_u32_e64 s[18:19], s24, v23
	s_and_saveexec_b64 s[22:23], s[18:19]
	s_cbranch_execz .LBB145_20
; %bb.19:
	v_add_co_u32_e32 v1, vcc, 0x1000, v5
	v_addc_co_u32_e32 v2, vcc, 0, v6, vcc
	global_load_dword v1, v[1:2], off offset:512
	s_waitcnt vmcnt(0)
	v_cvt_f64_i32_e32 v[1:2], v1
.LBB145_20:
	s_or_b64 exec, exec, s[22:23]
	v_lshlrev_b32_e32 v29, 3, v0
	s_movk_i32 s24, 0x48
	s_load_dwordx2 s[22:23], s[26:27], 0x0
	ds_write2st64_b64 v29, v[3:4], v[7:8] offset1:2
	ds_write2st64_b64 v29, v[9:10], v[11:12] offset0:4 offset1:6
	ds_write2st64_b64 v29, v[13:14], v[15:16] offset0:8 offset1:10
	;; [unrolled: 1-line block ×4, first 2 shown]
	v_mad_u32_u24 v19, v0, s24, v29
	s_waitcnt lgkmcnt(0)
	s_barrier
	ds_read_b128 v[5:8], v19
	ds_read_b128 v[1:4], v19 offset:16
	v_cmp_gt_u32_e32 vcc, 64, v0
	s_waitcnt lgkmcnt(1)
	v_add_f64 v[9:10], v[5:6], v[7:8]
	s_waitcnt lgkmcnt(0)
	v_add_f64 v[9:10], v[9:10], v[1:2]
	v_add_f64 v[17:18], v[9:10], v[3:4]
	ds_read_b128 v[13:16], v19 offset:32
	ds_read_b128 v[9:12], v19 offset:48
	s_waitcnt lgkmcnt(1)
	v_add_f64 v[17:18], v[17:18], v[13:14]
	v_add_f64 v[17:18], v[17:18], v[15:16]
	s_waitcnt lgkmcnt(0)
	v_add_f64 v[17:18], v[17:18], v[9:10]
	v_add_f64 v[21:22], v[17:18], v[11:12]
	ds_read_b128 v[17:20], v19 offset:64
	s_waitcnt lgkmcnt(0)
	s_barrier
	v_add_f64 v[21:22], v[21:22], v[17:18]
	v_add_f64 v[23:24], v[21:22], v[19:20]
	v_lshrrev_b32_e32 v19, 2, v0
	v_and_b32_e32 v19, 24, v19
	v_add_u32_e32 v19, v29, v19
	ds_write_b64 v19, v[23:24]
	s_waitcnt lgkmcnt(0)
	s_barrier
	s_and_saveexec_b64 s[24:25], vcc
	s_cbranch_execz .LBB145_32
; %bb.21:
	v_lshrrev_b32_e32 v19, 1, v0
	v_and_b32_e32 v19, 56, v19
	v_lshlrev_b32_e32 v20, 4, v0
	v_add_u32_e32 v30, v19, v20
	ds_read2_b64 v[19:22], v30 offset1:1
	v_mbcnt_lo_u32_b32 v27, -1, 0
	v_mbcnt_hi_u32_b32 v31, -1, v27
	v_and_b32_e32 v32, 15, v31
	v_cmp_ne_u32_e32 vcc, 0, v32
	s_waitcnt lgkmcnt(0)
	v_add_f64 v[25:26], v[19:20], v[21:22]
	s_nop 1
	v_mov_b32_dpp v27, v25 row_shr:1 row_mask:0xf bank_mask:0xf
	v_mov_b32_dpp v28, v26 row_shr:1 row_mask:0xf bank_mask:0xf
	s_and_saveexec_b64 s[26:27], vcc
; %bb.22:
	v_add_f64 v[25:26], v[25:26], v[27:28]
; %bb.23:
	s_or_b64 exec, exec, s[26:27]
	s_nop 0
	v_mov_b32_dpp v27, v25 row_shr:2 row_mask:0xf bank_mask:0xf
	v_mov_b32_dpp v28, v26 row_shr:2 row_mask:0xf bank_mask:0xf
	v_cmp_lt_u32_e32 vcc, 1, v32
	s_and_saveexec_b64 s[26:27], vcc
; %bb.24:
	v_add_f64 v[25:26], v[25:26], v[27:28]
; %bb.25:
	s_or_b64 exec, exec, s[26:27]
	s_nop 0
	v_mov_b32_dpp v27, v25 row_shr:4 row_mask:0xf bank_mask:0xf
	v_mov_b32_dpp v28, v26 row_shr:4 row_mask:0xf bank_mask:0xf
	v_cmp_lt_u32_e32 vcc, 3, v32
	;; [unrolled: 9-line block ×3, first 2 shown]
	s_and_saveexec_b64 s[26:27], vcc
; %bb.28:
	v_add_f64 v[25:26], v[25:26], v[27:28]
; %bb.29:
	s_or_b64 exec, exec, s[26:27]
	v_and_b32_e32 v32, 16, v31
	v_mov_b32_dpp v27, v25 row_bcast:15 row_mask:0xf bank_mask:0xf
	v_mov_b32_dpp v28, v26 row_bcast:15 row_mask:0xf bank_mask:0xf
	v_cmp_ne_u32_e32 vcc, 0, v32
	s_and_saveexec_b64 s[26:27], vcc
; %bb.30:
	v_add_f64 v[25:26], v[25:26], v[27:28]
; %bb.31:
	s_or_b64 exec, exec, s[26:27]
	s_nop 0
	v_mov_b32_dpp v27, v25 row_bcast:31 row_mask:0xf bank_mask:0xf
	v_mov_b32_dpp v28, v26 row_bcast:31 row_mask:0xf bank_mask:0xf
	v_add_f64 v[27:28], v[25:26], v[27:28]
	v_add_u32_e32 v32, -1, v31
	v_and_b32_e32 v33, 64, v31
	v_cmp_lt_i32_e32 vcc, v32, v33
	v_cndmask_b32_e32 v32, v32, v31, vcc
	v_cmp_lt_u32_e32 vcc, 31, v31
	v_cndmask_b32_e32 v26, v26, v28, vcc
	v_cndmask_b32_e32 v25, v25, v27, vcc
	v_lshlrev_b32_e32 v27, 2, v32
	ds_bpermute_b32 v25, v27, v25
	ds_bpermute_b32 v26, v27, v26
	v_cmp_eq_u32_e32 vcc, 0, v0
	s_waitcnt lgkmcnt(0)
	v_add_f64 v[19:20], v[19:20], v[25:26]
	v_cndmask_b32_e32 v20, v20, v24, vcc
	v_cndmask_b32_e32 v19, v19, v23, vcc
	v_add_f64 v[21:22], v[21:22], v[19:20]
	ds_write2_b64 v30, v[19:20], v[21:22] offset1:1
.LBB145_32:
	s_or_b64 exec, exec, s[24:25]
	v_mov_b32_e32 v19, s22
	v_mul_u32_u24_e32 v23, 0x48, v0
	v_cmp_ne_u32_e32 vcc, 0, v0
	v_mov_b32_e32 v20, s23
	s_waitcnt lgkmcnt(0)
	s_barrier
	s_and_saveexec_b64 s[24:25], vcc
	s_cbranch_execz .LBB145_34
; %bb.33:
	v_add_u32_e32 v0, -1, v0
	v_lshrrev_b32_e32 v19, 2, v0
	v_and_b32_e32 v19, 0x3ffffff8, v19
	v_lshl_add_u32 v0, v0, 3, v19
	ds_read_b64 v[19:20], v0
	s_waitcnt lgkmcnt(0)
	v_add_f64 v[19:20], s[22:23], v[19:20]
.LBB145_34:
	s_or_b64 exec, exec, s[24:25]
	v_add_f64 v[21:22], v[5:6], v[19:20]
	s_barrier
	v_add_f64 v[5:6], v[7:8], v[21:22]
	v_add_f64 v[7:8], v[1:2], v[5:6]
	v_add_f64 v[0:1], v[3:4], v[7:8]
	v_add_u32_e32 v4, v29, v23
	v_add_f64 v[2:3], v[13:14], v[0:1]
	v_add_f64 v[13:14], v[15:16], v[2:3]
	;; [unrolled: 1-line block ×5, first 2 shown]
	v_add_co_u32_e32 v18, vcc, s4, v29
	ds_write_b128 v4, v[19:22]
	ds_write_b128 v4, v[5:8] offset:16
	ds_write_b128 v4, v[0:3] offset:32
	;; [unrolled: 1-line block ×4, first 2 shown]
	s_waitcnt lgkmcnt(0)
	s_barrier
	ds_read2st64_b64 v[12:15], v29 offset0:2 offset1:4
	ds_read2st64_b64 v[8:11], v29 offset0:6 offset1:8
	;; [unrolled: 1-line block ×4, first 2 shown]
	ds_read_b64 v[16:17], v29 offset:9216
	v_mov_b32_e32 v19, s5
	v_addc_co_u32_e32 v19, vcc, 0, v19, vcc
	s_and_saveexec_b64 s[4:5], s[0:1]
	s_cbranch_execnz .LBB145_45
; %bb.35:
	s_or_b64 exec, exec, s[4:5]
	s_and_saveexec_b64 s[0:1], s[2:3]
	s_cbranch_execnz .LBB145_46
.LBB145_36:
	s_or_b64 exec, exec, s[0:1]
	s_and_saveexec_b64 s[0:1], s[20:21]
	s_cbranch_execnz .LBB145_47
.LBB145_37:
	s_or_b64 exec, exec, s[0:1]
	s_and_saveexec_b64 s[0:1], s[6:7]
	s_cbranch_execnz .LBB145_48
.LBB145_38:
	s_or_b64 exec, exec, s[0:1]
	s_and_saveexec_b64 s[0:1], s[8:9]
	s_cbranch_execnz .LBB145_49
.LBB145_39:
	s_or_b64 exec, exec, s[0:1]
	s_and_saveexec_b64 s[0:1], s[10:11]
	s_cbranch_execnz .LBB145_50
.LBB145_40:
	s_or_b64 exec, exec, s[0:1]
	s_and_saveexec_b64 s[0:1], s[12:13]
	s_cbranch_execnz .LBB145_51
.LBB145_41:
	s_or_b64 exec, exec, s[0:1]
	s_and_saveexec_b64 s[0:1], s[14:15]
	s_cbranch_execnz .LBB145_52
.LBB145_42:
	s_or_b64 exec, exec, s[0:1]
	s_and_saveexec_b64 s[0:1], s[16:17]
	s_cbranch_execnz .LBB145_53
.LBB145_43:
	s_or_b64 exec, exec, s[0:1]
	s_and_saveexec_b64 s[0:1], s[18:19]
	s_cbranch_execnz .LBB145_54
.LBB145_44:
	s_endpgm
.LBB145_45:
	ds_read_b64 v[20:21], v29
	s_waitcnt lgkmcnt(0)
	global_store_dwordx2 v[18:19], v[20:21], off
	s_or_b64 exec, exec, s[4:5]
	s_and_saveexec_b64 s[0:1], s[2:3]
	s_cbranch_execz .LBB145_36
.LBB145_46:
	s_waitcnt lgkmcnt(4)
	global_store_dwordx2 v[18:19], v[12:13], off offset:1024
	s_or_b64 exec, exec, s[0:1]
	s_and_saveexec_b64 s[0:1], s[20:21]
	s_cbranch_execz .LBB145_37
.LBB145_47:
	s_waitcnt lgkmcnt(4)
	global_store_dwordx2 v[18:19], v[14:15], off offset:2048
	s_or_b64 exec, exec, s[0:1]
	s_and_saveexec_b64 s[0:1], s[6:7]
	s_cbranch_execz .LBB145_38
.LBB145_48:
	s_waitcnt lgkmcnt(3)
	global_store_dwordx2 v[18:19], v[8:9], off offset:3072
	s_or_b64 exec, exec, s[0:1]
	s_and_saveexec_b64 s[0:1], s[8:9]
	s_cbranch_execz .LBB145_39
.LBB145_49:
	s_waitcnt lgkmcnt(3)
	v_add_co_u32_e32 v8, vcc, 0x1000, v18
	v_addc_co_u32_e32 v9, vcc, 0, v19, vcc
	global_store_dwordx2 v[8:9], v[10:11], off
	s_or_b64 exec, exec, s[0:1]
	s_and_saveexec_b64 s[0:1], s[10:11]
	s_cbranch_execz .LBB145_40
.LBB145_50:
	s_waitcnt lgkmcnt(3)
	v_add_co_u32_e32 v8, vcc, 0x1000, v18
	v_addc_co_u32_e32 v9, vcc, 0, v19, vcc
	s_waitcnt lgkmcnt(2)
	global_store_dwordx2 v[8:9], v[4:5], off offset:1024
	s_or_b64 exec, exec, s[0:1]
	s_and_saveexec_b64 s[0:1], s[12:13]
	s_cbranch_execz .LBB145_41
.LBB145_51:
	s_waitcnt lgkmcnt(2)
	v_add_co_u32_e32 v4, vcc, 0x1000, v18
	v_addc_co_u32_e32 v5, vcc, 0, v19, vcc
	global_store_dwordx2 v[4:5], v[6:7], off offset:2048
	s_or_b64 exec, exec, s[0:1]
	s_and_saveexec_b64 s[0:1], s[14:15]
	s_cbranch_execz .LBB145_42
.LBB145_52:
	s_waitcnt lgkmcnt(2)
	v_add_co_u32_e32 v4, vcc, 0x1000, v18
	v_addc_co_u32_e32 v5, vcc, 0, v19, vcc
	s_waitcnt lgkmcnt(1)
	global_store_dwordx2 v[4:5], v[0:1], off offset:3072
	s_or_b64 exec, exec, s[0:1]
	s_and_saveexec_b64 s[0:1], s[16:17]
	s_cbranch_execz .LBB145_43
.LBB145_53:
	s_waitcnt lgkmcnt(1)
	v_add_co_u32_e32 v0, vcc, 0x2000, v18
	v_addc_co_u32_e32 v1, vcc, 0, v19, vcc
	global_store_dwordx2 v[0:1], v[2:3], off
	s_or_b64 exec, exec, s[0:1]
	s_and_saveexec_b64 s[0:1], s[18:19]
	s_cbranch_execz .LBB145_44
.LBB145_54:
	s_waitcnt lgkmcnt(1)
	v_add_co_u32_e32 v0, vcc, 0x2000, v18
	v_addc_co_u32_e32 v1, vcc, 0, v19, vcc
	s_waitcnt lgkmcnt(0)
	global_store_dwordx2 v[0:1], v[16:17], off offset:1024
	s_endpgm
	.section	.rodata,"a",@progbits
	.p2align	6, 0x0
	.amdhsa_kernel _ZN7rocprim6detail18single_scan_kernelILb1ENS0_19wrapped_scan_configINS_14default_configEdEEN6hipcub22TransformInputIteratorIiNS5_6CastOpIiEEPilEEPdNS5_3SumENS_12future_valueIdSB_EEdEEvT1_mT4_T2_T3_
		.amdhsa_group_segment_fixed_size 10240
		.amdhsa_private_segment_fixed_size 0
		.amdhsa_kernarg_size 44
		.amdhsa_user_sgpr_count 6
		.amdhsa_user_sgpr_private_segment_buffer 1
		.amdhsa_user_sgpr_dispatch_ptr 0
		.amdhsa_user_sgpr_queue_ptr 0
		.amdhsa_user_sgpr_kernarg_segment_ptr 1
		.amdhsa_user_sgpr_dispatch_id 0
		.amdhsa_user_sgpr_flat_scratch_init 0
		.amdhsa_user_sgpr_private_segment_size 0
		.amdhsa_uses_dynamic_stack 0
		.amdhsa_system_sgpr_private_segment_wavefront_offset 0
		.amdhsa_system_sgpr_workgroup_id_x 1
		.amdhsa_system_sgpr_workgroup_id_y 0
		.amdhsa_system_sgpr_workgroup_id_z 0
		.amdhsa_system_sgpr_workgroup_info 0
		.amdhsa_system_vgpr_workitem_id 0
		.amdhsa_next_free_vgpr 65
		.amdhsa_next_free_sgpr 98
		.amdhsa_reserve_vcc 1
		.amdhsa_reserve_flat_scratch 0
		.amdhsa_float_round_mode_32 0
		.amdhsa_float_round_mode_16_64 0
		.amdhsa_float_denorm_mode_32 3
		.amdhsa_float_denorm_mode_16_64 3
		.amdhsa_dx10_clamp 1
		.amdhsa_ieee_mode 1
		.amdhsa_fp16_overflow 0
		.amdhsa_exception_fp_ieee_invalid_op 0
		.amdhsa_exception_fp_denorm_src 0
		.amdhsa_exception_fp_ieee_div_zero 0
		.amdhsa_exception_fp_ieee_overflow 0
		.amdhsa_exception_fp_ieee_underflow 0
		.amdhsa_exception_fp_ieee_inexact 0
		.amdhsa_exception_int_div_zero 0
	.end_amdhsa_kernel
	.section	.text._ZN7rocprim6detail18single_scan_kernelILb1ENS0_19wrapped_scan_configINS_14default_configEdEEN6hipcub22TransformInputIteratorIiNS5_6CastOpIiEEPilEEPdNS5_3SumENS_12future_valueIdSB_EEdEEvT1_mT4_T2_T3_,"axG",@progbits,_ZN7rocprim6detail18single_scan_kernelILb1ENS0_19wrapped_scan_configINS_14default_configEdEEN6hipcub22TransformInputIteratorIiNS5_6CastOpIiEEPilEEPdNS5_3SumENS_12future_valueIdSB_EEdEEvT1_mT4_T2_T3_,comdat
.Lfunc_end145:
	.size	_ZN7rocprim6detail18single_scan_kernelILb1ENS0_19wrapped_scan_configINS_14default_configEdEEN6hipcub22TransformInputIteratorIiNS5_6CastOpIiEEPilEEPdNS5_3SumENS_12future_valueIdSB_EEdEEvT1_mT4_T2_T3_, .Lfunc_end145-_ZN7rocprim6detail18single_scan_kernelILb1ENS0_19wrapped_scan_configINS_14default_configEdEEN6hipcub22TransformInputIteratorIiNS5_6CastOpIiEEPilEEPdNS5_3SumENS_12future_valueIdSB_EEdEEvT1_mT4_T2_T3_
                                        ; -- End function
	.set _ZN7rocprim6detail18single_scan_kernelILb1ENS0_19wrapped_scan_configINS_14default_configEdEEN6hipcub22TransformInputIteratorIiNS5_6CastOpIiEEPilEEPdNS5_3SumENS_12future_valueIdSB_EEdEEvT1_mT4_T2_T3_.num_vgpr, 34
	.set _ZN7rocprim6detail18single_scan_kernelILb1ENS0_19wrapped_scan_configINS_14default_configEdEEN6hipcub22TransformInputIteratorIiNS5_6CastOpIiEEPilEEPdNS5_3SumENS_12future_valueIdSB_EEdEEvT1_mT4_T2_T3_.num_agpr, 0
	.set _ZN7rocprim6detail18single_scan_kernelILb1ENS0_19wrapped_scan_configINS_14default_configEdEEN6hipcub22TransformInputIteratorIiNS5_6CastOpIiEEPilEEPdNS5_3SumENS_12future_valueIdSB_EEdEEvT1_mT4_T2_T3_.numbered_sgpr, 28
	.set _ZN7rocprim6detail18single_scan_kernelILb1ENS0_19wrapped_scan_configINS_14default_configEdEEN6hipcub22TransformInputIteratorIiNS5_6CastOpIiEEPilEEPdNS5_3SumENS_12future_valueIdSB_EEdEEvT1_mT4_T2_T3_.num_named_barrier, 0
	.set _ZN7rocprim6detail18single_scan_kernelILb1ENS0_19wrapped_scan_configINS_14default_configEdEEN6hipcub22TransformInputIteratorIiNS5_6CastOpIiEEPilEEPdNS5_3SumENS_12future_valueIdSB_EEdEEvT1_mT4_T2_T3_.private_seg_size, 0
	.set _ZN7rocprim6detail18single_scan_kernelILb1ENS0_19wrapped_scan_configINS_14default_configEdEEN6hipcub22TransformInputIteratorIiNS5_6CastOpIiEEPilEEPdNS5_3SumENS_12future_valueIdSB_EEdEEvT1_mT4_T2_T3_.uses_vcc, 1
	.set _ZN7rocprim6detail18single_scan_kernelILb1ENS0_19wrapped_scan_configINS_14default_configEdEEN6hipcub22TransformInputIteratorIiNS5_6CastOpIiEEPilEEPdNS5_3SumENS_12future_valueIdSB_EEdEEvT1_mT4_T2_T3_.uses_flat_scratch, 0
	.set _ZN7rocprim6detail18single_scan_kernelILb1ENS0_19wrapped_scan_configINS_14default_configEdEEN6hipcub22TransformInputIteratorIiNS5_6CastOpIiEEPilEEPdNS5_3SumENS_12future_valueIdSB_EEdEEvT1_mT4_T2_T3_.has_dyn_sized_stack, 0
	.set _ZN7rocprim6detail18single_scan_kernelILb1ENS0_19wrapped_scan_configINS_14default_configEdEEN6hipcub22TransformInputIteratorIiNS5_6CastOpIiEEPilEEPdNS5_3SumENS_12future_valueIdSB_EEdEEvT1_mT4_T2_T3_.has_recursion, 0
	.set _ZN7rocprim6detail18single_scan_kernelILb1ENS0_19wrapped_scan_configINS_14default_configEdEEN6hipcub22TransformInputIteratorIiNS5_6CastOpIiEEPilEEPdNS5_3SumENS_12future_valueIdSB_EEdEEvT1_mT4_T2_T3_.has_indirect_call, 0
	.section	.AMDGPU.csdata,"",@progbits
; Kernel info:
; codeLenInByte = 1920
; TotalNumSgprs: 32
; NumVgprs: 34
; ScratchSize: 0
; MemoryBound: 0
; FloatMode: 240
; IeeeMode: 1
; LDSByteSize: 10240 bytes/workgroup (compile time only)
; SGPRBlocks: 12
; VGPRBlocks: 16
; NumSGPRsForWavesPerEU: 102
; NumVGPRsForWavesPerEU: 65
; Occupancy: 3
; WaveLimiterHint : 0
; COMPUTE_PGM_RSRC2:SCRATCH_EN: 0
; COMPUTE_PGM_RSRC2:USER_SGPR: 6
; COMPUTE_PGM_RSRC2:TRAP_HANDLER: 0
; COMPUTE_PGM_RSRC2:TGID_X_EN: 1
; COMPUTE_PGM_RSRC2:TGID_Y_EN: 0
; COMPUTE_PGM_RSRC2:TGID_Z_EN: 0
; COMPUTE_PGM_RSRC2:TIDIG_COMP_CNT: 0
	.section	.text._ZL18fill_initial_valueIdEvPT_S0_,"axG",@progbits,_ZL18fill_initial_valueIdEvPT_S0_,comdat
	.globl	_ZL18fill_initial_valueIdEvPT_S0_ ; -- Begin function _ZL18fill_initial_valueIdEvPT_S0_
	.p2align	8
	.type	_ZL18fill_initial_valueIdEvPT_S0_,@function
_ZL18fill_initial_valueIdEvPT_S0_:      ; @_ZL18fill_initial_valueIdEvPT_S0_
; %bb.0:
	s_load_dwordx4 s[0:3], s[4:5], 0x0
	v_mov_b32_e32 v2, 0
	s_waitcnt lgkmcnt(0)
	v_mov_b32_e32 v0, s2
	v_mov_b32_e32 v1, s3
	global_store_dwordx2 v2, v[0:1], s[0:1]
	s_endpgm
	.section	.rodata,"a",@progbits
	.p2align	6, 0x0
	.amdhsa_kernel _ZL18fill_initial_valueIdEvPT_S0_
		.amdhsa_group_segment_fixed_size 0
		.amdhsa_private_segment_fixed_size 0
		.amdhsa_kernarg_size 16
		.amdhsa_user_sgpr_count 6
		.amdhsa_user_sgpr_private_segment_buffer 1
		.amdhsa_user_sgpr_dispatch_ptr 0
		.amdhsa_user_sgpr_queue_ptr 0
		.amdhsa_user_sgpr_kernarg_segment_ptr 1
		.amdhsa_user_sgpr_dispatch_id 0
		.amdhsa_user_sgpr_flat_scratch_init 0
		.amdhsa_user_sgpr_private_segment_size 0
		.amdhsa_uses_dynamic_stack 0
		.amdhsa_system_sgpr_private_segment_wavefront_offset 0
		.amdhsa_system_sgpr_workgroup_id_x 1
		.amdhsa_system_sgpr_workgroup_id_y 0
		.amdhsa_system_sgpr_workgroup_id_z 0
		.amdhsa_system_sgpr_workgroup_info 0
		.amdhsa_system_vgpr_workitem_id 0
		.amdhsa_next_free_vgpr 3
		.amdhsa_next_free_sgpr 6
		.amdhsa_reserve_vcc 0
		.amdhsa_reserve_flat_scratch 0
		.amdhsa_float_round_mode_32 0
		.amdhsa_float_round_mode_16_64 0
		.amdhsa_float_denorm_mode_32 3
		.amdhsa_float_denorm_mode_16_64 3
		.amdhsa_dx10_clamp 1
		.amdhsa_ieee_mode 1
		.amdhsa_fp16_overflow 0
		.amdhsa_exception_fp_ieee_invalid_op 0
		.amdhsa_exception_fp_denorm_src 0
		.amdhsa_exception_fp_ieee_div_zero 0
		.amdhsa_exception_fp_ieee_overflow 0
		.amdhsa_exception_fp_ieee_underflow 0
		.amdhsa_exception_fp_ieee_inexact 0
		.amdhsa_exception_int_div_zero 0
	.end_amdhsa_kernel
	.section	.text._ZL18fill_initial_valueIdEvPT_S0_,"axG",@progbits,_ZL18fill_initial_valueIdEvPT_S0_,comdat
.Lfunc_end146:
	.size	_ZL18fill_initial_valueIdEvPT_S0_, .Lfunc_end146-_ZL18fill_initial_valueIdEvPT_S0_
                                        ; -- End function
	.set _ZL18fill_initial_valueIdEvPT_S0_.num_vgpr, 3
	.set _ZL18fill_initial_valueIdEvPT_S0_.num_agpr, 0
	.set _ZL18fill_initial_valueIdEvPT_S0_.numbered_sgpr, 6
	.set _ZL18fill_initial_valueIdEvPT_S0_.num_named_barrier, 0
	.set _ZL18fill_initial_valueIdEvPT_S0_.private_seg_size, 0
	.set _ZL18fill_initial_valueIdEvPT_S0_.uses_vcc, 0
	.set _ZL18fill_initial_valueIdEvPT_S0_.uses_flat_scratch, 0
	.set _ZL18fill_initial_valueIdEvPT_S0_.has_dyn_sized_stack, 0
	.set _ZL18fill_initial_valueIdEvPT_S0_.has_recursion, 0
	.set _ZL18fill_initial_valueIdEvPT_S0_.has_indirect_call, 0
	.section	.AMDGPU.csdata,"",@progbits
; Kernel info:
; codeLenInByte = 36
; TotalNumSgprs: 10
; NumVgprs: 3
; ScratchSize: 0
; MemoryBound: 0
; FloatMode: 240
; IeeeMode: 1
; LDSByteSize: 0 bytes/workgroup (compile time only)
; SGPRBlocks: 1
; VGPRBlocks: 0
; NumSGPRsForWavesPerEU: 10
; NumVGPRsForWavesPerEU: 3
; Occupancy: 10
; WaveLimiterHint : 0
; COMPUTE_PGM_RSRC2:SCRATCH_EN: 0
; COMPUTE_PGM_RSRC2:USER_SGPR: 6
; COMPUTE_PGM_RSRC2:TRAP_HANDLER: 0
; COMPUTE_PGM_RSRC2:TGID_X_EN: 1
; COMPUTE_PGM_RSRC2:TGID_Y_EN: 0
; COMPUTE_PGM_RSRC2:TGID_Z_EN: 0
; COMPUTE_PGM_RSRC2:TIDIG_COMP_CNT: 0
	.section	.text._ZN7rocprim6detail31init_lookback_scan_state_kernelINS0_19lookback_scan_stateIfLb1ELb1EEEEEvT_jjPNS4_10value_typeE,"axG",@progbits,_ZN7rocprim6detail31init_lookback_scan_state_kernelINS0_19lookback_scan_stateIfLb1ELb1EEEEEvT_jjPNS4_10value_typeE,comdat
	.protected	_ZN7rocprim6detail31init_lookback_scan_state_kernelINS0_19lookback_scan_stateIfLb1ELb1EEEEEvT_jjPNS4_10value_typeE ; -- Begin function _ZN7rocprim6detail31init_lookback_scan_state_kernelINS0_19lookback_scan_stateIfLb1ELb1EEEEEvT_jjPNS4_10value_typeE
	.globl	_ZN7rocprim6detail31init_lookback_scan_state_kernelINS0_19lookback_scan_stateIfLb1ELb1EEEEEvT_jjPNS4_10value_typeE
	.p2align	8
	.type	_ZN7rocprim6detail31init_lookback_scan_state_kernelINS0_19lookback_scan_stateIfLb1ELb1EEEEEvT_jjPNS4_10value_typeE,@function
_ZN7rocprim6detail31init_lookback_scan_state_kernelINS0_19lookback_scan_stateIfLb1ELb1EEEEEvT_jjPNS4_10value_typeE: ; @_ZN7rocprim6detail31init_lookback_scan_state_kernelINS0_19lookback_scan_stateIfLb1ELb1EEEEEvT_jjPNS4_10value_typeE
; %bb.0:
	s_load_dword s7, s[4:5], 0x24
	s_load_dwordx2 s[8:9], s[4:5], 0x10
	s_load_dwordx4 s[0:3], s[4:5], 0x0
	s_waitcnt lgkmcnt(0)
	s_and_b32 s4, s7, 0xffff
	s_mul_i32 s6, s6, s4
	s_cmp_eq_u64 s[8:9], 0
	v_add_u32_e32 v0, s6, v0
	s_cbranch_scc1 .LBB147_9
; %bb.1:
	s_cmp_lt_u32 s3, s2
	s_cselect_b32 s4, s3, 0
	s_mov_b32 s7, 0
	v_cmp_eq_u32_e32 vcc, s4, v0
	s_and_saveexec_b64 s[4:5], vcc
	s_cbranch_execz .LBB147_8
; %bb.2:
	s_add_i32 s6, s3, 64
	s_lshl_b64 s[6:7], s[6:7], 3
	s_add_u32 s6, s0, s6
	s_addc_u32 s7, s1, s7
	v_mov_b32_e32 v1, 0
	global_load_dwordx2 v[3:4], v1, s[6:7] glc
	s_waitcnt vmcnt(0)
	v_and_b32_e32 v2, 0xff, v4
	v_cmp_ne_u64_e32 vcc, 0, v[1:2]
	s_cbranch_vccnz .LBB147_7
; %bb.3:
	s_mov_b32 s3, 1
.LBB147_4:                              ; =>This Loop Header: Depth=1
                                        ;     Child Loop BB147_5 Depth 2
	s_mov_b32 s10, s3
.LBB147_5:                              ;   Parent Loop BB147_4 Depth=1
                                        ; =>  This Inner Loop Header: Depth=2
	s_add_i32 s10, s10, -1
	s_cmp_eq_u32 s10, 0
	s_sleep 1
	s_cbranch_scc0 .LBB147_5
; %bb.6:                                ;   in Loop: Header=BB147_4 Depth=1
	global_load_dwordx2 v[3:4], v1, s[6:7] glc
	s_cmp_lt_u32 s3, 32
	s_cselect_b64 s[10:11], -1, 0
	s_cmp_lg_u64 s[10:11], 0
	s_addc_u32 s3, s3, 0
	s_waitcnt vmcnt(0)
	v_and_b32_e32 v2, 0xff, v4
	v_cmp_ne_u64_e32 vcc, 0, v[1:2]
	s_cbranch_vccz .LBB147_4
.LBB147_7:
	v_mov_b32_e32 v1, 0
	global_store_dword v1, v3, s[8:9]
.LBB147_8:
	s_or_b64 exec, exec, s[4:5]
.LBB147_9:
	v_cmp_gt_u32_e32 vcc, s2, v0
	s_and_saveexec_b64 s[2:3], vcc
	s_cbranch_execnz .LBB147_12
; %bb.10:
	s_or_b64 exec, exec, s[2:3]
	v_cmp_gt_u32_e32 vcc, 64, v0
	s_and_saveexec_b64 s[2:3], vcc
	s_cbranch_execnz .LBB147_13
.LBB147_11:
	s_endpgm
.LBB147_12:
	v_add_u32_e32 v1, 64, v0
	v_mov_b32_e32 v2, 0
	v_lshlrev_b64 v[3:4], 3, v[1:2]
	v_mov_b32_e32 v1, s1
	v_add_co_u32_e32 v3, vcc, s0, v3
	v_addc_co_u32_e32 v4, vcc, v1, v4, vcc
	v_mov_b32_e32 v1, v2
	global_store_dwordx2 v[3:4], v[1:2], off
	s_or_b64 exec, exec, s[2:3]
	v_cmp_gt_u32_e32 vcc, 64, v0
	s_and_saveexec_b64 s[2:3], vcc
	s_cbranch_execz .LBB147_11
.LBB147_13:
	v_mov_b32_e32 v1, 0
	v_lshlrev_b64 v[2:3], 3, v[0:1]
	v_mov_b32_e32 v0, s1
	v_add_co_u32_e32 v2, vcc, s0, v2
	v_addc_co_u32_e32 v3, vcc, v0, v3, vcc
	v_mov_b32_e32 v5, 0xff
	v_mov_b32_e32 v4, v1
	global_store_dwordx2 v[2:3], v[4:5], off
	s_endpgm
	.section	.rodata,"a",@progbits
	.p2align	6, 0x0
	.amdhsa_kernel _ZN7rocprim6detail31init_lookback_scan_state_kernelINS0_19lookback_scan_stateIfLb1ELb1EEEEEvT_jjPNS4_10value_typeE
		.amdhsa_group_segment_fixed_size 0
		.amdhsa_private_segment_fixed_size 0
		.amdhsa_kernarg_size 280
		.amdhsa_user_sgpr_count 6
		.amdhsa_user_sgpr_private_segment_buffer 1
		.amdhsa_user_sgpr_dispatch_ptr 0
		.amdhsa_user_sgpr_queue_ptr 0
		.amdhsa_user_sgpr_kernarg_segment_ptr 1
		.amdhsa_user_sgpr_dispatch_id 0
		.amdhsa_user_sgpr_flat_scratch_init 0
		.amdhsa_user_sgpr_private_segment_size 0
		.amdhsa_uses_dynamic_stack 0
		.amdhsa_system_sgpr_private_segment_wavefront_offset 0
		.amdhsa_system_sgpr_workgroup_id_x 1
		.amdhsa_system_sgpr_workgroup_id_y 0
		.amdhsa_system_sgpr_workgroup_id_z 0
		.amdhsa_system_sgpr_workgroup_info 0
		.amdhsa_system_vgpr_workitem_id 0
		.amdhsa_next_free_vgpr 6
		.amdhsa_next_free_sgpr 12
		.amdhsa_reserve_vcc 1
		.amdhsa_reserve_flat_scratch 0
		.amdhsa_float_round_mode_32 0
		.amdhsa_float_round_mode_16_64 0
		.amdhsa_float_denorm_mode_32 3
		.amdhsa_float_denorm_mode_16_64 3
		.amdhsa_dx10_clamp 1
		.amdhsa_ieee_mode 1
		.amdhsa_fp16_overflow 0
		.amdhsa_exception_fp_ieee_invalid_op 0
		.amdhsa_exception_fp_denorm_src 0
		.amdhsa_exception_fp_ieee_div_zero 0
		.amdhsa_exception_fp_ieee_overflow 0
		.amdhsa_exception_fp_ieee_underflow 0
		.amdhsa_exception_fp_ieee_inexact 0
		.amdhsa_exception_int_div_zero 0
	.end_amdhsa_kernel
	.section	.text._ZN7rocprim6detail31init_lookback_scan_state_kernelINS0_19lookback_scan_stateIfLb1ELb1EEEEEvT_jjPNS4_10value_typeE,"axG",@progbits,_ZN7rocprim6detail31init_lookback_scan_state_kernelINS0_19lookback_scan_stateIfLb1ELb1EEEEEvT_jjPNS4_10value_typeE,comdat
.Lfunc_end147:
	.size	_ZN7rocprim6detail31init_lookback_scan_state_kernelINS0_19lookback_scan_stateIfLb1ELb1EEEEEvT_jjPNS4_10value_typeE, .Lfunc_end147-_ZN7rocprim6detail31init_lookback_scan_state_kernelINS0_19lookback_scan_stateIfLb1ELb1EEEEEvT_jjPNS4_10value_typeE
                                        ; -- End function
	.set _ZN7rocprim6detail31init_lookback_scan_state_kernelINS0_19lookback_scan_stateIfLb1ELb1EEEEEvT_jjPNS4_10value_typeE.num_vgpr, 6
	.set _ZN7rocprim6detail31init_lookback_scan_state_kernelINS0_19lookback_scan_stateIfLb1ELb1EEEEEvT_jjPNS4_10value_typeE.num_agpr, 0
	.set _ZN7rocprim6detail31init_lookback_scan_state_kernelINS0_19lookback_scan_stateIfLb1ELb1EEEEEvT_jjPNS4_10value_typeE.numbered_sgpr, 12
	.set _ZN7rocprim6detail31init_lookback_scan_state_kernelINS0_19lookback_scan_stateIfLb1ELb1EEEEEvT_jjPNS4_10value_typeE.num_named_barrier, 0
	.set _ZN7rocprim6detail31init_lookback_scan_state_kernelINS0_19lookback_scan_stateIfLb1ELb1EEEEEvT_jjPNS4_10value_typeE.private_seg_size, 0
	.set _ZN7rocprim6detail31init_lookback_scan_state_kernelINS0_19lookback_scan_stateIfLb1ELb1EEEEEvT_jjPNS4_10value_typeE.uses_vcc, 1
	.set _ZN7rocprim6detail31init_lookback_scan_state_kernelINS0_19lookback_scan_stateIfLb1ELb1EEEEEvT_jjPNS4_10value_typeE.uses_flat_scratch, 0
	.set _ZN7rocprim6detail31init_lookback_scan_state_kernelINS0_19lookback_scan_stateIfLb1ELb1EEEEEvT_jjPNS4_10value_typeE.has_dyn_sized_stack, 0
	.set _ZN7rocprim6detail31init_lookback_scan_state_kernelINS0_19lookback_scan_stateIfLb1ELb1EEEEEvT_jjPNS4_10value_typeE.has_recursion, 0
	.set _ZN7rocprim6detail31init_lookback_scan_state_kernelINS0_19lookback_scan_stateIfLb1ELb1EEEEEvT_jjPNS4_10value_typeE.has_indirect_call, 0
	.section	.AMDGPU.csdata,"",@progbits
; Kernel info:
; codeLenInByte = 344
; TotalNumSgprs: 16
; NumVgprs: 6
; ScratchSize: 0
; MemoryBound: 0
; FloatMode: 240
; IeeeMode: 1
; LDSByteSize: 0 bytes/workgroup (compile time only)
; SGPRBlocks: 1
; VGPRBlocks: 1
; NumSGPRsForWavesPerEU: 16
; NumVGPRsForWavesPerEU: 6
; Occupancy: 10
; WaveLimiterHint : 0
; COMPUTE_PGM_RSRC2:SCRATCH_EN: 0
; COMPUTE_PGM_RSRC2:USER_SGPR: 6
; COMPUTE_PGM_RSRC2:TRAP_HANDLER: 0
; COMPUTE_PGM_RSRC2:TGID_X_EN: 1
; COMPUTE_PGM_RSRC2:TGID_Y_EN: 0
; COMPUTE_PGM_RSRC2:TGID_Z_EN: 0
; COMPUTE_PGM_RSRC2:TIDIG_COMP_CNT: 0
	.section	.text._ZN7rocprim6detail31init_lookback_scan_state_kernelINS0_19lookback_scan_stateIfLb0ELb1EEEEEvT_jjPNS4_10value_typeE,"axG",@progbits,_ZN7rocprim6detail31init_lookback_scan_state_kernelINS0_19lookback_scan_stateIfLb0ELb1EEEEEvT_jjPNS4_10value_typeE,comdat
	.protected	_ZN7rocprim6detail31init_lookback_scan_state_kernelINS0_19lookback_scan_stateIfLb0ELb1EEEEEvT_jjPNS4_10value_typeE ; -- Begin function _ZN7rocprim6detail31init_lookback_scan_state_kernelINS0_19lookback_scan_stateIfLb0ELb1EEEEEvT_jjPNS4_10value_typeE
	.globl	_ZN7rocprim6detail31init_lookback_scan_state_kernelINS0_19lookback_scan_stateIfLb0ELb1EEEEEvT_jjPNS4_10value_typeE
	.p2align	8
	.type	_ZN7rocprim6detail31init_lookback_scan_state_kernelINS0_19lookback_scan_stateIfLb0ELb1EEEEEvT_jjPNS4_10value_typeE,@function
_ZN7rocprim6detail31init_lookback_scan_state_kernelINS0_19lookback_scan_stateIfLb0ELb1EEEEEvT_jjPNS4_10value_typeE: ; @_ZN7rocprim6detail31init_lookback_scan_state_kernelINS0_19lookback_scan_stateIfLb0ELb1EEEEEvT_jjPNS4_10value_typeE
; %bb.0:
	s_load_dword s7, s[4:5], 0x24
	s_load_dwordx2 s[8:9], s[4:5], 0x10
	s_load_dwordx4 s[0:3], s[4:5], 0x0
	s_waitcnt lgkmcnt(0)
	s_and_b32 s4, s7, 0xffff
	s_mul_i32 s6, s6, s4
	s_cmp_eq_u64 s[8:9], 0
	v_add_u32_e32 v0, s6, v0
	s_cbranch_scc1 .LBB148_6
; %bb.1:
	s_cmp_lt_u32 s3, s2
	s_cselect_b32 s4, s3, 0
	s_mov_b32 s7, 0
	v_cmp_eq_u32_e32 vcc, s4, v0
	s_and_saveexec_b64 s[4:5], vcc
	s_cbranch_execz .LBB148_5
; %bb.2:
	s_add_i32 s6, s3, 64
	s_lshl_b64 s[6:7], s[6:7], 3
	s_add_u32 s6, s0, s6
	s_addc_u32 s7, s1, s7
	v_mov_b32_e32 v3, 0
	global_load_dwordx2 v[1:2], v3, s[6:7] glc
	s_waitcnt vmcnt(0)
	v_and_b32_e32 v4, 0xff, v2
	v_cmp_ne_u64_e32 vcc, 0, v[3:4]
	s_cbranch_vccnz .LBB148_4
.LBB148_3:                              ; =>This Inner Loop Header: Depth=1
	global_load_dwordx2 v[1:2], v3, s[6:7] glc
	s_waitcnt vmcnt(0)
	v_and_b32_e32 v4, 0xff, v2
	v_cmp_eq_u64_e32 vcc, 0, v[3:4]
	s_cbranch_vccnz .LBB148_3
.LBB148_4:
	v_mov_b32_e32 v2, 0
	global_store_dword v2, v1, s[8:9]
.LBB148_5:
	s_or_b64 exec, exec, s[4:5]
.LBB148_6:
	v_cmp_gt_u32_e32 vcc, s2, v0
	s_and_saveexec_b64 s[2:3], vcc
	s_cbranch_execnz .LBB148_9
; %bb.7:
	s_or_b64 exec, exec, s[2:3]
	v_cmp_gt_u32_e32 vcc, 64, v0
	s_and_saveexec_b64 s[2:3], vcc
	s_cbranch_execnz .LBB148_10
.LBB148_8:
	s_endpgm
.LBB148_9:
	v_add_u32_e32 v1, 64, v0
	v_mov_b32_e32 v2, 0
	v_lshlrev_b64 v[3:4], 3, v[1:2]
	v_mov_b32_e32 v1, s1
	v_add_co_u32_e32 v3, vcc, s0, v3
	v_addc_co_u32_e32 v4, vcc, v1, v4, vcc
	v_mov_b32_e32 v1, v2
	global_store_dwordx2 v[3:4], v[1:2], off
	s_or_b64 exec, exec, s[2:3]
	v_cmp_gt_u32_e32 vcc, 64, v0
	s_and_saveexec_b64 s[2:3], vcc
	s_cbranch_execz .LBB148_8
.LBB148_10:
	v_mov_b32_e32 v1, 0
	v_lshlrev_b64 v[2:3], 3, v[0:1]
	v_mov_b32_e32 v0, s1
	v_add_co_u32_e32 v2, vcc, s0, v2
	v_addc_co_u32_e32 v3, vcc, v0, v3, vcc
	v_mov_b32_e32 v5, 0xff
	v_mov_b32_e32 v4, v1
	global_store_dwordx2 v[2:3], v[4:5], off
	s_endpgm
	.section	.rodata,"a",@progbits
	.p2align	6, 0x0
	.amdhsa_kernel _ZN7rocprim6detail31init_lookback_scan_state_kernelINS0_19lookback_scan_stateIfLb0ELb1EEEEEvT_jjPNS4_10value_typeE
		.amdhsa_group_segment_fixed_size 0
		.amdhsa_private_segment_fixed_size 0
		.amdhsa_kernarg_size 280
		.amdhsa_user_sgpr_count 6
		.amdhsa_user_sgpr_private_segment_buffer 1
		.amdhsa_user_sgpr_dispatch_ptr 0
		.amdhsa_user_sgpr_queue_ptr 0
		.amdhsa_user_sgpr_kernarg_segment_ptr 1
		.amdhsa_user_sgpr_dispatch_id 0
		.amdhsa_user_sgpr_flat_scratch_init 0
		.amdhsa_user_sgpr_private_segment_size 0
		.amdhsa_uses_dynamic_stack 0
		.amdhsa_system_sgpr_private_segment_wavefront_offset 0
		.amdhsa_system_sgpr_workgroup_id_x 1
		.amdhsa_system_sgpr_workgroup_id_y 0
		.amdhsa_system_sgpr_workgroup_id_z 0
		.amdhsa_system_sgpr_workgroup_info 0
		.amdhsa_system_vgpr_workitem_id 0
		.amdhsa_next_free_vgpr 6
		.amdhsa_next_free_sgpr 10
		.amdhsa_reserve_vcc 1
		.amdhsa_reserve_flat_scratch 0
		.amdhsa_float_round_mode_32 0
		.amdhsa_float_round_mode_16_64 0
		.amdhsa_float_denorm_mode_32 3
		.amdhsa_float_denorm_mode_16_64 3
		.amdhsa_dx10_clamp 1
		.amdhsa_ieee_mode 1
		.amdhsa_fp16_overflow 0
		.amdhsa_exception_fp_ieee_invalid_op 0
		.amdhsa_exception_fp_denorm_src 0
		.amdhsa_exception_fp_ieee_div_zero 0
		.amdhsa_exception_fp_ieee_overflow 0
		.amdhsa_exception_fp_ieee_underflow 0
		.amdhsa_exception_fp_ieee_inexact 0
		.amdhsa_exception_int_div_zero 0
	.end_amdhsa_kernel
	.section	.text._ZN7rocprim6detail31init_lookback_scan_state_kernelINS0_19lookback_scan_stateIfLb0ELb1EEEEEvT_jjPNS4_10value_typeE,"axG",@progbits,_ZN7rocprim6detail31init_lookback_scan_state_kernelINS0_19lookback_scan_stateIfLb0ELb1EEEEEvT_jjPNS4_10value_typeE,comdat
.Lfunc_end148:
	.size	_ZN7rocprim6detail31init_lookback_scan_state_kernelINS0_19lookback_scan_stateIfLb0ELb1EEEEEvT_jjPNS4_10value_typeE, .Lfunc_end148-_ZN7rocprim6detail31init_lookback_scan_state_kernelINS0_19lookback_scan_stateIfLb0ELb1EEEEEvT_jjPNS4_10value_typeE
                                        ; -- End function
	.set _ZN7rocprim6detail31init_lookback_scan_state_kernelINS0_19lookback_scan_stateIfLb0ELb1EEEEEvT_jjPNS4_10value_typeE.num_vgpr, 6
	.set _ZN7rocprim6detail31init_lookback_scan_state_kernelINS0_19lookback_scan_stateIfLb0ELb1EEEEEvT_jjPNS4_10value_typeE.num_agpr, 0
	.set _ZN7rocprim6detail31init_lookback_scan_state_kernelINS0_19lookback_scan_stateIfLb0ELb1EEEEEvT_jjPNS4_10value_typeE.numbered_sgpr, 10
	.set _ZN7rocprim6detail31init_lookback_scan_state_kernelINS0_19lookback_scan_stateIfLb0ELb1EEEEEvT_jjPNS4_10value_typeE.num_named_barrier, 0
	.set _ZN7rocprim6detail31init_lookback_scan_state_kernelINS0_19lookback_scan_stateIfLb0ELb1EEEEEvT_jjPNS4_10value_typeE.private_seg_size, 0
	.set _ZN7rocprim6detail31init_lookback_scan_state_kernelINS0_19lookback_scan_stateIfLb0ELb1EEEEEvT_jjPNS4_10value_typeE.uses_vcc, 1
	.set _ZN7rocprim6detail31init_lookback_scan_state_kernelINS0_19lookback_scan_stateIfLb0ELb1EEEEEvT_jjPNS4_10value_typeE.uses_flat_scratch, 0
	.set _ZN7rocprim6detail31init_lookback_scan_state_kernelINS0_19lookback_scan_stateIfLb0ELb1EEEEEvT_jjPNS4_10value_typeE.has_dyn_sized_stack, 0
	.set _ZN7rocprim6detail31init_lookback_scan_state_kernelINS0_19lookback_scan_stateIfLb0ELb1EEEEEvT_jjPNS4_10value_typeE.has_recursion, 0
	.set _ZN7rocprim6detail31init_lookback_scan_state_kernelINS0_19lookback_scan_stateIfLb0ELb1EEEEEvT_jjPNS4_10value_typeE.has_indirect_call, 0
	.section	.AMDGPU.csdata,"",@progbits
; Kernel info:
; codeLenInByte = 304
; TotalNumSgprs: 14
; NumVgprs: 6
; ScratchSize: 0
; MemoryBound: 0
; FloatMode: 240
; IeeeMode: 1
; LDSByteSize: 0 bytes/workgroup (compile time only)
; SGPRBlocks: 1
; VGPRBlocks: 1
; NumSGPRsForWavesPerEU: 14
; NumVGPRsForWavesPerEU: 6
; Occupancy: 10
; WaveLimiterHint : 0
; COMPUTE_PGM_RSRC2:SCRATCH_EN: 0
; COMPUTE_PGM_RSRC2:USER_SGPR: 6
; COMPUTE_PGM_RSRC2:TRAP_HANDLER: 0
; COMPUTE_PGM_RSRC2:TGID_X_EN: 1
; COMPUTE_PGM_RSRC2:TGID_Y_EN: 0
; COMPUTE_PGM_RSRC2:TGID_Z_EN: 0
; COMPUTE_PGM_RSRC2:TIDIG_COMP_CNT: 0
	.section	.text._ZN7rocprim6detail20lookback_scan_kernelILNS0_25lookback_scan_determinismE0ELb1ENS0_19wrapped_scan_configINS_14default_configEfEEN6hipcub22TransformInputIteratorIsNS6_6CastOpIsEEPslEEPfNS6_3MaxENS_12future_valueIfSC_EEfNS0_19lookback_scan_stateIfLb1ELb1EEEEEvT2_T3_mT5_T4_T7_jPT6_SO_bb,"axG",@progbits,_ZN7rocprim6detail20lookback_scan_kernelILNS0_25lookback_scan_determinismE0ELb1ENS0_19wrapped_scan_configINS_14default_configEfEEN6hipcub22TransformInputIteratorIsNS6_6CastOpIsEEPslEEPfNS6_3MaxENS_12future_valueIfSC_EEfNS0_19lookback_scan_stateIfLb1ELb1EEEEEvT2_T3_mT5_T4_T7_jPT6_SO_bb,comdat
	.protected	_ZN7rocprim6detail20lookback_scan_kernelILNS0_25lookback_scan_determinismE0ELb1ENS0_19wrapped_scan_configINS_14default_configEfEEN6hipcub22TransformInputIteratorIsNS6_6CastOpIsEEPslEEPfNS6_3MaxENS_12future_valueIfSC_EEfNS0_19lookback_scan_stateIfLb1ELb1EEEEEvT2_T3_mT5_T4_T7_jPT6_SO_bb ; -- Begin function _ZN7rocprim6detail20lookback_scan_kernelILNS0_25lookback_scan_determinismE0ELb1ENS0_19wrapped_scan_configINS_14default_configEfEEN6hipcub22TransformInputIteratorIsNS6_6CastOpIsEEPslEEPfNS6_3MaxENS_12future_valueIfSC_EEfNS0_19lookback_scan_stateIfLb1ELb1EEEEEvT2_T3_mT5_T4_T7_jPT6_SO_bb
	.globl	_ZN7rocprim6detail20lookback_scan_kernelILNS0_25lookback_scan_determinismE0ELb1ENS0_19wrapped_scan_configINS_14default_configEfEEN6hipcub22TransformInputIteratorIsNS6_6CastOpIsEEPslEEPfNS6_3MaxENS_12future_valueIfSC_EEfNS0_19lookback_scan_stateIfLb1ELb1EEEEEvT2_T3_mT5_T4_T7_jPT6_SO_bb
	.p2align	8
	.type	_ZN7rocprim6detail20lookback_scan_kernelILNS0_25lookback_scan_determinismE0ELb1ENS0_19wrapped_scan_configINS_14default_configEfEEN6hipcub22TransformInputIteratorIsNS6_6CastOpIsEEPslEEPfNS6_3MaxENS_12future_valueIfSC_EEfNS0_19lookback_scan_stateIfLb1ELb1EEEEEvT2_T3_mT5_T4_T7_jPT6_SO_bb,@function
_ZN7rocprim6detail20lookback_scan_kernelILNS0_25lookback_scan_determinismE0ELb1ENS0_19wrapped_scan_configINS_14default_configEfEEN6hipcub22TransformInputIteratorIsNS6_6CastOpIsEEPslEEPfNS6_3MaxENS_12future_valueIfSC_EEfNS0_19lookback_scan_stateIfLb1ELb1EEEEEvT2_T3_mT5_T4_T7_jPT6_SO_bb: ; @_ZN7rocprim6detail20lookback_scan_kernelILNS0_25lookback_scan_determinismE0ELb1ENS0_19wrapped_scan_configINS_14default_configEfEEN6hipcub22TransformInputIteratorIsNS6_6CastOpIsEEPslEEPfNS6_3MaxENS_12future_valueIfSC_EEfNS0_19lookback_scan_stateIfLb1ELb1EEEEEvT2_T3_mT5_T4_T7_jPT6_SO_bb
; %bb.0:
	s_endpgm
	.section	.rodata,"a",@progbits
	.p2align	6, 0x0
	.amdhsa_kernel _ZN7rocprim6detail20lookback_scan_kernelILNS0_25lookback_scan_determinismE0ELb1ENS0_19wrapped_scan_configINS_14default_configEfEEN6hipcub22TransformInputIteratorIsNS6_6CastOpIsEEPslEEPfNS6_3MaxENS_12future_valueIfSC_EEfNS0_19lookback_scan_stateIfLb1ELb1EEEEEvT2_T3_mT5_T4_T7_jPT6_SO_bb
		.amdhsa_group_segment_fixed_size 0
		.amdhsa_private_segment_fixed_size 0
		.amdhsa_kernarg_size 84
		.amdhsa_user_sgpr_count 6
		.amdhsa_user_sgpr_private_segment_buffer 1
		.amdhsa_user_sgpr_dispatch_ptr 0
		.amdhsa_user_sgpr_queue_ptr 0
		.amdhsa_user_sgpr_kernarg_segment_ptr 1
		.amdhsa_user_sgpr_dispatch_id 0
		.amdhsa_user_sgpr_flat_scratch_init 0
		.amdhsa_user_sgpr_private_segment_size 0
		.amdhsa_uses_dynamic_stack 0
		.amdhsa_system_sgpr_private_segment_wavefront_offset 0
		.amdhsa_system_sgpr_workgroup_id_x 1
		.amdhsa_system_sgpr_workgroup_id_y 0
		.amdhsa_system_sgpr_workgroup_id_z 0
		.amdhsa_system_sgpr_workgroup_info 0
		.amdhsa_system_vgpr_workitem_id 0
		.amdhsa_next_free_vgpr 1
		.amdhsa_next_free_sgpr 0
		.amdhsa_reserve_vcc 0
		.amdhsa_reserve_flat_scratch 0
		.amdhsa_float_round_mode_32 0
		.amdhsa_float_round_mode_16_64 0
		.amdhsa_float_denorm_mode_32 3
		.amdhsa_float_denorm_mode_16_64 3
		.amdhsa_dx10_clamp 1
		.amdhsa_ieee_mode 1
		.amdhsa_fp16_overflow 0
		.amdhsa_exception_fp_ieee_invalid_op 0
		.amdhsa_exception_fp_denorm_src 0
		.amdhsa_exception_fp_ieee_div_zero 0
		.amdhsa_exception_fp_ieee_overflow 0
		.amdhsa_exception_fp_ieee_underflow 0
		.amdhsa_exception_fp_ieee_inexact 0
		.amdhsa_exception_int_div_zero 0
	.end_amdhsa_kernel
	.section	.text._ZN7rocprim6detail20lookback_scan_kernelILNS0_25lookback_scan_determinismE0ELb1ENS0_19wrapped_scan_configINS_14default_configEfEEN6hipcub22TransformInputIteratorIsNS6_6CastOpIsEEPslEEPfNS6_3MaxENS_12future_valueIfSC_EEfNS0_19lookback_scan_stateIfLb1ELb1EEEEEvT2_T3_mT5_T4_T7_jPT6_SO_bb,"axG",@progbits,_ZN7rocprim6detail20lookback_scan_kernelILNS0_25lookback_scan_determinismE0ELb1ENS0_19wrapped_scan_configINS_14default_configEfEEN6hipcub22TransformInputIteratorIsNS6_6CastOpIsEEPslEEPfNS6_3MaxENS_12future_valueIfSC_EEfNS0_19lookback_scan_stateIfLb1ELb1EEEEEvT2_T3_mT5_T4_T7_jPT6_SO_bb,comdat
.Lfunc_end149:
	.size	_ZN7rocprim6detail20lookback_scan_kernelILNS0_25lookback_scan_determinismE0ELb1ENS0_19wrapped_scan_configINS_14default_configEfEEN6hipcub22TransformInputIteratorIsNS6_6CastOpIsEEPslEEPfNS6_3MaxENS_12future_valueIfSC_EEfNS0_19lookback_scan_stateIfLb1ELb1EEEEEvT2_T3_mT5_T4_T7_jPT6_SO_bb, .Lfunc_end149-_ZN7rocprim6detail20lookback_scan_kernelILNS0_25lookback_scan_determinismE0ELb1ENS0_19wrapped_scan_configINS_14default_configEfEEN6hipcub22TransformInputIteratorIsNS6_6CastOpIsEEPslEEPfNS6_3MaxENS_12future_valueIfSC_EEfNS0_19lookback_scan_stateIfLb1ELb1EEEEEvT2_T3_mT5_T4_T7_jPT6_SO_bb
                                        ; -- End function
	.set _ZN7rocprim6detail20lookback_scan_kernelILNS0_25lookback_scan_determinismE0ELb1ENS0_19wrapped_scan_configINS_14default_configEfEEN6hipcub22TransformInputIteratorIsNS6_6CastOpIsEEPslEEPfNS6_3MaxENS_12future_valueIfSC_EEfNS0_19lookback_scan_stateIfLb1ELb1EEEEEvT2_T3_mT5_T4_T7_jPT6_SO_bb.num_vgpr, 0
	.set _ZN7rocprim6detail20lookback_scan_kernelILNS0_25lookback_scan_determinismE0ELb1ENS0_19wrapped_scan_configINS_14default_configEfEEN6hipcub22TransformInputIteratorIsNS6_6CastOpIsEEPslEEPfNS6_3MaxENS_12future_valueIfSC_EEfNS0_19lookback_scan_stateIfLb1ELb1EEEEEvT2_T3_mT5_T4_T7_jPT6_SO_bb.num_agpr, 0
	.set _ZN7rocprim6detail20lookback_scan_kernelILNS0_25lookback_scan_determinismE0ELb1ENS0_19wrapped_scan_configINS_14default_configEfEEN6hipcub22TransformInputIteratorIsNS6_6CastOpIsEEPslEEPfNS6_3MaxENS_12future_valueIfSC_EEfNS0_19lookback_scan_stateIfLb1ELb1EEEEEvT2_T3_mT5_T4_T7_jPT6_SO_bb.numbered_sgpr, 0
	.set _ZN7rocprim6detail20lookback_scan_kernelILNS0_25lookback_scan_determinismE0ELb1ENS0_19wrapped_scan_configINS_14default_configEfEEN6hipcub22TransformInputIteratorIsNS6_6CastOpIsEEPslEEPfNS6_3MaxENS_12future_valueIfSC_EEfNS0_19lookback_scan_stateIfLb1ELb1EEEEEvT2_T3_mT5_T4_T7_jPT6_SO_bb.num_named_barrier, 0
	.set _ZN7rocprim6detail20lookback_scan_kernelILNS0_25lookback_scan_determinismE0ELb1ENS0_19wrapped_scan_configINS_14default_configEfEEN6hipcub22TransformInputIteratorIsNS6_6CastOpIsEEPslEEPfNS6_3MaxENS_12future_valueIfSC_EEfNS0_19lookback_scan_stateIfLb1ELb1EEEEEvT2_T3_mT5_T4_T7_jPT6_SO_bb.private_seg_size, 0
	.set _ZN7rocprim6detail20lookback_scan_kernelILNS0_25lookback_scan_determinismE0ELb1ENS0_19wrapped_scan_configINS_14default_configEfEEN6hipcub22TransformInputIteratorIsNS6_6CastOpIsEEPslEEPfNS6_3MaxENS_12future_valueIfSC_EEfNS0_19lookback_scan_stateIfLb1ELb1EEEEEvT2_T3_mT5_T4_T7_jPT6_SO_bb.uses_vcc, 0
	.set _ZN7rocprim6detail20lookback_scan_kernelILNS0_25lookback_scan_determinismE0ELb1ENS0_19wrapped_scan_configINS_14default_configEfEEN6hipcub22TransformInputIteratorIsNS6_6CastOpIsEEPslEEPfNS6_3MaxENS_12future_valueIfSC_EEfNS0_19lookback_scan_stateIfLb1ELb1EEEEEvT2_T3_mT5_T4_T7_jPT6_SO_bb.uses_flat_scratch, 0
	.set _ZN7rocprim6detail20lookback_scan_kernelILNS0_25lookback_scan_determinismE0ELb1ENS0_19wrapped_scan_configINS_14default_configEfEEN6hipcub22TransformInputIteratorIsNS6_6CastOpIsEEPslEEPfNS6_3MaxENS_12future_valueIfSC_EEfNS0_19lookback_scan_stateIfLb1ELb1EEEEEvT2_T3_mT5_T4_T7_jPT6_SO_bb.has_dyn_sized_stack, 0
	.set _ZN7rocprim6detail20lookback_scan_kernelILNS0_25lookback_scan_determinismE0ELb1ENS0_19wrapped_scan_configINS_14default_configEfEEN6hipcub22TransformInputIteratorIsNS6_6CastOpIsEEPslEEPfNS6_3MaxENS_12future_valueIfSC_EEfNS0_19lookback_scan_stateIfLb1ELb1EEEEEvT2_T3_mT5_T4_T7_jPT6_SO_bb.has_recursion, 0
	.set _ZN7rocprim6detail20lookback_scan_kernelILNS0_25lookback_scan_determinismE0ELb1ENS0_19wrapped_scan_configINS_14default_configEfEEN6hipcub22TransformInputIteratorIsNS6_6CastOpIsEEPslEEPfNS6_3MaxENS_12future_valueIfSC_EEfNS0_19lookback_scan_stateIfLb1ELb1EEEEEvT2_T3_mT5_T4_T7_jPT6_SO_bb.has_indirect_call, 0
	.section	.AMDGPU.csdata,"",@progbits
; Kernel info:
; codeLenInByte = 4
; TotalNumSgprs: 4
; NumVgprs: 0
; ScratchSize: 0
; MemoryBound: 0
; FloatMode: 240
; IeeeMode: 1
; LDSByteSize: 0 bytes/workgroup (compile time only)
; SGPRBlocks: 0
; VGPRBlocks: 0
; NumSGPRsForWavesPerEU: 4
; NumVGPRsForWavesPerEU: 1
; Occupancy: 10
; WaveLimiterHint : 0
; COMPUTE_PGM_RSRC2:SCRATCH_EN: 0
; COMPUTE_PGM_RSRC2:USER_SGPR: 6
; COMPUTE_PGM_RSRC2:TRAP_HANDLER: 0
; COMPUTE_PGM_RSRC2:TGID_X_EN: 1
; COMPUTE_PGM_RSRC2:TGID_Y_EN: 0
; COMPUTE_PGM_RSRC2:TGID_Z_EN: 0
; COMPUTE_PGM_RSRC2:TIDIG_COMP_CNT: 0
	.section	.text._ZN7rocprim6detail20lookback_scan_kernelILNS0_25lookback_scan_determinismE0ELb1ENS0_19wrapped_scan_configINS_14default_configEfEEN6hipcub22TransformInputIteratorIsNS6_6CastOpIsEEPslEEPfNS6_3MaxENS_12future_valueIfSC_EEfNS0_19lookback_scan_stateIfLb0ELb1EEEEEvT2_T3_mT5_T4_T7_jPT6_SO_bb,"axG",@progbits,_ZN7rocprim6detail20lookback_scan_kernelILNS0_25lookback_scan_determinismE0ELb1ENS0_19wrapped_scan_configINS_14default_configEfEEN6hipcub22TransformInputIteratorIsNS6_6CastOpIsEEPslEEPfNS6_3MaxENS_12future_valueIfSC_EEfNS0_19lookback_scan_stateIfLb0ELb1EEEEEvT2_T3_mT5_T4_T7_jPT6_SO_bb,comdat
	.protected	_ZN7rocprim6detail20lookback_scan_kernelILNS0_25lookback_scan_determinismE0ELb1ENS0_19wrapped_scan_configINS_14default_configEfEEN6hipcub22TransformInputIteratorIsNS6_6CastOpIsEEPslEEPfNS6_3MaxENS_12future_valueIfSC_EEfNS0_19lookback_scan_stateIfLb0ELb1EEEEEvT2_T3_mT5_T4_T7_jPT6_SO_bb ; -- Begin function _ZN7rocprim6detail20lookback_scan_kernelILNS0_25lookback_scan_determinismE0ELb1ENS0_19wrapped_scan_configINS_14default_configEfEEN6hipcub22TransformInputIteratorIsNS6_6CastOpIsEEPslEEPfNS6_3MaxENS_12future_valueIfSC_EEfNS0_19lookback_scan_stateIfLb0ELb1EEEEEvT2_T3_mT5_T4_T7_jPT6_SO_bb
	.globl	_ZN7rocprim6detail20lookback_scan_kernelILNS0_25lookback_scan_determinismE0ELb1ENS0_19wrapped_scan_configINS_14default_configEfEEN6hipcub22TransformInputIteratorIsNS6_6CastOpIsEEPslEEPfNS6_3MaxENS_12future_valueIfSC_EEfNS0_19lookback_scan_stateIfLb0ELb1EEEEEvT2_T3_mT5_T4_T7_jPT6_SO_bb
	.p2align	8
	.type	_ZN7rocprim6detail20lookback_scan_kernelILNS0_25lookback_scan_determinismE0ELb1ENS0_19wrapped_scan_configINS_14default_configEfEEN6hipcub22TransformInputIteratorIsNS6_6CastOpIsEEPslEEPfNS6_3MaxENS_12future_valueIfSC_EEfNS0_19lookback_scan_stateIfLb0ELb1EEEEEvT2_T3_mT5_T4_T7_jPT6_SO_bb,@function
_ZN7rocprim6detail20lookback_scan_kernelILNS0_25lookback_scan_determinismE0ELb1ENS0_19wrapped_scan_configINS_14default_configEfEEN6hipcub22TransformInputIteratorIsNS6_6CastOpIsEEPslEEPfNS6_3MaxENS_12future_valueIfSC_EEfNS0_19lookback_scan_stateIfLb0ELb1EEEEEvT2_T3_mT5_T4_T7_jPT6_SO_bb: ; @_ZN7rocprim6detail20lookback_scan_kernelILNS0_25lookback_scan_determinismE0ELb1ENS0_19wrapped_scan_configINS_14default_configEfEEN6hipcub22TransformInputIteratorIsNS6_6CastOpIsEEPslEEPfNS6_3MaxENS_12future_valueIfSC_EEfNS0_19lookback_scan_stateIfLb0ELb1EEEEEvT2_T3_mT5_T4_T7_jPT6_SO_bb
; %bb.0:
	s_load_dwordx2 s[0:1], s[4:5], 0x20
	s_load_dword s2, s[4:5], 0x38
	s_load_dwordx2 s[14:15], s[4:5], 0x0
	s_load_dwordx4 s[8:11], s[4:5], 0x10
	s_mul_i32 s12, s6, 0xf00
	s_waitcnt lgkmcnt(0)
	s_load_dword s24, s[0:1], 0x0
	s_add_i32 s0, s2, -1
	s_mul_i32 s1, s0, 0xf00
	s_sub_u32 s22, s10, s1
	s_subb_u32 s23, s11, 0
	s_mov_b32 s13, 0
	s_cmp_lg_u32 s6, s0
	s_cselect_b64 s[10:11], -1, 0
	s_lshl_b64 s[0:1], s[12:13], 1
	s_add_u32 s2, s14, s0
	s_addc_u32 s3, s15, s1
	s_mov_b64 s[0:1], -1
	s_and_b64 vcc, exec, s[10:11]
	v_lshlrev_b32_e32 v18, 1, v0
	v_lshlrev_b32_e32 v31, 2, v0
	s_cbranch_vccz .LBB150_2
; %bb.1:
	v_mov_b32_e32 v1, s3
	v_add_co_u32_e32 v2, vcc, s2, v18
	v_addc_co_u32_e32 v3, vcc, 0, v1, vcc
	s_movk_i32 s0, 0x1000
	v_add_co_u32_e32 v1, vcc, s0, v2
	global_load_sshort v4, v18, s[2:3]
	global_load_sshort v5, v18, s[2:3] offset:512
	global_load_sshort v6, v18, s[2:3] offset:1024
	;; [unrolled: 1-line block ×7, first 2 shown]
	v_addc_co_u32_e32 v2, vcc, 0, v3, vcc
	global_load_sshort v3, v[1:2], off
	global_load_sshort v12, v[1:2], off offset:512
	global_load_sshort v13, v[1:2], off offset:1024
	;; [unrolled: 1-line block ×6, first 2 shown]
	s_mov_b64 s[0:1], 0
	s_waitcnt vmcnt(14)
	v_cvt_f32_i32_e32 v1, v4
	s_waitcnt vmcnt(13)
	v_cvt_f32_i32_e32 v2, v5
	;; [unrolled: 2-line block ×15, first 2 shown]
	ds_write2st64_b32 v31, v1, v2 offset1:4
	ds_write2st64_b32 v31, v4, v5 offset0:8 offset1:12
	ds_write2st64_b32 v31, v6, v7 offset0:16 offset1:20
	;; [unrolled: 1-line block ×6, first 2 shown]
	ds_write_b32 v31, v15 offset:14336
	s_waitcnt lgkmcnt(0)
	s_barrier
.LBB150_2:
	s_andn2_b64 vcc, exec, s[0:1]
	v_cmp_gt_u32_e64 s[0:1], s22, v0
	s_cbranch_vccnz .LBB150_34
; %bb.3:
	v_mov_b32_e32 v1, 0
	global_load_sshort v1, v1, s[2:3]
	v_mov_b32_e32 v19, s3
	v_add_co_u32_e32 v18, vcc, s2, v18
	v_addc_co_u32_e32 v19, vcc, 0, v19, vcc
	s_waitcnt vmcnt(0)
	v_cvt_f32_i32_e32 v1, v1
	v_mov_b32_e32 v2, v1
	v_mov_b32_e32 v3, v1
	;; [unrolled: 1-line block ×29, first 2 shown]
	s_and_saveexec_b64 s[2:3], s[0:1]
	s_cbranch_execz .LBB150_5
; %bb.4:
	global_load_sshort v12, v[18:19], off
	v_mov_b32_e32 v2, v1
	v_mov_b32_e32 v3, v1
	;; [unrolled: 1-line block ×12, first 2 shown]
	s_waitcnt vmcnt(0)
	v_cvt_f32_i32_e32 v20, v12
	v_mov_b32_e32 v12, v1
	v_mov_b32_e32 v17, v15
	;; [unrolled: 1-line block ×18, first 2 shown]
.LBB150_5:
	s_or_b64 exec, exec, s[2:3]
	v_or_b32_e32 v2, 0x100, v0
	v_cmp_gt_u32_e32 vcc, s22, v2
	s_and_saveexec_b64 s[0:1], vcc
	s_cbranch_execz .LBB150_7
; %bb.6:
	global_load_sshort v2, v[18:19], off offset:512
	s_waitcnt vmcnt(0)
	v_cvt_f32_i32_e32 v3, v2
.LBB150_7:
	s_or_b64 exec, exec, s[0:1]
	v_or_b32_e32 v2, 0x200, v0
	v_cmp_gt_u32_e32 vcc, s22, v2
	s_and_saveexec_b64 s[0:1], vcc
	s_cbranch_execz .LBB150_9
; %bb.8:
	global_load_sshort v2, v[18:19], off offset:1024
	s_waitcnt vmcnt(0)
	v_cvt_f32_i32_e32 v4, v2
.LBB150_9:
	;; [unrolled: 10-line block ×7, first 2 shown]
	s_or_b64 exec, exec, s[0:1]
	v_or_b32_e32 v2, 0x800, v0
	v_cmp_gt_u32_e32 vcc, s22, v2
	s_and_saveexec_b64 s[0:1], vcc
	s_cbranch_execz .LBB150_21
; %bb.20:
	v_add_co_u32_e32 v20, vcc, 0x1000, v18
	v_addc_co_u32_e32 v21, vcc, 0, v19, vcc
	global_load_sshort v2, v[20:21], off
	s_waitcnt vmcnt(0)
	v_cvt_f32_i32_e32 v10, v2
.LBB150_21:
	s_or_b64 exec, exec, s[0:1]
	v_or_b32_e32 v2, 0x900, v0
	v_cmp_gt_u32_e32 vcc, s22, v2
	s_and_saveexec_b64 s[0:1], vcc
	s_cbranch_execz .LBB150_23
; %bb.22:
	v_add_co_u32_e32 v20, vcc, 0x1000, v18
	v_addc_co_u32_e32 v21, vcc, 0, v19, vcc
	global_load_sshort v2, v[20:21], off offset:512
	s_waitcnt vmcnt(0)
	v_cvt_f32_i32_e32 v11, v2
.LBB150_23:
	s_or_b64 exec, exec, s[0:1]
	v_or_b32_e32 v2, 0xa00, v0
	v_cmp_gt_u32_e32 vcc, s22, v2
	s_and_saveexec_b64 s[0:1], vcc
	s_cbranch_execz .LBB150_25
; %bb.24:
	v_add_co_u32_e32 v20, vcc, 0x1000, v18
	v_addc_co_u32_e32 v21, vcc, 0, v19, vcc
	global_load_sshort v2, v[20:21], off offset:1024
	s_waitcnt vmcnt(0)
	v_cvt_f32_i32_e32 v12, v2
.LBB150_25:
	;; [unrolled: 12-line block ×6, first 2 shown]
	s_or_b64 exec, exec, s[0:1]
	ds_write2st64_b32 v31, v1, v3 offset1:4
	ds_write2st64_b32 v31, v4, v5 offset0:8 offset1:12
	ds_write2st64_b32 v31, v6, v7 offset0:16 offset1:20
	;; [unrolled: 1-line block ×6, first 2 shown]
	ds_write_b32 v31, v16 offset:14336
	s_waitcnt lgkmcnt(0)
	s_barrier
.LBB150_34:
	s_load_dwordx2 s[16:17], s[4:5], 0x30
	v_mul_u32_u24_e32 v32, 60, v0
	s_waitcnt lgkmcnt(0)
	ds_read2_b32 v[29:30], v32 offset1:1
	ds_read2_b32 v[27:28], v32 offset0:2 offset1:3
	ds_read2_b32 v[25:26], v32 offset0:4 offset1:5
	;; [unrolled: 1-line block ×6, first 2 shown]
	ds_read_b32 v35, v32 offset:56
	s_cmp_lg_u32 s6, 0
	s_waitcnt lgkmcnt(7)
	v_cmp_lt_f32_e32 vcc, v29, v30
	v_mbcnt_lo_u32_b32 v36, -1, 0
	v_lshrrev_b32_e32 v33, 6, v0
	v_or_b32_e32 v34, 63, v0
	s_waitcnt lgkmcnt(0)
	s_barrier
	s_cbranch_scc0 .LBB150_56
; %bb.35:
	v_cndmask_b32_e32 v1, v29, v30, vcc
	v_cmp_lt_f32_e32 vcc, v1, v27
	v_cndmask_b32_e32 v1, v1, v27, vcc
	v_cmp_lt_f32_e32 vcc, v1, v28
	;; [unrolled: 2-line block ×13, first 2 shown]
	v_cndmask_b32_e32 v1, v1, v35, vcc
	v_mbcnt_hi_u32_b32 v3, -1, v36
	v_and_b32_e32 v2, 15, v3
	v_mov_b32_dpp v4, v1 row_shr:1 row_mask:0xf bank_mask:0xf
	v_cmp_eq_u32_e32 vcc, 0, v2
	v_cmp_gt_f32_e64 s[0:1], v1, v4
	s_or_b64 vcc, vcc, s[0:1]
	v_cndmask_b32_e32 v1, v4, v1, vcc
	s_nop 1
	v_mov_b32_dpp v4, v1 row_shr:2 row_mask:0xf bank_mask:0xf
	v_cmp_gt_f32_e32 vcc, v1, v4
	v_cndmask_b32_e32 v4, v4, v1, vcc
	v_cmp_lt_u32_e32 vcc, 1, v2
	v_cndmask_b32_e32 v1, v1, v4, vcc
	s_nop 1
	v_mov_b32_dpp v4, v1 row_shr:4 row_mask:0xf bank_mask:0xf
	v_cmp_gt_f32_e32 vcc, v1, v4
	v_cndmask_b32_e32 v4, v4, v1, vcc
	v_cmp_lt_u32_e32 vcc, 3, v2
	;; [unrolled: 6-line block ×3, first 2 shown]
	v_cndmask_b32_e32 v1, v1, v4, vcc
	v_and_b32_e32 v4, 16, v3
	v_cmp_eq_u32_e32 vcc, 0, v4
	v_mov_b32_dpp v2, v1 row_bcast:15 row_mask:0xf bank_mask:0xf
	v_cmp_gt_f32_e64 s[0:1], v1, v2
	s_or_b64 vcc, vcc, s[0:1]
	v_cndmask_b32_e32 v1, v2, v1, vcc
	s_nop 1
	v_mov_b32_dpp v2, v1 row_bcast:31 row_mask:0xf bank_mask:0xf
	v_cmp_gt_f32_e32 vcc, v1, v2
	v_cndmask_b32_e32 v2, v2, v1, vcc
	v_cmp_lt_u32_e32 vcc, 31, v3
	v_cndmask_b32_e32 v1, v1, v2, vcc
	v_cmp_eq_u32_e32 vcc, v0, v34
	s_and_saveexec_b64 s[0:1], vcc
; %bb.36:
	v_lshlrev_b32_e32 v2, 2, v33
	ds_write_b32 v2, v1
; %bb.37:
	s_or_b64 exec, exec, s[0:1]
	v_cmp_gt_u32_e32 vcc, 4, v0
	s_waitcnt lgkmcnt(0)
	s_barrier
	s_and_saveexec_b64 s[2:3], vcc
	s_cbranch_execz .LBB150_39
; %bb.38:
	ds_read_b32 v2, v31
	v_and_b32_e32 v4, 3, v3
	v_cmp_eq_u32_e32 vcc, 0, v4
	s_waitcnt lgkmcnt(0)
	v_mov_b32_dpp v5, v2 row_shr:1 row_mask:0xf bank_mask:0xf
	v_cmp_gt_f32_e64 s[0:1], v2, v5
	s_or_b64 vcc, vcc, s[0:1]
	v_cndmask_b32_e32 v2, v5, v2, vcc
	s_nop 1
	v_mov_b32_dpp v5, v2 row_shr:2 row_mask:0xf bank_mask:0xf
	v_cmp_gt_f32_e32 vcc, v2, v5
	v_cndmask_b32_e32 v5, v5, v2, vcc
	v_cmp_lt_u32_e32 vcc, 1, v4
	v_cndmask_b32_e32 v2, v2, v5, vcc
	ds_write_b32 v31, v2
.LBB150_39:
	s_or_b64 exec, exec, s[2:3]
	v_cmp_gt_u32_e32 vcc, 64, v0
	v_cmp_lt_u32_e64 s[0:1], 63, v0
	s_waitcnt lgkmcnt(0)
	s_barrier
                                        ; implicit-def: $vgpr10
	s_and_saveexec_b64 s[2:3], s[0:1]
	s_cbranch_execz .LBB150_41
; %bb.40:
	v_lshl_add_u32 v2, v33, 2, -4
	ds_read_b32 v10, v2
	s_waitcnt lgkmcnt(0)
	v_cmp_lt_f32_e64 s[0:1], v10, v1
	v_cndmask_b32_e64 v1, v10, v1, s[0:1]
.LBB150_41:
	s_or_b64 exec, exec, s[2:3]
	v_subrev_co_u32_e64 v2, s[0:1], 1, v3
	v_and_b32_e32 v4, 64, v3
	v_cmp_lt_i32_e64 s[2:3], v2, v4
	v_cndmask_b32_e64 v2, v2, v3, s[2:3]
	v_lshlrev_b32_e32 v2, 2, v2
	ds_bpermute_b32 v11, v2, v1
	s_and_saveexec_b64 s[18:19], vcc
	s_cbranch_execz .LBB150_61
; %bb.42:
	v_mov_b32_e32 v6, 0
	ds_read_b32 v1, v6 offset:12
	s_and_saveexec_b64 s[2:3], s[0:1]
	s_cbranch_execz .LBB150_44
; %bb.43:
	s_add_i32 s20, s6, 64
	s_mov_b32 s21, 0
	s_lshl_b64 s[20:21], s[20:21], 3
	s_add_u32 s20, s16, s20
	v_mov_b32_e32 v2, 1
	s_addc_u32 s21, s17, s21
	s_waitcnt lgkmcnt(0)
	global_store_dwordx2 v6, v[1:2], s[20:21]
.LBB150_44:
	s_or_b64 exec, exec, s[2:3]
	v_xad_u32 v2, v3, -1, s6
	v_add_u32_e32 v5, 64, v2
	v_lshlrev_b64 v[4:5], 3, v[5:6]
	v_mov_b32_e32 v8, s17
	v_add_co_u32_e32 v7, vcc, s16, v4
	v_addc_co_u32_e32 v8, vcc, v8, v5, vcc
	global_load_dwordx2 v[4:5], v[7:8], off glc
	s_waitcnt vmcnt(0)
	v_cmp_eq_u16_sdwa s[20:21], v5, v6 src0_sel:BYTE_0 src1_sel:DWORD
	s_and_saveexec_b64 s[2:3], s[20:21]
	s_cbranch_execz .LBB150_48
; %bb.45:
	s_mov_b64 s[20:21], 0
	v_mov_b32_e32 v6, 0
.LBB150_46:                             ; =>This Inner Loop Header: Depth=1
	global_load_dwordx2 v[4:5], v[7:8], off glc
	s_waitcnt vmcnt(0)
	v_cmp_ne_u16_sdwa s[26:27], v5, v6 src0_sel:BYTE_0 src1_sel:DWORD
	s_or_b64 s[20:21], s[26:27], s[20:21]
	s_andn2_b64 exec, exec, s[20:21]
	s_cbranch_execnz .LBB150_46
; %bb.47:
	s_or_b64 exec, exec, s[20:21]
.LBB150_48:
	s_or_b64 exec, exec, s[2:3]
	v_and_b32_e32 v39, 63, v3
	v_cmp_ne_u32_e32 vcc, 63, v39
	v_addc_co_u32_e32 v13, vcc, 0, v3, vcc
	v_mov_b32_e32 v12, 2
	v_lshlrev_b64 v[6:7], v3, -1
	v_lshlrev_b32_e32 v13, 2, v13
	v_cmp_eq_u16_sdwa s[2:3], v5, v12 src0_sel:BYTE_0 src1_sel:DWORD
	ds_bpermute_b32 v15, v13, v4
	v_and_b32_e32 v8, s3, v7
	v_or_b32_e32 v8, 0x80000000, v8
	v_and_b32_e32 v9, s2, v6
	v_ffbl_b32_e32 v8, v8
	v_add_u32_e32 v8, 32, v8
	v_ffbl_b32_e32 v9, v9
	v_min_u32_e32 v8, v9, v8
	v_add_u32_e32 v14, 1, v3
	s_waitcnt lgkmcnt(0)
	v_cmp_gt_f32_e32 vcc, v4, v15
	v_cndmask_b32_e32 v9, v15, v4, vcc
	v_cmp_gt_u32_e32 vcc, v14, v8
	v_cndmask_b32_e32 v4, v9, v4, vcc
	v_cmp_gt_u32_e32 vcc, 62, v39
	v_cndmask_b32_e64 v9, 0, 2, vcc
	v_add_lshl_u32 v15, v9, v3, 2
	ds_bpermute_b32 v9, v15, v4
	v_add_u32_e32 v16, 2, v3
	v_add_u32_e32 v38, 4, v3
	;; [unrolled: 1-line block ×4, first 2 shown]
	s_waitcnt lgkmcnt(0)
	v_cmp_gt_f32_e32 vcc, v4, v9
	v_cndmask_b32_e32 v9, v9, v4, vcc
	v_cmp_gt_u32_e32 vcc, v16, v8
	v_cndmask_b32_e32 v4, v9, v4, vcc
	v_cmp_gt_u32_e32 vcc, 60, v39
	v_cndmask_b32_e64 v9, 0, 4, vcc
	v_add_lshl_u32 v37, v9, v3, 2
	ds_bpermute_b32 v9, v37, v4
	v_add_u32_e32 v45, 32, v3
	s_waitcnt lgkmcnt(0)
	v_cmp_gt_f32_e32 vcc, v4, v9
	v_cndmask_b32_e32 v9, v9, v4, vcc
	v_cmp_gt_u32_e32 vcc, v38, v8
	v_cndmask_b32_e32 v4, v9, v4, vcc
	v_cmp_gt_u32_e32 vcc, 56, v39
	v_cndmask_b32_e64 v9, 0, 8, vcc
	v_add_lshl_u32 v40, v9, v3, 2
	ds_bpermute_b32 v9, v40, v4
	s_waitcnt lgkmcnt(0)
	v_cmp_gt_f32_e32 vcc, v4, v9
	v_cndmask_b32_e32 v9, v9, v4, vcc
	v_cmp_gt_u32_e32 vcc, v41, v8
	v_cndmask_b32_e32 v4, v9, v4, vcc
	v_cmp_gt_u32_e32 vcc, 48, v39
	v_cndmask_b32_e64 v9, 0, 16, vcc
	v_add_lshl_u32 v42, v9, v3, 2
	ds_bpermute_b32 v9, v42, v4
	s_waitcnt lgkmcnt(0)
	v_cmp_gt_f32_e32 vcc, v4, v9
	v_cndmask_b32_e32 v9, v9, v4, vcc
	v_cmp_gt_u32_e32 vcc, v43, v8
	v_cndmask_b32_e32 v4, v9, v4, vcc
	v_mov_b32_e32 v9, 0x80
	v_lshl_or_b32 v44, v3, 2, v9
	ds_bpermute_b32 v9, v44, v4
	v_cmp_gt_u32_e32 vcc, v45, v8
	v_mov_b32_e32 v3, 0
	s_waitcnt lgkmcnt(0)
	v_cmp_gt_f32_e64 s[2:3], v4, v9
	s_or_b64 vcc, vcc, s[2:3]
	v_cndmask_b32_e32 v4, v9, v4, vcc
	s_branch .LBB150_52
.LBB150_49:                             ;   in Loop: Header=BB150_52 Depth=1
	s_or_b64 exec, exec, s[20:21]
.LBB150_50:                             ;   in Loop: Header=BB150_52 Depth=1
	s_or_b64 exec, exec, s[2:3]
	v_cmp_eq_u16_sdwa s[2:3], v5, v12 src0_sel:BYTE_0 src1_sel:DWORD
	ds_bpermute_b32 v46, v13, v4
	v_and_b32_e32 v8, s3, v7
	v_or_b32_e32 v8, 0x80000000, v8
	v_and_b32_e32 v9, s2, v6
	v_ffbl_b32_e32 v8, v8
	v_add_u32_e32 v8, 32, v8
	v_ffbl_b32_e32 v9, v9
	v_min_u32_e32 v8, v9, v8
	s_waitcnt lgkmcnt(0)
	v_cmp_gt_f32_e32 vcc, v4, v46
	v_cndmask_b32_e32 v9, v46, v4, vcc
	v_cmp_gt_u32_e32 vcc, v14, v8
	v_cndmask_b32_e32 v4, v9, v4, vcc
	ds_bpermute_b32 v9, v15, v4
	v_subrev_u32_e32 v2, 64, v2
	s_waitcnt lgkmcnt(0)
	v_cmp_gt_f32_e32 vcc, v4, v9
	v_cndmask_b32_e32 v9, v9, v4, vcc
	v_cmp_gt_u32_e32 vcc, v16, v8
	v_cndmask_b32_e32 v4, v9, v4, vcc
	ds_bpermute_b32 v9, v37, v4
	s_waitcnt lgkmcnt(0)
	v_cmp_gt_f32_e32 vcc, v4, v9
	v_cndmask_b32_e32 v9, v9, v4, vcc
	v_cmp_gt_u32_e32 vcc, v38, v8
	v_cndmask_b32_e32 v4, v9, v4, vcc
	ds_bpermute_b32 v9, v40, v4
	;; [unrolled: 6-line block ×4, first 2 shown]
	v_cmp_gt_u32_e32 vcc, v45, v8
	s_waitcnt lgkmcnt(0)
	v_cmp_gt_f32_e64 s[2:3], v4, v9
	s_or_b64 vcc, vcc, s[2:3]
	v_cndmask_b32_e32 v4, v9, v4, vcc
	v_cmp_lt_f32_e32 vcc, v4, v39
	v_cndmask_b32_e32 v4, v4, v39, vcc
	s_mov_b64 s[2:3], 0
.LBB150_51:                             ;   in Loop: Header=BB150_52 Depth=1
	s_and_b64 vcc, exec, s[2:3]
	s_cbranch_vccnz .LBB150_57
.LBB150_52:                             ; =>This Loop Header: Depth=1
                                        ;     Child Loop BB150_55 Depth 2
	v_cmp_ne_u16_sdwa s[2:3], v5, v12 src0_sel:BYTE_0 src1_sel:DWORD
	v_mov_b32_e32 v39, v4
	s_cmp_lg_u64 s[2:3], exec
	s_mov_b64 s[2:3], -1
                                        ; implicit-def: $vgpr4
                                        ; implicit-def: $vgpr5
	s_cbranch_scc1 .LBB150_51
; %bb.53:                               ;   in Loop: Header=BB150_52 Depth=1
	v_lshlrev_b64 v[4:5], 3, v[2:3]
	v_mov_b32_e32 v9, s17
	v_add_co_u32_e32 v8, vcc, s16, v4
	v_addc_co_u32_e32 v9, vcc, v9, v5, vcc
	global_load_dwordx2 v[4:5], v[8:9], off glc
	s_waitcnt vmcnt(0)
	v_cmp_eq_u16_sdwa s[20:21], v5, v3 src0_sel:BYTE_0 src1_sel:DWORD
	s_and_saveexec_b64 s[2:3], s[20:21]
	s_cbranch_execz .LBB150_50
; %bb.54:                               ;   in Loop: Header=BB150_52 Depth=1
	s_mov_b64 s[20:21], 0
.LBB150_55:                             ;   Parent Loop BB150_52 Depth=1
                                        ; =>  This Inner Loop Header: Depth=2
	global_load_dwordx2 v[4:5], v[8:9], off glc
	s_waitcnt vmcnt(0)
	v_cmp_ne_u16_sdwa s[26:27], v5, v3 src0_sel:BYTE_0 src1_sel:DWORD
	s_or_b64 s[20:21], s[26:27], s[20:21]
	s_andn2_b64 exec, exec, s[20:21]
	s_cbranch_execnz .LBB150_55
	s_branch .LBB150_49
.LBB150_56:
                                        ; implicit-def: $vgpr1_vgpr2_vgpr3_vgpr4_vgpr5_vgpr6_vgpr7_vgpr8_vgpr9_vgpr10_vgpr11_vgpr12_vgpr13_vgpr14_vgpr15_vgpr16
	s_load_dwordx4 s[0:3], s[4:5], 0x40
	s_cbranch_execnz .LBB150_62
	s_branch .LBB150_73
.LBB150_57:
	s_and_saveexec_b64 s[2:3], s[0:1]
	s_cbranch_execz .LBB150_59
; %bb.58:
	s_add_i32 s6, s6, 64
	s_mov_b32 s7, 0
	s_lshl_b64 s[6:7], s[6:7], 3
	v_cmp_lt_f32_e32 vcc, v39, v1
	s_add_u32 s6, s16, s6
	v_cndmask_b32_e32 v1, v39, v1, vcc
	v_mov_b32_e32 v2, 2
	s_addc_u32 s7, s17, s7
	v_mov_b32_e32 v3, 0
	global_store_dwordx2 v3, v[1:2], s[6:7]
.LBB150_59:
	s_or_b64 exec, exec, s[2:3]
	v_cmp_eq_u32_e32 vcc, 0, v0
	s_and_b64 exec, exec, vcc
; %bb.60:
	v_mov_b32_e32 v1, 0
	ds_write_b32 v1, v39 offset:12
.LBB150_61:
	s_or_b64 exec, exec, s[18:19]
	v_mov_b32_e32 v1, 0
	s_waitcnt vmcnt(0) lgkmcnt(0)
	s_barrier
	ds_read_b32 v1, v1 offset:12
	v_cndmask_b32_e64 v2, v11, v10, s[0:1]
	s_waitcnt lgkmcnt(0)
	v_cmp_lt_f32_e32 vcc, v1, v2
	v_cndmask_b32_e32 v2, v1, v2, vcc
	v_cmp_eq_u32_e32 vcc, 0, v0
	v_cndmask_b32_e32 v1, v2, v1, vcc
	v_cmp_lt_f32_e32 vcc, v1, v29
	v_cndmask_b32_e32 v2, v1, v29, vcc
	v_cmp_lt_f32_e32 vcc, v2, v30
	;; [unrolled: 2-line block ×14, first 2 shown]
	v_cndmask_b32_e32 v15, v14, v18, vcc
	s_load_dwordx4 s[0:3], s[4:5], 0x40
	s_branch .LBB150_73
.LBB150_62:
	s_load_dword s6, s[4:5], 0x50
	v_mov_b32_e32 v16, s24
	s_waitcnt lgkmcnt(0)
	s_bitcmp0_b32 s6, 0
	s_cbranch_scc1 .LBB150_64
; %bb.63:
	v_mov_b32_e32 v1, 0
	global_load_sshort v2, v1, s[14:15] offset:-2
	global_load_dword v3, v1, s[0:1]
	s_waitcnt vmcnt(1)
	v_cvt_f32_i32_e32 v1, v2
	s_waitcnt vmcnt(0)
	v_cmp_lt_f32_e32 vcc, v3, v1
	v_cndmask_b32_e32 v16, v3, v1, vcc
.LBB150_64:
	v_cmp_lt_f32_e32 vcc, v29, v30
	v_cndmask_b32_e32 v1, v29, v30, vcc
	v_cmp_lt_f32_e32 vcc, v1, v27
	v_cndmask_b32_e32 v1, v1, v27, vcc
	;; [unrolled: 2-line block ×14, first 2 shown]
	v_mbcnt_hi_u32_b32 v1, -1, v36
	v_and_b32_e32 v3, 15, v1
	v_mov_b32_dpp v4, v2 row_shr:1 row_mask:0xf bank_mask:0xf
	v_cmp_eq_u32_e32 vcc, 0, v3
	v_cmp_gt_f32_e64 s[0:1], v2, v4
	s_or_b64 vcc, vcc, s[0:1]
	v_cndmask_b32_e32 v2, v4, v2, vcc
	s_nop 1
	v_mov_b32_dpp v4, v2 row_shr:2 row_mask:0xf bank_mask:0xf
	v_cmp_gt_f32_e32 vcc, v2, v4
	v_cndmask_b32_e32 v4, v4, v2, vcc
	v_cmp_lt_u32_e32 vcc, 1, v3
	v_cndmask_b32_e32 v2, v2, v4, vcc
	s_nop 1
	v_mov_b32_dpp v4, v2 row_shr:4 row_mask:0xf bank_mask:0xf
	v_cmp_gt_f32_e32 vcc, v2, v4
	v_cndmask_b32_e32 v4, v4, v2, vcc
	v_cmp_lt_u32_e32 vcc, 3, v3
	;; [unrolled: 6-line block ×3, first 2 shown]
	v_cndmask_b32_e32 v2, v2, v4, vcc
	v_and_b32_e32 v4, 16, v1
	v_cmp_eq_u32_e32 vcc, 0, v4
	v_mov_b32_dpp v3, v2 row_bcast:15 row_mask:0xf bank_mask:0xf
	v_cmp_gt_f32_e64 s[0:1], v2, v3
	s_or_b64 vcc, vcc, s[0:1]
	v_cndmask_b32_e32 v2, v3, v2, vcc
	s_nop 1
	v_mov_b32_dpp v3, v2 row_bcast:31 row_mask:0xf bank_mask:0xf
	v_cmp_gt_f32_e32 vcc, v2, v3
	v_cndmask_b32_e32 v3, v3, v2, vcc
	v_cmp_lt_u32_e32 vcc, 31, v1
	v_cndmask_b32_e32 v2, v2, v3, vcc
	v_cmp_eq_u32_e32 vcc, v0, v34
	s_and_saveexec_b64 s[0:1], vcc
; %bb.65:
	v_lshlrev_b32_e32 v3, 2, v33
	ds_write_b32 v3, v2
; %bb.66:
	s_or_b64 exec, exec, s[0:1]
	v_cmp_gt_u32_e32 vcc, 4, v0
	s_waitcnt lgkmcnt(0)
	s_barrier
	s_and_saveexec_b64 s[6:7], vcc
	s_cbranch_execz .LBB150_68
; %bb.67:
	s_movk_i32 s0, 0xffc8
	v_mad_i32_i24 v3, v0, s0, v32
	ds_read_b32 v4, v3
	v_and_b32_e32 v5, 3, v1
	v_cmp_eq_u32_e32 vcc, 0, v5
	s_waitcnt lgkmcnt(0)
	v_mov_b32_dpp v6, v4 row_shr:1 row_mask:0xf bank_mask:0xf
	v_cmp_gt_f32_e64 s[0:1], v4, v6
	s_or_b64 vcc, vcc, s[0:1]
	v_cndmask_b32_e32 v4, v6, v4, vcc
	s_nop 1
	v_mov_b32_dpp v6, v4 row_shr:2 row_mask:0xf bank_mask:0xf
	v_cmp_gt_f32_e32 vcc, v4, v6
	v_cndmask_b32_e32 v6, v6, v4, vcc
	v_cmp_lt_u32_e32 vcc, 1, v5
	v_cndmask_b32_e32 v4, v4, v6, vcc
	ds_write_b32 v3, v4
.LBB150_68:
	s_or_b64 exec, exec, s[6:7]
	v_cmp_lt_u32_e32 vcc, 63, v0
	v_mov_b32_e32 v3, v16
	s_waitcnt lgkmcnt(0)
	s_barrier
	s_and_saveexec_b64 s[0:1], vcc
	s_cbranch_execz .LBB150_70
; %bb.69:
	v_lshl_add_u32 v3, v33, 2, -4
	ds_read_b32 v3, v3
	s_waitcnt lgkmcnt(0)
	v_cmp_lt_f32_e32 vcc, v16, v3
	v_cndmask_b32_e32 v3, v16, v3, vcc
.LBB150_70:
	s_or_b64 exec, exec, s[0:1]
	v_cmp_lt_f32_e32 vcc, v3, v2
	v_cndmask_b32_e32 v2, v3, v2, vcc
	v_subrev_co_u32_e32 v4, vcc, 1, v1
	v_and_b32_e32 v5, 64, v1
	v_cmp_lt_i32_e64 s[0:1], v4, v5
	v_cndmask_b32_e64 v1, v4, v1, s[0:1]
	v_lshlrev_b32_e32 v1, 2, v1
	ds_bpermute_b32 v1, v1, v2
	s_waitcnt lgkmcnt(0)
	v_cndmask_b32_e32 v1, v1, v3, vcc
	v_cmp_eq_u32_e32 vcc, 0, v0
	v_cndmask_b32_e32 v1, v1, v16, vcc
	v_cmp_lt_f32_e64 s[0:1], v1, v29
	v_cndmask_b32_e64 v2, v1, v29, s[0:1]
	v_cmp_lt_f32_e64 s[0:1], v2, v30
	v_cndmask_b32_e64 v3, v2, v30, s[0:1]
	;; [unrolled: 2-line block ×14, first 2 shown]
	s_and_saveexec_b64 s[0:1], vcc
	s_cbranch_execz .LBB150_72
; %bb.71:
	v_mov_b32_e32 v18, 0
	ds_read_b32 v17, v18 offset:12
	s_waitcnt lgkmcnt(0)
	v_cmp_lt_f32_e32 vcc, v16, v17
	v_cndmask_b32_e32 v16, v16, v17, vcc
	v_mov_b32_e32 v17, 2
	global_store_dwordx2 v18, v[16:17], s[16:17] offset:512
.LBB150_72:
	s_or_b64 exec, exec, s[0:1]
.LBB150_73:
	s_waitcnt lgkmcnt(0)
	s_lshl_b64 s[0:1], s[12:13], 2
	s_add_u32 s0, s8, s0
	s_addc_u32 s1, s9, s1
	s_mov_b64 s[6:7], -1
	s_and_b64 vcc, exec, s[10:11]
	s_waitcnt vmcnt(0)
	s_barrier
	s_cbranch_vccz .LBB150_75
; %bb.74:
	v_mov_b32_e32 v33, s1
	v_add_co_u32_e32 v34, vcc, s0, v31
	ds_write2_b32 v32, v1, v2 offset1:1
	ds_write2_b32 v32, v3, v4 offset0:2 offset1:3
	ds_write2_b32 v32, v5, v6 offset0:4 offset1:5
	;; [unrolled: 1-line block ×6, first 2 shown]
	ds_write_b32 v32, v15 offset:56
	s_waitcnt lgkmcnt(0)
	s_barrier
	ds_read2st64_b32 v[16:17], v31 offset1:4
	ds_read2st64_b32 v[18:19], v31 offset0:8 offset1:12
	ds_read2st64_b32 v[20:21], v31 offset0:16 offset1:20
	;; [unrolled: 1-line block ×6, first 2 shown]
	ds_read_b32 v30, v31 offset:14336
	v_addc_co_u32_e32 v33, vcc, 0, v33, vcc
	s_movk_i32 s6, 0x1000
	s_waitcnt lgkmcnt(7)
	global_store_dword v31, v16, s[0:1]
	global_store_dword v31, v17, s[0:1] offset:1024
	s_waitcnt lgkmcnt(6)
	global_store_dword v31, v18, s[0:1] offset:2048
	global_store_dword v31, v19, s[0:1] offset:3072
	v_add_co_u32_e32 v16, vcc, s6, v34
	v_addc_co_u32_e32 v17, vcc, 0, v33, vcc
	s_movk_i32 s6, 0x2000
	v_add_co_u32_e32 v18, vcc, s6, v34
	v_addc_co_u32_e32 v19, vcc, 0, v33, vcc
	s_waitcnt lgkmcnt(5)
	global_store_dword v[18:19], v20, off offset:-4096
	global_store_dword v[16:17], v21, off offset:1024
	s_waitcnt lgkmcnt(4)
	global_store_dword v[16:17], v22, off offset:2048
	global_store_dword v[16:17], v23, off offset:3072
	s_waitcnt lgkmcnt(3)
	global_store_dword v[18:19], v24, off
	global_store_dword v[18:19], v25, off offset:1024
	s_waitcnt lgkmcnt(2)
	global_store_dword v[18:19], v26, off offset:2048
	global_store_dword v[18:19], v27, off offset:3072
	v_add_co_u32_e32 v16, vcc, 0x3000, v34
	v_addc_co_u32_e32 v17, vcc, 0, v33, vcc
	s_waitcnt lgkmcnt(1)
	global_store_dword v[16:17], v28, off
	global_store_dword v[16:17], v29, off offset:1024
	s_waitcnt lgkmcnt(0)
	global_store_dword v[16:17], v30, off offset:2048
	s_mov_b64 s[6:7], 0
.LBB150_75:
	s_andn2_b64 vcc, exec, s[6:7]
	s_cbranch_vccnz .LBB150_161
; %bb.76:
	s_movk_i32 s6, 0xffc8
	v_mad_i32_i24 v16, v0, s6, v32
	ds_write2_b32 v32, v1, v2 offset1:1
	ds_write2_b32 v32, v3, v4 offset0:2 offset1:3
	ds_write2_b32 v32, v5, v6 offset0:4 offset1:5
	;; [unrolled: 1-line block ×6, first 2 shown]
	ds_write_b32 v32, v15 offset:56
	s_waitcnt vmcnt(0) lgkmcnt(0)
	s_barrier
	ds_read2st64_b32 v[4:5], v16 offset1:4
	ds_read2st64_b32 v[8:9], v16 offset0:8 offset1:12
	ds_read2st64_b32 v[6:7], v16 offset0:16 offset1:20
	;; [unrolled: 1-line block ×6, first 2 shown]
	ds_read_b32 v18, v16 offset:14336
	v_mov_b32_e32 v17, s1
	v_add_co_u32_e32 v16, vcc, s0, v31
	v_addc_co_u32_e32 v17, vcc, 0, v17, vcc
	v_mov_b32_e32 v1, 0
	v_cmp_gt_u32_e32 vcc, s22, v0
	s_and_saveexec_b64 s[0:1], vcc
	s_cbranch_execz .LBB150_78
; %bb.77:
	s_waitcnt lgkmcnt(7)
	global_store_dword v[16:17], v4, off
.LBB150_78:
	s_or_b64 exec, exec, s[0:1]
	v_or_b32_e32 v19, 0x100, v0
	v_cmp_gt_u32_e32 vcc, s22, v19
	s_and_saveexec_b64 s[0:1], vcc
	s_cbranch_execz .LBB150_80
; %bb.79:
	s_waitcnt lgkmcnt(7)
	global_store_dword v[16:17], v5, off offset:1024
.LBB150_80:
	s_or_b64 exec, exec, s[0:1]
	v_or_b32_e32 v19, 0x200, v0
	v_cmp_gt_u32_e32 vcc, s22, v19
	s_and_saveexec_b64 s[0:1], vcc
	s_cbranch_execz .LBB150_82
; %bb.81:
	s_waitcnt lgkmcnt(6)
	global_store_dword v[16:17], v8, off offset:2048
.LBB150_82:
	;; [unrolled: 9-line block ×3, first 2 shown]
	s_or_b64 exec, exec, s[0:1]
	v_or_b32_e32 v19, 0x400, v0
	v_cmp_gt_u32_e32 vcc, s22, v19
	s_and_saveexec_b64 s[0:1], vcc
	s_cbranch_execz .LBB150_86
; %bb.85:
	v_add_co_u32_e32 v19, vcc, 0x1000, v16
	v_addc_co_u32_e32 v20, vcc, 0, v17, vcc
	s_waitcnt lgkmcnt(5)
	global_store_dword v[19:20], v6, off
.LBB150_86:
	s_or_b64 exec, exec, s[0:1]
	v_or_b32_e32 v19, 0x500, v0
	v_cmp_gt_u32_e32 vcc, s22, v19
	s_and_saveexec_b64 s[0:1], vcc
	s_cbranch_execz .LBB150_88
; %bb.87:
	v_add_co_u32_e32 v19, vcc, 0x1000, v16
	v_addc_co_u32_e32 v20, vcc, 0, v17, vcc
	s_waitcnt lgkmcnt(5)
	global_store_dword v[19:20], v7, off offset:1024
.LBB150_88:
	s_or_b64 exec, exec, s[0:1]
	v_or_b32_e32 v19, 0x600, v0
	v_cmp_gt_u32_e32 vcc, s22, v19
	s_and_saveexec_b64 s[0:1], vcc
	s_cbranch_execz .LBB150_90
; %bb.89:
	v_add_co_u32_e32 v19, vcc, 0x1000, v16
	v_addc_co_u32_e32 v20, vcc, 0, v17, vcc
	s_waitcnt lgkmcnt(4)
	global_store_dword v[19:20], v14, off offset:2048
.LBB150_90:
	;; [unrolled: 11-line block ×3, first 2 shown]
	s_or_b64 exec, exec, s[0:1]
	v_or_b32_e32 v19, 0x800, v0
	v_cmp_gt_u32_e32 vcc, s22, v19
	s_and_saveexec_b64 s[0:1], vcc
	s_cbranch_execz .LBB150_94
; %bb.93:
	v_add_co_u32_e32 v19, vcc, 0x2000, v16
	v_addc_co_u32_e32 v20, vcc, 0, v17, vcc
	s_waitcnt lgkmcnt(3)
	global_store_dword v[19:20], v10, off
.LBB150_94:
	s_or_b64 exec, exec, s[0:1]
	v_or_b32_e32 v19, 0x900, v0
	v_cmp_gt_u32_e32 vcc, s22, v19
	s_and_saveexec_b64 s[0:1], vcc
	s_cbranch_execz .LBB150_96
; %bb.95:
	v_add_co_u32_e32 v19, vcc, 0x2000, v16
	v_addc_co_u32_e32 v20, vcc, 0, v17, vcc
	s_waitcnt lgkmcnt(3)
	global_store_dword v[19:20], v11, off offset:1024
.LBB150_96:
	s_or_b64 exec, exec, s[0:1]
	v_or_b32_e32 v19, 0xa00, v0
	v_cmp_gt_u32_e32 vcc, s22, v19
	s_and_saveexec_b64 s[0:1], vcc
	s_cbranch_execz .LBB150_98
; %bb.97:
	v_add_co_u32_e32 v19, vcc, 0x2000, v16
	v_addc_co_u32_e32 v20, vcc, 0, v17, vcc
	s_waitcnt lgkmcnt(2)
	global_store_dword v[19:20], v2, off offset:2048
.LBB150_98:
	;; [unrolled: 11-line block ×3, first 2 shown]
	s_or_b64 exec, exec, s[0:1]
	v_or_b32_e32 v19, 0xc00, v0
	v_cmp_gt_u32_e32 vcc, s22, v19
	s_and_saveexec_b64 s[0:1], vcc
	s_cbranch_execz .LBB150_102
; %bb.101:
	v_add_co_u32_e32 v19, vcc, 0x3000, v16
	v_addc_co_u32_e32 v20, vcc, 0, v17, vcc
	s_waitcnt lgkmcnt(1)
	global_store_dword v[19:20], v12, off
.LBB150_102:
	s_or_b64 exec, exec, s[0:1]
	v_or_b32_e32 v19, 0xd00, v0
	v_cmp_gt_u32_e32 vcc, s22, v19
	s_and_saveexec_b64 s[0:1], vcc
	s_cbranch_execz .LBB150_104
; %bb.103:
	v_add_co_u32_e32 v19, vcc, 0x3000, v16
	v_addc_co_u32_e32 v20, vcc, 0, v17, vcc
	s_waitcnt lgkmcnt(1)
	global_store_dword v[19:20], v13, off offset:1024
.LBB150_104:
	s_or_b64 exec, exec, s[0:1]
	v_or_b32_e32 v19, 0xe00, v0
	v_cmp_gt_u32_e32 vcc, s22, v19
	s_and_saveexec_b64 s[0:1], vcc
	s_cbranch_execz .LBB150_106
; %bb.105:
	v_add_co_u32_e32 v16, vcc, 0x3000, v16
	v_addc_co_u32_e32 v17, vcc, 0, v17, vcc
	s_waitcnt lgkmcnt(0)
	global_store_dword v[16:17], v18, off offset:2048
.LBB150_106:
	s_or_b64 exec, exec, s[0:1]
	s_load_dword s0, s[4:5], 0x50
	s_waitcnt lgkmcnt(0)
	s_bfe_u32 s0, s0, 0x10008
	s_cmp_eq_u32 s0, 0
	s_cbranch_scc1 .LBB150_161
; %bb.107:
	s_add_u32 s0, s22, -1
	s_addc_u32 s1, s23, -1
	s_mul_i32 s7, s1, 0x88888889
	s_mul_hi_u32 s8, s0, 0x88888889
	s_mul_hi_u32 s6, s1, 0x88888889
	s_add_u32 s7, s7, s8
	s_mul_i32 s5, s0, 0x88888888
	s_addc_u32 s6, s6, 0
	s_mul_hi_u32 s4, s0, 0x88888888
	s_add_u32 s5, s5, s7
	s_addc_u32 s4, s4, 0
	s_add_u32 s4, s6, s4
	s_addc_u32 s5, 0, 0
	s_mul_i32 s7, s1, 0x88888888
	s_mul_hi_u32 s6, s1, 0x88888888
	s_add_u32 s4, s7, s4
	s_addc_u32 s5, s6, s5
	s_lshr_b64 s[4:5], s[4:5], 3
	v_cmp_eq_u64_e32 vcc, s[4:5], v[0:1]
	s_and_saveexec_b64 s[4:5], vcc
	s_cbranch_execz .LBB150_161
; %bb.108:
	v_mul_hi_u32_u24_e32 v1, 15, v0
	v_mul_u32_u24_e32 v0, 15, v0
	v_mov_b32_e32 v16, s1
	v_sub_co_u32_e32 v0, vcc, s0, v0
	v_subb_co_u32_e32 v1, vcc, v16, v1, vcc
	v_cmp_lt_i64_e32 vcc, 7, v[0:1]
	s_and_saveexec_b64 s[0:1], vcc
	s_xor_b64 s[0:1], exec, s[0:1]
	s_cbranch_execz .LBB150_134
; %bb.109:
	v_cmp_lt_i64_e32 vcc, 10, v[0:1]
	s_and_saveexec_b64 s[4:5], vcc
	s_xor_b64 s[4:5], exec, s[4:5]
	s_cbranch_execz .LBB150_123
; %bb.110:
	;; [unrolled: 5-line block ×4, first 2 shown]
	v_mov_b32_e32 v0, 0
	global_store_dword v0, v18, s[2:3]
                                        ; implicit-def: $vgpr12_vgpr13
.LBB150_113:
	s_andn2_saveexec_b64 s[8:9], s[8:9]
	s_cbranch_execz .LBB150_115
; %bb.114:
	v_mov_b32_e32 v0, 0
	global_store_dword v0, v13, s[2:3]
.LBB150_115:
	s_or_b64 exec, exec, s[8:9]
                                        ; implicit-def: $vgpr2_vgpr3
                                        ; implicit-def: $vgpr0_vgpr1
                                        ; implicit-def: $vgpr12_vgpr13
.LBB150_116:
	s_andn2_saveexec_b64 s[6:7], s[6:7]
	s_cbranch_execz .LBB150_122
; %bb.117:
	v_cmp_lt_i64_e32 vcc, 11, v[0:1]
	s_and_saveexec_b64 s[8:9], vcc
	s_xor_b64 s[8:9], exec, s[8:9]
	s_cbranch_execz .LBB150_119
; %bb.118:
	v_mov_b32_e32 v0, 0
	global_store_dword v0, v12, s[2:3]
                                        ; implicit-def: $vgpr2_vgpr3
.LBB150_119:
	s_andn2_saveexec_b64 s[8:9], s[8:9]
	s_cbranch_execz .LBB150_121
; %bb.120:
	v_mov_b32_e32 v0, 0
	global_store_dword v0, v3, s[2:3]
.LBB150_121:
	s_or_b64 exec, exec, s[8:9]
.LBB150_122:
	s_or_b64 exec, exec, s[6:7]
                                        ; implicit-def: $vgpr10_vgpr11
                                        ; implicit-def: $vgpr0_vgpr1
                                        ; implicit-def: $vgpr2_vgpr3
.LBB150_123:
	s_andn2_saveexec_b64 s[4:5], s[4:5]
	s_cbranch_execz .LBB150_133
; %bb.124:
	v_cmp_lt_i64_e32 vcc, 8, v[0:1]
	s_and_saveexec_b64 s[6:7], vcc
	s_xor_b64 s[6:7], exec, s[6:7]
	s_cbranch_execz .LBB150_130
; %bb.125:
	v_cmp_lt_i64_e32 vcc, 9, v[0:1]
	s_and_saveexec_b64 s[8:9], vcc
	s_xor_b64 s[8:9], exec, s[8:9]
	s_cbranch_execz .LBB150_127
; %bb.126:
	v_mov_b32_e32 v0, 0
	global_store_dword v0, v2, s[2:3]
                                        ; implicit-def: $vgpr10_vgpr11
.LBB150_127:
	s_andn2_saveexec_b64 s[8:9], s[8:9]
	s_cbranch_execz .LBB150_129
; %bb.128:
	v_mov_b32_e32 v0, 0
	global_store_dword v0, v11, s[2:3]
.LBB150_129:
	s_or_b64 exec, exec, s[8:9]
                                        ; implicit-def: $vgpr10_vgpr11
.LBB150_130:
	s_andn2_saveexec_b64 s[6:7], s[6:7]
	s_cbranch_execz .LBB150_132
; %bb.131:
	v_mov_b32_e32 v0, 0
	global_store_dword v0, v10, s[2:3]
.LBB150_132:
	s_or_b64 exec, exec, s[6:7]
.LBB150_133:
	s_or_b64 exec, exec, s[4:5]
                                        ; implicit-def: $vgpr0_vgpr1
                                        ; implicit-def: $vgpr4_vgpr5
                                        ; implicit-def: $vgpr6_vgpr7
                                        ; implicit-def: $vgpr8_vgpr9
                                        ; implicit-def: $vgpr14_vgpr15
.LBB150_134:
	s_andn2_saveexec_b64 s[0:1], s[0:1]
	s_cbranch_execz .LBB150_161
; %bb.135:
	v_cmp_lt_i64_e32 vcc, 3, v[0:1]
	s_and_saveexec_b64 s[0:1], vcc
	s_xor_b64 s[0:1], exec, s[0:1]
	s_cbranch_execz .LBB150_149
; %bb.136:
	v_cmp_lt_i64_e32 vcc, 5, v[0:1]
	s_and_saveexec_b64 s[4:5], vcc
	s_xor_b64 s[4:5], exec, s[4:5]
	;; [unrolled: 5-line block ×3, first 2 shown]
	s_cbranch_execz .LBB150_139
; %bb.138:
	v_mov_b32_e32 v0, 0
	global_store_dword v0, v15, s[2:3]
                                        ; implicit-def: $vgpr14_vgpr15
.LBB150_139:
	s_andn2_saveexec_b64 s[6:7], s[6:7]
	s_cbranch_execz .LBB150_141
; %bb.140:
	v_mov_b32_e32 v0, 0
	global_store_dword v0, v14, s[2:3]
.LBB150_141:
	s_or_b64 exec, exec, s[6:7]
                                        ; implicit-def: $vgpr6_vgpr7
                                        ; implicit-def: $vgpr0_vgpr1
.LBB150_142:
	s_andn2_saveexec_b64 s[4:5], s[4:5]
	s_cbranch_execz .LBB150_148
; %bb.143:
	v_cmp_lt_i64_e32 vcc, 4, v[0:1]
	s_and_saveexec_b64 s[6:7], vcc
	s_xor_b64 s[6:7], exec, s[6:7]
	s_cbranch_execz .LBB150_145
; %bb.144:
	v_mov_b32_e32 v0, 0
	global_store_dword v0, v7, s[2:3]
                                        ; implicit-def: $vgpr6_vgpr7
.LBB150_145:
	s_andn2_saveexec_b64 s[6:7], s[6:7]
	s_cbranch_execz .LBB150_147
; %bb.146:
	v_mov_b32_e32 v0, 0
	global_store_dword v0, v6, s[2:3]
.LBB150_147:
	s_or_b64 exec, exec, s[6:7]
.LBB150_148:
	s_or_b64 exec, exec, s[4:5]
                                        ; implicit-def: $vgpr0_vgpr1
                                        ; implicit-def: $vgpr4_vgpr5
                                        ; implicit-def: $vgpr8_vgpr9
.LBB150_149:
	s_andn2_saveexec_b64 s[0:1], s[0:1]
	s_cbranch_execz .LBB150_161
; %bb.150:
	v_cmp_lt_i64_e32 vcc, 1, v[0:1]
	s_and_saveexec_b64 s[0:1], vcc
	s_xor_b64 s[0:1], exec, s[0:1]
	s_cbranch_execz .LBB150_156
; %bb.151:
	v_cmp_lt_i64_e32 vcc, 2, v[0:1]
	s_and_saveexec_b64 s[4:5], vcc
	s_xor_b64 s[4:5], exec, s[4:5]
	s_cbranch_execz .LBB150_153
; %bb.152:
	v_mov_b32_e32 v0, 0
	global_store_dword v0, v9, s[2:3]
                                        ; implicit-def: $vgpr8_vgpr9
.LBB150_153:
	s_andn2_saveexec_b64 s[4:5], s[4:5]
	s_cbranch_execz .LBB150_155
; %bb.154:
	v_mov_b32_e32 v0, 0
	global_store_dword v0, v8, s[2:3]
.LBB150_155:
	s_or_b64 exec, exec, s[4:5]
                                        ; implicit-def: $vgpr4_vgpr5
                                        ; implicit-def: $vgpr0_vgpr1
.LBB150_156:
	s_andn2_saveexec_b64 s[0:1], s[0:1]
	s_cbranch_execz .LBB150_161
; %bb.157:
	v_cmp_ne_u64_e32 vcc, 1, v[0:1]
	s_and_saveexec_b64 s[0:1], vcc
	s_xor_b64 s[0:1], exec, s[0:1]
	s_cbranch_execz .LBB150_159
; %bb.158:
	v_mov_b32_e32 v0, 0
	global_store_dword v0, v4, s[2:3]
                                        ; implicit-def: $vgpr4_vgpr5
.LBB150_159:
	s_andn2_saveexec_b64 s[0:1], s[0:1]
	s_cbranch_execz .LBB150_161
; %bb.160:
	v_mov_b32_e32 v0, 0
	global_store_dword v0, v5, s[2:3]
.LBB150_161:
	s_endpgm
	.section	.rodata,"a",@progbits
	.p2align	6, 0x0
	.amdhsa_kernel _ZN7rocprim6detail20lookback_scan_kernelILNS0_25lookback_scan_determinismE0ELb1ENS0_19wrapped_scan_configINS_14default_configEfEEN6hipcub22TransformInputIteratorIsNS6_6CastOpIsEEPslEEPfNS6_3MaxENS_12future_valueIfSC_EEfNS0_19lookback_scan_stateIfLb0ELb1EEEEEvT2_T3_mT5_T4_T7_jPT6_SO_bb
		.amdhsa_group_segment_fixed_size 15360
		.amdhsa_private_segment_fixed_size 0
		.amdhsa_kernarg_size 84
		.amdhsa_user_sgpr_count 6
		.amdhsa_user_sgpr_private_segment_buffer 1
		.amdhsa_user_sgpr_dispatch_ptr 0
		.amdhsa_user_sgpr_queue_ptr 0
		.amdhsa_user_sgpr_kernarg_segment_ptr 1
		.amdhsa_user_sgpr_dispatch_id 0
		.amdhsa_user_sgpr_flat_scratch_init 0
		.amdhsa_user_sgpr_private_segment_size 0
		.amdhsa_uses_dynamic_stack 0
		.amdhsa_system_sgpr_private_segment_wavefront_offset 0
		.amdhsa_system_sgpr_workgroup_id_x 1
		.amdhsa_system_sgpr_workgroup_id_y 0
		.amdhsa_system_sgpr_workgroup_id_z 0
		.amdhsa_system_sgpr_workgroup_info 0
		.amdhsa_system_vgpr_workitem_id 0
		.amdhsa_next_free_vgpr 49
		.amdhsa_next_free_sgpr 98
		.amdhsa_reserve_vcc 1
		.amdhsa_reserve_flat_scratch 0
		.amdhsa_float_round_mode_32 0
		.amdhsa_float_round_mode_16_64 0
		.amdhsa_float_denorm_mode_32 3
		.amdhsa_float_denorm_mode_16_64 3
		.amdhsa_dx10_clamp 1
		.amdhsa_ieee_mode 1
		.amdhsa_fp16_overflow 0
		.amdhsa_exception_fp_ieee_invalid_op 0
		.amdhsa_exception_fp_denorm_src 0
		.amdhsa_exception_fp_ieee_div_zero 0
		.amdhsa_exception_fp_ieee_overflow 0
		.amdhsa_exception_fp_ieee_underflow 0
		.amdhsa_exception_fp_ieee_inexact 0
		.amdhsa_exception_int_div_zero 0
	.end_amdhsa_kernel
	.section	.text._ZN7rocprim6detail20lookback_scan_kernelILNS0_25lookback_scan_determinismE0ELb1ENS0_19wrapped_scan_configINS_14default_configEfEEN6hipcub22TransformInputIteratorIsNS6_6CastOpIsEEPslEEPfNS6_3MaxENS_12future_valueIfSC_EEfNS0_19lookback_scan_stateIfLb0ELb1EEEEEvT2_T3_mT5_T4_T7_jPT6_SO_bb,"axG",@progbits,_ZN7rocprim6detail20lookback_scan_kernelILNS0_25lookback_scan_determinismE0ELb1ENS0_19wrapped_scan_configINS_14default_configEfEEN6hipcub22TransformInputIteratorIsNS6_6CastOpIsEEPslEEPfNS6_3MaxENS_12future_valueIfSC_EEfNS0_19lookback_scan_stateIfLb0ELb1EEEEEvT2_T3_mT5_T4_T7_jPT6_SO_bb,comdat
.Lfunc_end150:
	.size	_ZN7rocprim6detail20lookback_scan_kernelILNS0_25lookback_scan_determinismE0ELb1ENS0_19wrapped_scan_configINS_14default_configEfEEN6hipcub22TransformInputIteratorIsNS6_6CastOpIsEEPslEEPfNS6_3MaxENS_12future_valueIfSC_EEfNS0_19lookback_scan_stateIfLb0ELb1EEEEEvT2_T3_mT5_T4_T7_jPT6_SO_bb, .Lfunc_end150-_ZN7rocprim6detail20lookback_scan_kernelILNS0_25lookback_scan_determinismE0ELb1ENS0_19wrapped_scan_configINS_14default_configEfEEN6hipcub22TransformInputIteratorIsNS6_6CastOpIsEEPslEEPfNS6_3MaxENS_12future_valueIfSC_EEfNS0_19lookback_scan_stateIfLb0ELb1EEEEEvT2_T3_mT5_T4_T7_jPT6_SO_bb
                                        ; -- End function
	.set _ZN7rocprim6detail20lookback_scan_kernelILNS0_25lookback_scan_determinismE0ELb1ENS0_19wrapped_scan_configINS_14default_configEfEEN6hipcub22TransformInputIteratorIsNS6_6CastOpIsEEPslEEPfNS6_3MaxENS_12future_valueIfSC_EEfNS0_19lookback_scan_stateIfLb0ELb1EEEEEvT2_T3_mT5_T4_T7_jPT6_SO_bb.num_vgpr, 47
	.set _ZN7rocprim6detail20lookback_scan_kernelILNS0_25lookback_scan_determinismE0ELb1ENS0_19wrapped_scan_configINS_14default_configEfEEN6hipcub22TransformInputIteratorIsNS6_6CastOpIsEEPslEEPfNS6_3MaxENS_12future_valueIfSC_EEfNS0_19lookback_scan_stateIfLb0ELb1EEEEEvT2_T3_mT5_T4_T7_jPT6_SO_bb.num_agpr, 0
	.set _ZN7rocprim6detail20lookback_scan_kernelILNS0_25lookback_scan_determinismE0ELb1ENS0_19wrapped_scan_configINS_14default_configEfEEN6hipcub22TransformInputIteratorIsNS6_6CastOpIsEEPslEEPfNS6_3MaxENS_12future_valueIfSC_EEfNS0_19lookback_scan_stateIfLb0ELb1EEEEEvT2_T3_mT5_T4_T7_jPT6_SO_bb.numbered_sgpr, 28
	.set _ZN7rocprim6detail20lookback_scan_kernelILNS0_25lookback_scan_determinismE0ELb1ENS0_19wrapped_scan_configINS_14default_configEfEEN6hipcub22TransformInputIteratorIsNS6_6CastOpIsEEPslEEPfNS6_3MaxENS_12future_valueIfSC_EEfNS0_19lookback_scan_stateIfLb0ELb1EEEEEvT2_T3_mT5_T4_T7_jPT6_SO_bb.num_named_barrier, 0
	.set _ZN7rocprim6detail20lookback_scan_kernelILNS0_25lookback_scan_determinismE0ELb1ENS0_19wrapped_scan_configINS_14default_configEfEEN6hipcub22TransformInputIteratorIsNS6_6CastOpIsEEPslEEPfNS6_3MaxENS_12future_valueIfSC_EEfNS0_19lookback_scan_stateIfLb0ELb1EEEEEvT2_T3_mT5_T4_T7_jPT6_SO_bb.private_seg_size, 0
	.set _ZN7rocprim6detail20lookback_scan_kernelILNS0_25lookback_scan_determinismE0ELb1ENS0_19wrapped_scan_configINS_14default_configEfEEN6hipcub22TransformInputIteratorIsNS6_6CastOpIsEEPslEEPfNS6_3MaxENS_12future_valueIfSC_EEfNS0_19lookback_scan_stateIfLb0ELb1EEEEEvT2_T3_mT5_T4_T7_jPT6_SO_bb.uses_vcc, 1
	.set _ZN7rocprim6detail20lookback_scan_kernelILNS0_25lookback_scan_determinismE0ELb1ENS0_19wrapped_scan_configINS_14default_configEfEEN6hipcub22TransformInputIteratorIsNS6_6CastOpIsEEPslEEPfNS6_3MaxENS_12future_valueIfSC_EEfNS0_19lookback_scan_stateIfLb0ELb1EEEEEvT2_T3_mT5_T4_T7_jPT6_SO_bb.uses_flat_scratch, 0
	.set _ZN7rocprim6detail20lookback_scan_kernelILNS0_25lookback_scan_determinismE0ELb1ENS0_19wrapped_scan_configINS_14default_configEfEEN6hipcub22TransformInputIteratorIsNS6_6CastOpIsEEPslEEPfNS6_3MaxENS_12future_valueIfSC_EEfNS0_19lookback_scan_stateIfLb0ELb1EEEEEvT2_T3_mT5_T4_T7_jPT6_SO_bb.has_dyn_sized_stack, 0
	.set _ZN7rocprim6detail20lookback_scan_kernelILNS0_25lookback_scan_determinismE0ELb1ENS0_19wrapped_scan_configINS_14default_configEfEEN6hipcub22TransformInputIteratorIsNS6_6CastOpIsEEPslEEPfNS6_3MaxENS_12future_valueIfSC_EEfNS0_19lookback_scan_stateIfLb0ELb1EEEEEvT2_T3_mT5_T4_T7_jPT6_SO_bb.has_recursion, 0
	.set _ZN7rocprim6detail20lookback_scan_kernelILNS0_25lookback_scan_determinismE0ELb1ENS0_19wrapped_scan_configINS_14default_configEfEEN6hipcub22TransformInputIteratorIsNS6_6CastOpIsEEPslEEPfNS6_3MaxENS_12future_valueIfSC_EEfNS0_19lookback_scan_stateIfLb0ELb1EEEEEvT2_T3_mT5_T4_T7_jPT6_SO_bb.has_indirect_call, 0
	.section	.AMDGPU.csdata,"",@progbits
; Kernel info:
; codeLenInByte = 6120
; TotalNumSgprs: 32
; NumVgprs: 47
; ScratchSize: 0
; MemoryBound: 0
; FloatMode: 240
; IeeeMode: 1
; LDSByteSize: 15360 bytes/workgroup (compile time only)
; SGPRBlocks: 12
; VGPRBlocks: 12
; NumSGPRsForWavesPerEU: 102
; NumVGPRsForWavesPerEU: 49
; Occupancy: 4
; WaveLimiterHint : 1
; COMPUTE_PGM_RSRC2:SCRATCH_EN: 0
; COMPUTE_PGM_RSRC2:USER_SGPR: 6
; COMPUTE_PGM_RSRC2:TRAP_HANDLER: 0
; COMPUTE_PGM_RSRC2:TGID_X_EN: 1
; COMPUTE_PGM_RSRC2:TGID_Y_EN: 0
; COMPUTE_PGM_RSRC2:TGID_Z_EN: 0
; COMPUTE_PGM_RSRC2:TIDIG_COMP_CNT: 0
	.section	.text._ZN7rocprim6detail16transform_kernelINS0_24wrapped_transform_configINS_14default_configEfEEfPfS5_NS_8identityIfEEEEvT1_mT2_T3_,"axG",@progbits,_ZN7rocprim6detail16transform_kernelINS0_24wrapped_transform_configINS_14default_configEfEEfPfS5_NS_8identityIfEEEEvT1_mT2_T3_,comdat
	.protected	_ZN7rocprim6detail16transform_kernelINS0_24wrapped_transform_configINS_14default_configEfEEfPfS5_NS_8identityIfEEEEvT1_mT2_T3_ ; -- Begin function _ZN7rocprim6detail16transform_kernelINS0_24wrapped_transform_configINS_14default_configEfEEfPfS5_NS_8identityIfEEEEvT1_mT2_T3_
	.globl	_ZN7rocprim6detail16transform_kernelINS0_24wrapped_transform_configINS_14default_configEfEEfPfS5_NS_8identityIfEEEEvT1_mT2_T3_
	.p2align	8
	.type	_ZN7rocprim6detail16transform_kernelINS0_24wrapped_transform_configINS_14default_configEfEEfPfS5_NS_8identityIfEEEEvT1_mT2_T3_,@function
_ZN7rocprim6detail16transform_kernelINS0_24wrapped_transform_configINS_14default_configEfEEfPfS5_NS_8identityIfEEEEvT1_mT2_T3_: ; @_ZN7rocprim6detail16transform_kernelINS0_24wrapped_transform_configINS_14default_configEfEEfPfS5_NS_8identityIfEEEEvT1_mT2_T3_
; %bb.0:
	s_load_dword s7, s[4:5], 0x20
	s_load_dwordx4 s[0:3], s[4:5], 0x0
	s_load_dwordx2 s[8:9], s[4:5], 0x10
	s_lshl_b32 s10, s6, 11
	s_mov_b32 s11, 0
	s_waitcnt lgkmcnt(0)
	s_add_i32 s7, s7, -1
	s_lshl_b64 s[4:5], s[10:11], 2
	s_add_u32 s0, s0, s4
	s_addc_u32 s1, s1, s5
	v_lshlrev_b32_e32 v5, 2, v0
	v_mov_b32_e32 v2, s1
	v_add_co_u32_e32 v1, vcc, s0, v5
	s_cmp_lg_u32 s6, s7
	v_addc_co_u32_e32 v2, vcc, 0, v2, vcc
	s_cbranch_scc0 .LBB151_2
; %bb.1:
	v_add_co_u32_e32 v3, vcc, 0x1000, v1
	global_load_dword v6, v[1:2], off
	v_addc_co_u32_e32 v4, vcc, 0, v2, vcc
	global_load_dword v3, v[3:4], off
	s_add_u32 s0, s8, s4
	s_addc_u32 s1, s9, s5
	s_mov_b64 s[6:7], -1
	s_waitcnt vmcnt(1)
	global_store_dword v5, v6, s[0:1]
	s_cbranch_execz .LBB151_3
	s_branch .LBB151_10
.LBB151_2:
	s_mov_b64 s[6:7], 0
                                        ; implicit-def: $vgpr3
.LBB151_3:
	s_sub_i32 s10, s2, s10
	s_waitcnt vmcnt(1)
	v_mov_b32_e32 v3, 0
	v_cmp_gt_u32_e64 s[0:1], s10, v0
	v_mov_b32_e32 v4, v3
	s_and_saveexec_b64 s[2:3], s[0:1]
	s_cbranch_execz .LBB151_5
; %bb.4:
	global_load_dword v6, v[1:2], off
	v_mov_b32_e32 v7, v3
	s_waitcnt vmcnt(0)
	v_mov_b32_e32 v3, v6
	v_mov_b32_e32 v4, v7
.LBB151_5:
	s_or_b64 exec, exec, s[2:3]
	v_or_b32_e32 v0, 0x400, v0
	v_cmp_gt_u32_e64 s[2:3], s10, v0
	s_and_saveexec_b64 s[10:11], s[2:3]
	s_cbranch_execnz .LBB151_13
; %bb.6:
	s_or_b64 exec, exec, s[10:11]
	v_cndmask_b32_e64 v0, 0, v3, s[0:1]
	s_and_saveexec_b64 s[10:11], s[0:1]
	s_cbranch_execnz .LBB151_14
.LBB151_7:
	s_or_b64 exec, exec, s[10:11]
                                        ; implicit-def: $vgpr3
	s_and_saveexec_b64 s[0:1], s[2:3]
	s_cbranch_execz .LBB151_9
.LBB151_8:
	s_waitcnt vmcnt(0)
	v_cndmask_b32_e64 v3, 0, v4, s[2:3]
	s_or_b64 s[6:7], s[6:7], exec
.LBB151_9:
	s_or_b64 exec, exec, s[0:1]
.LBB151_10:
	s_and_saveexec_b64 s[0:1], s[6:7]
	s_cbranch_execnz .LBB151_12
; %bb.11:
	s_endpgm
.LBB151_12:
	s_add_u32 s0, s8, s4
	s_addc_u32 s1, s9, s5
	v_mov_b32_e32 v0, s1
	v_add_co_u32_e32 v1, vcc, s0, v5
	v_addc_co_u32_e32 v2, vcc, 0, v0, vcc
	v_add_co_u32_e32 v0, vcc, 0x1000, v1
	v_addc_co_u32_e32 v1, vcc, 0, v2, vcc
	s_waitcnt vmcnt(1)
	global_store_dword v[0:1], v3, off
	s_endpgm
.LBB151_13:
	v_add_co_u32_e32 v0, vcc, 0x1000, v1
	v_addc_co_u32_e32 v1, vcc, 0, v2, vcc
	global_load_dword v4, v[0:1], off
	s_or_b64 exec, exec, s[10:11]
	v_cndmask_b32_e64 v0, 0, v3, s[0:1]
	s_and_saveexec_b64 s[10:11], s[0:1]
	s_cbranch_execz .LBB151_7
.LBB151_14:
	s_add_u32 s0, s8, s4
	s_addc_u32 s1, s9, s5
	global_store_dword v5, v0, s[0:1]
	s_or_b64 exec, exec, s[10:11]
                                        ; implicit-def: $vgpr3
	s_and_saveexec_b64 s[0:1], s[2:3]
	s_cbranch_execnz .LBB151_8
	s_branch .LBB151_9
	.section	.rodata,"a",@progbits
	.p2align	6, 0x0
	.amdhsa_kernel _ZN7rocprim6detail16transform_kernelINS0_24wrapped_transform_configINS_14default_configEfEEfPfS5_NS_8identityIfEEEEvT1_mT2_T3_
		.amdhsa_group_segment_fixed_size 0
		.amdhsa_private_segment_fixed_size 0
		.amdhsa_kernarg_size 288
		.amdhsa_user_sgpr_count 6
		.amdhsa_user_sgpr_private_segment_buffer 1
		.amdhsa_user_sgpr_dispatch_ptr 0
		.amdhsa_user_sgpr_queue_ptr 0
		.amdhsa_user_sgpr_kernarg_segment_ptr 1
		.amdhsa_user_sgpr_dispatch_id 0
		.amdhsa_user_sgpr_flat_scratch_init 0
		.amdhsa_user_sgpr_private_segment_size 0
		.amdhsa_uses_dynamic_stack 0
		.amdhsa_system_sgpr_private_segment_wavefront_offset 0
		.amdhsa_system_sgpr_workgroup_id_x 1
		.amdhsa_system_sgpr_workgroup_id_y 0
		.amdhsa_system_sgpr_workgroup_id_z 0
		.amdhsa_system_sgpr_workgroup_info 0
		.amdhsa_system_vgpr_workitem_id 0
		.amdhsa_next_free_vgpr 8
		.amdhsa_next_free_sgpr 12
		.amdhsa_reserve_vcc 1
		.amdhsa_reserve_flat_scratch 0
		.amdhsa_float_round_mode_32 0
		.amdhsa_float_round_mode_16_64 0
		.amdhsa_float_denorm_mode_32 3
		.amdhsa_float_denorm_mode_16_64 3
		.amdhsa_dx10_clamp 1
		.amdhsa_ieee_mode 1
		.amdhsa_fp16_overflow 0
		.amdhsa_exception_fp_ieee_invalid_op 0
		.amdhsa_exception_fp_denorm_src 0
		.amdhsa_exception_fp_ieee_div_zero 0
		.amdhsa_exception_fp_ieee_overflow 0
		.amdhsa_exception_fp_ieee_underflow 0
		.amdhsa_exception_fp_ieee_inexact 0
		.amdhsa_exception_int_div_zero 0
	.end_amdhsa_kernel
	.section	.text._ZN7rocprim6detail16transform_kernelINS0_24wrapped_transform_configINS_14default_configEfEEfPfS5_NS_8identityIfEEEEvT1_mT2_T3_,"axG",@progbits,_ZN7rocprim6detail16transform_kernelINS0_24wrapped_transform_configINS_14default_configEfEEfPfS5_NS_8identityIfEEEEvT1_mT2_T3_,comdat
.Lfunc_end151:
	.size	_ZN7rocprim6detail16transform_kernelINS0_24wrapped_transform_configINS_14default_configEfEEfPfS5_NS_8identityIfEEEEvT1_mT2_T3_, .Lfunc_end151-_ZN7rocprim6detail16transform_kernelINS0_24wrapped_transform_configINS_14default_configEfEEfPfS5_NS_8identityIfEEEEvT1_mT2_T3_
                                        ; -- End function
	.set _ZN7rocprim6detail16transform_kernelINS0_24wrapped_transform_configINS_14default_configEfEEfPfS5_NS_8identityIfEEEEvT1_mT2_T3_.num_vgpr, 8
	.set _ZN7rocprim6detail16transform_kernelINS0_24wrapped_transform_configINS_14default_configEfEEfPfS5_NS_8identityIfEEEEvT1_mT2_T3_.num_agpr, 0
	.set _ZN7rocprim6detail16transform_kernelINS0_24wrapped_transform_configINS_14default_configEfEEfPfS5_NS_8identityIfEEEEvT1_mT2_T3_.numbered_sgpr, 12
	.set _ZN7rocprim6detail16transform_kernelINS0_24wrapped_transform_configINS_14default_configEfEEfPfS5_NS_8identityIfEEEEvT1_mT2_T3_.num_named_barrier, 0
	.set _ZN7rocprim6detail16transform_kernelINS0_24wrapped_transform_configINS_14default_configEfEEfPfS5_NS_8identityIfEEEEvT1_mT2_T3_.private_seg_size, 0
	.set _ZN7rocprim6detail16transform_kernelINS0_24wrapped_transform_configINS_14default_configEfEEfPfS5_NS_8identityIfEEEEvT1_mT2_T3_.uses_vcc, 1
	.set _ZN7rocprim6detail16transform_kernelINS0_24wrapped_transform_configINS_14default_configEfEEfPfS5_NS_8identityIfEEEEvT1_mT2_T3_.uses_flat_scratch, 0
	.set _ZN7rocprim6detail16transform_kernelINS0_24wrapped_transform_configINS_14default_configEfEEfPfS5_NS_8identityIfEEEEvT1_mT2_T3_.has_dyn_sized_stack, 0
	.set _ZN7rocprim6detail16transform_kernelINS0_24wrapped_transform_configINS_14default_configEfEEfPfS5_NS_8identityIfEEEEvT1_mT2_T3_.has_recursion, 0
	.set _ZN7rocprim6detail16transform_kernelINS0_24wrapped_transform_configINS_14default_configEfEEfPfS5_NS_8identityIfEEEEvT1_mT2_T3_.has_indirect_call, 0
	.section	.AMDGPU.csdata,"",@progbits
; Kernel info:
; codeLenInByte = 408
; TotalNumSgprs: 16
; NumVgprs: 8
; ScratchSize: 0
; MemoryBound: 0
; FloatMode: 240
; IeeeMode: 1
; LDSByteSize: 0 bytes/workgroup (compile time only)
; SGPRBlocks: 1
; VGPRBlocks: 1
; NumSGPRsForWavesPerEU: 16
; NumVGPRsForWavesPerEU: 8
; Occupancy: 10
; WaveLimiterHint : 1
; COMPUTE_PGM_RSRC2:SCRATCH_EN: 0
; COMPUTE_PGM_RSRC2:USER_SGPR: 6
; COMPUTE_PGM_RSRC2:TRAP_HANDLER: 0
; COMPUTE_PGM_RSRC2:TGID_X_EN: 1
; COMPUTE_PGM_RSRC2:TGID_Y_EN: 0
; COMPUTE_PGM_RSRC2:TGID_Z_EN: 0
; COMPUTE_PGM_RSRC2:TIDIG_COMP_CNT: 0
	.section	.text._ZN7rocprim6detail18single_scan_kernelILb1ENS0_19wrapped_scan_configINS_14default_configEfEEN6hipcub22TransformInputIteratorIsNS5_6CastOpIsEEPslEEPfNS5_3MaxENS_12future_valueIfSB_EEfEEvT1_mT4_T2_T3_,"axG",@progbits,_ZN7rocprim6detail18single_scan_kernelILb1ENS0_19wrapped_scan_configINS_14default_configEfEEN6hipcub22TransformInputIteratorIsNS5_6CastOpIsEEPslEEPfNS5_3MaxENS_12future_valueIfSB_EEfEEvT1_mT4_T2_T3_,comdat
	.protected	_ZN7rocprim6detail18single_scan_kernelILb1ENS0_19wrapped_scan_configINS_14default_configEfEEN6hipcub22TransformInputIteratorIsNS5_6CastOpIsEEPslEEPfNS5_3MaxENS_12future_valueIfSB_EEfEEvT1_mT4_T2_T3_ ; -- Begin function _ZN7rocprim6detail18single_scan_kernelILb1ENS0_19wrapped_scan_configINS_14default_configEfEEN6hipcub22TransformInputIteratorIsNS5_6CastOpIsEEPslEEPfNS5_3MaxENS_12future_valueIfSB_EEfEEvT1_mT4_T2_T3_
	.globl	_ZN7rocprim6detail18single_scan_kernelILb1ENS0_19wrapped_scan_configINS_14default_configEfEEN6hipcub22TransformInputIteratorIsNS5_6CastOpIsEEPslEEPfNS5_3MaxENS_12future_valueIfSB_EEfEEvT1_mT4_T2_T3_
	.p2align	8
	.type	_ZN7rocprim6detail18single_scan_kernelILb1ENS0_19wrapped_scan_configINS_14default_configEfEEN6hipcub22TransformInputIteratorIsNS5_6CastOpIsEEPslEEPfNS5_3MaxENS_12future_valueIfSB_EEfEEvT1_mT4_T2_T3_,@function
_ZN7rocprim6detail18single_scan_kernelILb1ENS0_19wrapped_scan_configINS_14default_configEfEEN6hipcub22TransformInputIteratorIsNS5_6CastOpIsEEPslEEPfNS5_3MaxENS_12future_valueIfSB_EEfEEvT1_mT4_T2_T3_: ; @_ZN7rocprim6detail18single_scan_kernelILb1ENS0_19wrapped_scan_configINS_14default_configEfEEN6hipcub22TransformInputIteratorIsNS5_6CastOpIsEEPslEEPfNS5_3MaxENS_12future_valueIfSB_EEfEEvT1_mT4_T2_T3_
; %bb.0:
	s_load_dwordx2 s[0:1], s[4:5], 0x0
	s_load_dwordx4 s[36:39], s[4:5], 0x10
	v_mov_b32_e32 v1, 0
	v_lshlrev_b32_e32 v15, 1, v0
	s_waitcnt lgkmcnt(0)
	global_load_sshort v1, v1, s[0:1]
	v_mov_b32_e32 v16, s1
	v_add_co_u32_e32 v18, vcc, s0, v15
	v_addc_co_u32_e32 v19, vcc, 0, v16, vcc
	v_cmp_gt_u32_e64 s[0:1], s36, v0
	s_waitcnt vmcnt(0)
	v_cvt_f32_i32_e32 v1, v1
	v_mov_b32_e32 v2, v1
	v_mov_b32_e32 v3, v1
	;; [unrolled: 1-line block ×29, first 2 shown]
	s_and_saveexec_b64 s[2:3], s[0:1]
	s_cbranch_execz .LBB152_2
; %bb.1:
	global_load_sshort v12, v[18:19], off
	v_mov_b32_e32 v2, v1
	v_mov_b32_e32 v3, v1
	;; [unrolled: 1-line block ×12, first 2 shown]
	s_waitcnt vmcnt(0)
	v_cvt_f32_i32_e32 v20, v12
	v_mov_b32_e32 v12, v1
	v_mov_b32_e32 v17, v15
	;; [unrolled: 1-line block ×18, first 2 shown]
.LBB152_2:
	s_or_b64 exec, exec, s[2:3]
	v_or_b32_e32 v2, 0x100, v0
	v_cmp_gt_u32_e64 s[2:3], s36, v2
	s_and_saveexec_b64 s[6:7], s[2:3]
	s_cbranch_execz .LBB152_4
; %bb.3:
	global_load_sshort v2, v[18:19], off offset:512
	s_waitcnt vmcnt(0)
	v_cvt_f32_i32_e32 v3, v2
.LBB152_4:
	s_or_b64 exec, exec, s[6:7]
	v_or_b32_e32 v2, 0x200, v0
	v_cmp_gt_u32_e64 s[20:21], s36, v2
	s_and_saveexec_b64 s[6:7], s[20:21]
	s_cbranch_execz .LBB152_6
; %bb.5:
	global_load_sshort v2, v[18:19], off offset:1024
	s_waitcnt vmcnt(0)
	v_cvt_f32_i32_e32 v4, v2
.LBB152_6:
	;; [unrolled: 10-line block ×7, first 2 shown]
	s_or_b64 exec, exec, s[16:17]
	v_or_b32_e32 v2, 0x800, v0
	v_cmp_gt_u32_e64 s[16:17], s36, v2
	s_and_saveexec_b64 s[18:19], s[16:17]
	s_cbranch_execz .LBB152_18
; %bb.17:
	v_add_co_u32_e32 v20, vcc, 0x1000, v18
	v_addc_co_u32_e32 v21, vcc, 0, v19, vcc
	global_load_sshort v2, v[20:21], off
	s_waitcnt vmcnt(0)
	v_cvt_f32_i32_e32 v10, v2
.LBB152_18:
	s_or_b64 exec, exec, s[18:19]
	v_or_b32_e32 v2, 0x900, v0
	v_cmp_gt_u32_e64 s[18:19], s36, v2
	s_and_saveexec_b64 s[22:23], s[18:19]
	s_cbranch_execz .LBB152_20
; %bb.19:
	v_add_co_u32_e32 v20, vcc, 0x1000, v18
	v_addc_co_u32_e32 v21, vcc, 0, v19, vcc
	global_load_sshort v2, v[20:21], off offset:512
	s_waitcnt vmcnt(0)
	v_cvt_f32_i32_e32 v11, v2
.LBB152_20:
	s_or_b64 exec, exec, s[22:23]
	v_or_b32_e32 v2, 0xa00, v0
	v_cmp_gt_u32_e64 s[22:23], s36, v2
	s_and_saveexec_b64 s[24:25], s[22:23]
	s_cbranch_execz .LBB152_22
; %bb.21:
	v_add_co_u32_e32 v20, vcc, 0x1000, v18
	v_addc_co_u32_e32 v21, vcc, 0, v19, vcc
	global_load_sshort v2, v[20:21], off offset:1024
	s_waitcnt vmcnt(0)
	v_cvt_f32_i32_e32 v12, v2
.LBB152_22:
	;; [unrolled: 12-line block ×6, first 2 shown]
	s_or_b64 exec, exec, s[34:35]
	v_lshlrev_b32_e32 v17, 2, v0
	s_load_dwordx2 s[34:35], s[4:5], 0x20
	s_load_dword s33, s[38:39], 0x0
	ds_write2st64_b32 v17, v1, v3 offset1:4
	ds_write2st64_b32 v17, v4, v5 offset0:8 offset1:12
	ds_write2st64_b32 v17, v6, v7 offset0:16 offset1:20
	;; [unrolled: 1-line block ×6, first 2 shown]
	ds_write_b32 v17, v16 offset:14336
	v_mad_u32_u24 v15, v0, 56, v17
	s_waitcnt lgkmcnt(0)
	s_barrier
	ds_read2_b32 v[13:14], v15 offset1:1
	ds_read2_b32 v[11:12], v15 offset0:2 offset1:3
	ds_read2_b32 v[9:10], v15 offset0:4 offset1:5
	;; [unrolled: 1-line block ×6, first 2 shown]
	ds_read_b32 v15, v15 offset:56
	s_waitcnt lgkmcnt(7)
	v_cmp_lt_f32_e32 vcc, v13, v14
	v_cndmask_b32_e32 v16, v13, v14, vcc
	s_waitcnt lgkmcnt(6)
	v_cmp_lt_f32_e32 vcc, v16, v11
	v_cndmask_b32_e32 v16, v16, v11, vcc
	v_cmp_lt_f32_e32 vcc, v16, v12
	v_cndmask_b32_e32 v16, v16, v12, vcc
	s_waitcnt lgkmcnt(5)
	v_cmp_lt_f32_e32 vcc, v16, v9
	v_cndmask_b32_e32 v16, v16, v9, vcc
	;; [unrolled: 5-line block ×7, first 2 shown]
	v_mbcnt_lo_u32_b32 v15, -1, 0
	v_mbcnt_hi_u32_b32 v15, -1, v15
	v_and_b32_e32 v18, 15, v15
	v_mov_b32_dpp v19, v16 row_shr:1 row_mask:0xf bank_mask:0xf
	v_cmp_eq_u32_e32 vcc, 0, v18
	v_cmp_gt_f32_e64 s[4:5], v16, v19
	s_or_b64 vcc, vcc, s[4:5]
	v_cndmask_b32_e32 v16, v19, v16, vcc
	s_barrier
	s_nop 0
	v_mov_b32_dpp v19, v16 row_shr:2 row_mask:0xf bank_mask:0xf
	v_cmp_gt_f32_e32 vcc, v16, v19
	v_cndmask_b32_e32 v19, v19, v16, vcc
	v_cmp_lt_u32_e32 vcc, 1, v18
	v_cndmask_b32_e32 v16, v16, v19, vcc
	s_nop 1
	v_mov_b32_dpp v19, v16 row_shr:4 row_mask:0xf bank_mask:0xf
	v_cmp_gt_f32_e32 vcc, v16, v19
	v_cndmask_b32_e32 v19, v19, v16, vcc
	v_cmp_lt_u32_e32 vcc, 3, v18
	v_cndmask_b32_e32 v16, v16, v19, vcc
	;; [unrolled: 6-line block ×3, first 2 shown]
	v_and_b32_e32 v19, 16, v15
	v_cmp_eq_u32_e32 vcc, 0, v19
	v_mov_b32_dpp v18, v16 row_bcast:15 row_mask:0xf bank_mask:0xf
	v_cmp_gt_f32_e64 s[4:5], v16, v18
	s_or_b64 vcc, vcc, s[4:5]
	v_cndmask_b32_e32 v16, v18, v16, vcc
	v_lshrrev_b32_e32 v19, 6, v0
	s_nop 0
	v_mov_b32_dpp v18, v16 row_bcast:31 row_mask:0xf bank_mask:0xf
	v_cmp_gt_f32_e32 vcc, v16, v18
	v_cndmask_b32_e32 v18, v18, v16, vcc
	v_cmp_lt_u32_e32 vcc, 31, v15
	v_cndmask_b32_e32 v18, v16, v18, vcc
	v_or_b32_e32 v16, 63, v0
	v_cmp_eq_u32_e32 vcc, v0, v16
	s_and_saveexec_b64 s[4:5], vcc
; %bb.31:
	v_lshlrev_b32_e32 v16, 2, v19
	ds_write_b32 v16, v18
; %bb.32:
	s_or_b64 exec, exec, s[4:5]
	v_cmp_gt_u32_e32 vcc, 4, v0
	s_waitcnt lgkmcnt(0)
	s_barrier
	s_and_saveexec_b64 s[36:37], vcc
	s_cbranch_execz .LBB152_34
; %bb.33:
	ds_read_b32 v16, v17
	v_and_b32_e32 v20, 3, v15
	v_cmp_eq_u32_e32 vcc, 0, v20
	s_waitcnt lgkmcnt(0)
	v_mov_b32_dpp v21, v16 row_shr:1 row_mask:0xf bank_mask:0xf
	v_cmp_gt_f32_e64 s[4:5], v16, v21
	s_or_b64 vcc, vcc, s[4:5]
	v_cndmask_b32_e32 v16, v21, v16, vcc
	s_nop 1
	v_mov_b32_dpp v21, v16 row_shr:2 row_mask:0xf bank_mask:0xf
	v_cmp_gt_f32_e32 vcc, v16, v21
	v_cndmask_b32_e32 v21, v21, v16, vcc
	v_cmp_lt_u32_e32 vcc, 1, v20
	v_cndmask_b32_e32 v16, v16, v21, vcc
	ds_write_b32 v17, v16
.LBB152_34:
	s_or_b64 exec, exec, s[36:37]
	v_mul_u32_u24_e32 v16, 56, v0
	v_cmp_lt_u32_e32 vcc, 63, v0
	v_mov_b32_e32 v20, s33
	s_waitcnt lgkmcnt(0)
	s_barrier
	s_and_saveexec_b64 s[4:5], vcc
	s_cbranch_execz .LBB152_36
; %bb.35:
	v_lshl_add_u32 v19, v19, 2, -4
	ds_read_b32 v19, v19
	v_mov_b32_e32 v20, s33
	s_waitcnt lgkmcnt(0)
	v_cmp_lt_f32_e32 vcc, s33, v19
	v_cndmask_b32_e32 v20, v20, v19, vcc
.LBB152_36:
	s_or_b64 exec, exec, s[4:5]
	v_cmp_lt_f32_e32 vcc, v20, v18
	v_cndmask_b32_e32 v18, v20, v18, vcc
	v_subrev_co_u32_e32 v19, vcc, 1, v15
	v_and_b32_e32 v21, 64, v15
	v_cmp_lt_i32_e64 s[4:5], v19, v21
	v_cndmask_b32_e64 v15, v19, v15, s[4:5]
	v_lshlrev_b32_e32 v15, 2, v15
	ds_bpermute_b32 v15, v15, v18
	v_mov_b32_e32 v18, s33
	s_waitcnt lgkmcnt(0)
	s_barrier
	v_cndmask_b32_e32 v15, v15, v20, vcc
	v_cmp_eq_u32_e32 vcc, 0, v0
	v_cndmask_b32_e32 v0, v15, v18, vcc
	v_cmp_lt_f32_e32 vcc, v0, v13
	v_cndmask_b32_e32 v13, v0, v13, vcc
	v_cmp_lt_f32_e32 vcc, v13, v14
	;; [unrolled: 2-line block ×14, first 2 shown]
	v_add_u32_e32 v15, v17, v16
	v_cndmask_b32_e32 v2, v1, v2, vcc
	ds_write2_b32 v15, v0, v13 offset1:1
	ds_write2_b32 v15, v14, v11 offset0:2 offset1:3
	ds_write2_b32 v15, v12, v9 offset0:4 offset1:5
	;; [unrolled: 1-line block ×6, first 2 shown]
	ds_write_b32 v15, v2 offset:56
	s_waitcnt lgkmcnt(0)
	s_barrier
	ds_read2st64_b32 v[14:15], v17 offset0:4 offset1:8
	ds_read2st64_b32 v[12:13], v17 offset0:12 offset1:16
	;; [unrolled: 1-line block ×7, first 2 shown]
	v_mov_b32_e32 v3, s35
	v_add_co_u32_e32 v2, vcc, s34, v17
	v_addc_co_u32_e32 v3, vcc, 0, v3, vcc
	s_and_saveexec_b64 s[4:5], s[0:1]
	s_cbranch_execnz .LBB152_52
; %bb.37:
	s_or_b64 exec, exec, s[4:5]
	s_and_saveexec_b64 s[0:1], s[2:3]
	s_cbranch_execnz .LBB152_53
.LBB152_38:
	s_or_b64 exec, exec, s[0:1]
	s_and_saveexec_b64 s[0:1], s[20:21]
	s_cbranch_execnz .LBB152_54
.LBB152_39:
	s_or_b64 exec, exec, s[0:1]
	s_and_saveexec_b64 s[0:1], s[6:7]
	s_cbranch_execnz .LBB152_55
.LBB152_40:
	s_or_b64 exec, exec, s[0:1]
	s_and_saveexec_b64 s[0:1], s[8:9]
	s_cbranch_execnz .LBB152_56
.LBB152_41:
	s_or_b64 exec, exec, s[0:1]
	s_and_saveexec_b64 s[0:1], s[10:11]
	s_cbranch_execnz .LBB152_57
.LBB152_42:
	s_or_b64 exec, exec, s[0:1]
	s_and_saveexec_b64 s[0:1], s[12:13]
	s_cbranch_execnz .LBB152_58
.LBB152_43:
	s_or_b64 exec, exec, s[0:1]
	s_and_saveexec_b64 s[0:1], s[14:15]
	s_cbranch_execnz .LBB152_59
.LBB152_44:
	s_or_b64 exec, exec, s[0:1]
	s_and_saveexec_b64 s[0:1], s[16:17]
	s_cbranch_execnz .LBB152_60
.LBB152_45:
	s_or_b64 exec, exec, s[0:1]
	s_and_saveexec_b64 s[0:1], s[18:19]
	s_cbranch_execnz .LBB152_61
.LBB152_46:
	s_or_b64 exec, exec, s[0:1]
	s_and_saveexec_b64 s[0:1], s[22:23]
	s_cbranch_execnz .LBB152_62
.LBB152_47:
	s_or_b64 exec, exec, s[0:1]
	s_and_saveexec_b64 s[0:1], s[24:25]
	s_cbranch_execnz .LBB152_63
.LBB152_48:
	s_or_b64 exec, exec, s[0:1]
	s_and_saveexec_b64 s[0:1], s[26:27]
	s_cbranch_execnz .LBB152_64
.LBB152_49:
	s_or_b64 exec, exec, s[0:1]
	s_and_saveexec_b64 s[0:1], s[28:29]
	s_cbranch_execnz .LBB152_65
.LBB152_50:
	s_or_b64 exec, exec, s[0:1]
	s_and_saveexec_b64 s[0:1], s[30:31]
	s_cbranch_execnz .LBB152_66
.LBB152_51:
	s_endpgm
.LBB152_52:
	ds_read_b32 v16, v17
	s_waitcnt lgkmcnt(0)
	global_store_dword v[2:3], v16, off
	s_or_b64 exec, exec, s[4:5]
	s_and_saveexec_b64 s[0:1], s[2:3]
	s_cbranch_execz .LBB152_38
.LBB152_53:
	s_waitcnt lgkmcnt(6)
	global_store_dword v[2:3], v14, off offset:1024
	s_or_b64 exec, exec, s[0:1]
	s_and_saveexec_b64 s[0:1], s[20:21]
	s_cbranch_execz .LBB152_39
.LBB152_54:
	s_waitcnt lgkmcnt(6)
	global_store_dword v[2:3], v15, off offset:2048
	s_or_b64 exec, exec, s[0:1]
	s_and_saveexec_b64 s[0:1], s[6:7]
	s_cbranch_execz .LBB152_40
.LBB152_55:
	s_waitcnt lgkmcnt(5)
	global_store_dword v[2:3], v12, off offset:3072
	s_or_b64 exec, exec, s[0:1]
	s_and_saveexec_b64 s[0:1], s[8:9]
	s_cbranch_execz .LBB152_41
.LBB152_56:
	s_waitcnt lgkmcnt(6)
	v_add_co_u32_e32 v14, vcc, 0x1000, v2
	v_addc_co_u32_e32 v15, vcc, 0, v3, vcc
	s_waitcnt lgkmcnt(5)
	global_store_dword v[14:15], v13, off
	s_or_b64 exec, exec, s[0:1]
	s_and_saveexec_b64 s[0:1], s[10:11]
	s_cbranch_execz .LBB152_42
.LBB152_57:
	s_waitcnt lgkmcnt(5)
	v_add_co_u32_e32 v12, vcc, 0x1000, v2
	v_addc_co_u32_e32 v13, vcc, 0, v3, vcc
	s_waitcnt lgkmcnt(4)
	global_store_dword v[12:13], v10, off offset:1024
	s_or_b64 exec, exec, s[0:1]
	s_and_saveexec_b64 s[0:1], s[12:13]
	s_cbranch_execz .LBB152_43
.LBB152_58:
	s_waitcnt lgkmcnt(5)
	v_add_co_u32_e32 v12, vcc, 0x1000, v2
	v_addc_co_u32_e32 v13, vcc, 0, v3, vcc
	s_waitcnt lgkmcnt(4)
	global_store_dword v[12:13], v11, off offset:2048
	s_or_b64 exec, exec, s[0:1]
	s_and_saveexec_b64 s[0:1], s[14:15]
	s_cbranch_execz .LBB152_44
.LBB152_59:
	s_waitcnt lgkmcnt(4)
	v_add_co_u32_e32 v10, vcc, 0x1000, v2
	v_addc_co_u32_e32 v11, vcc, 0, v3, vcc
	s_waitcnt lgkmcnt(3)
	global_store_dword v[10:11], v8, off offset:3072
	s_or_b64 exec, exec, s[0:1]
	s_and_saveexec_b64 s[0:1], s[16:17]
	s_cbranch_execz .LBB152_45
.LBB152_60:
	s_waitcnt lgkmcnt(4)
	v_add_co_u32_e32 v10, vcc, 0x2000, v2
	v_addc_co_u32_e32 v11, vcc, 0, v3, vcc
	s_waitcnt lgkmcnt(3)
	global_store_dword v[10:11], v9, off
	s_or_b64 exec, exec, s[0:1]
	s_and_saveexec_b64 s[0:1], s[18:19]
	s_cbranch_execz .LBB152_46
.LBB152_61:
	s_waitcnt lgkmcnt(3)
	v_add_co_u32_e32 v8, vcc, 0x2000, v2
	v_addc_co_u32_e32 v9, vcc, 0, v3, vcc
	s_waitcnt lgkmcnt(2)
	global_store_dword v[8:9], v6, off offset:1024
	s_or_b64 exec, exec, s[0:1]
	s_and_saveexec_b64 s[0:1], s[22:23]
	s_cbranch_execz .LBB152_47
.LBB152_62:
	s_waitcnt lgkmcnt(3)
	v_add_co_u32_e32 v8, vcc, 0x2000, v2
	v_addc_co_u32_e32 v9, vcc, 0, v3, vcc
	s_waitcnt lgkmcnt(2)
	global_store_dword v[8:9], v7, off offset:2048
	s_or_b64 exec, exec, s[0:1]
	s_and_saveexec_b64 s[0:1], s[24:25]
	s_cbranch_execz .LBB152_48
.LBB152_63:
	s_waitcnt lgkmcnt(2)
	v_add_co_u32_e32 v6, vcc, 0x2000, v2
	v_addc_co_u32_e32 v7, vcc, 0, v3, vcc
	s_waitcnt lgkmcnt(1)
	global_store_dword v[6:7], v4, off offset:3072
	s_or_b64 exec, exec, s[0:1]
	s_and_saveexec_b64 s[0:1], s[26:27]
	s_cbranch_execz .LBB152_49
.LBB152_64:
	s_waitcnt lgkmcnt(2)
	v_add_co_u32_e32 v6, vcc, 0x3000, v2
	v_addc_co_u32_e32 v7, vcc, 0, v3, vcc
	s_waitcnt lgkmcnt(1)
	global_store_dword v[6:7], v5, off
	s_or_b64 exec, exec, s[0:1]
	s_and_saveexec_b64 s[0:1], s[28:29]
	s_cbranch_execz .LBB152_50
.LBB152_65:
	s_waitcnt lgkmcnt(1)
	v_add_co_u32_e32 v4, vcc, 0x3000, v2
	v_addc_co_u32_e32 v5, vcc, 0, v3, vcc
	s_waitcnt lgkmcnt(0)
	global_store_dword v[4:5], v0, off offset:1024
	s_or_b64 exec, exec, s[0:1]
	s_and_saveexec_b64 s[0:1], s[30:31]
	s_cbranch_execz .LBB152_51
.LBB152_66:
	v_add_co_u32_e32 v2, vcc, 0x3000, v2
	v_addc_co_u32_e32 v3, vcc, 0, v3, vcc
	s_waitcnt lgkmcnt(0)
	global_store_dword v[2:3], v1, off offset:2048
	s_endpgm
	.section	.rodata,"a",@progbits
	.p2align	6, 0x0
	.amdhsa_kernel _ZN7rocprim6detail18single_scan_kernelILb1ENS0_19wrapped_scan_configINS_14default_configEfEEN6hipcub22TransformInputIteratorIsNS5_6CastOpIsEEPslEEPfNS5_3MaxENS_12future_valueIfSB_EEfEEvT1_mT4_T2_T3_
		.amdhsa_group_segment_fixed_size 15360
		.amdhsa_private_segment_fixed_size 0
		.amdhsa_kernarg_size 44
		.amdhsa_user_sgpr_count 6
		.amdhsa_user_sgpr_private_segment_buffer 1
		.amdhsa_user_sgpr_dispatch_ptr 0
		.amdhsa_user_sgpr_queue_ptr 0
		.amdhsa_user_sgpr_kernarg_segment_ptr 1
		.amdhsa_user_sgpr_dispatch_id 0
		.amdhsa_user_sgpr_flat_scratch_init 0
		.amdhsa_user_sgpr_private_segment_size 0
		.amdhsa_uses_dynamic_stack 0
		.amdhsa_system_sgpr_private_segment_wavefront_offset 0
		.amdhsa_system_sgpr_workgroup_id_x 1
		.amdhsa_system_sgpr_workgroup_id_y 0
		.amdhsa_system_sgpr_workgroup_id_z 0
		.amdhsa_system_sgpr_workgroup_info 0
		.amdhsa_system_vgpr_workitem_id 0
		.amdhsa_next_free_vgpr 49
		.amdhsa_next_free_sgpr 98
		.amdhsa_reserve_vcc 1
		.amdhsa_reserve_flat_scratch 0
		.amdhsa_float_round_mode_32 0
		.amdhsa_float_round_mode_16_64 0
		.amdhsa_float_denorm_mode_32 3
		.amdhsa_float_denorm_mode_16_64 3
		.amdhsa_dx10_clamp 1
		.amdhsa_ieee_mode 1
		.amdhsa_fp16_overflow 0
		.amdhsa_exception_fp_ieee_invalid_op 0
		.amdhsa_exception_fp_denorm_src 0
		.amdhsa_exception_fp_ieee_div_zero 0
		.amdhsa_exception_fp_ieee_overflow 0
		.amdhsa_exception_fp_ieee_underflow 0
		.amdhsa_exception_fp_ieee_inexact 0
		.amdhsa_exception_int_div_zero 0
	.end_amdhsa_kernel
	.section	.text._ZN7rocprim6detail18single_scan_kernelILb1ENS0_19wrapped_scan_configINS_14default_configEfEEN6hipcub22TransformInputIteratorIsNS5_6CastOpIsEEPslEEPfNS5_3MaxENS_12future_valueIfSB_EEfEEvT1_mT4_T2_T3_,"axG",@progbits,_ZN7rocprim6detail18single_scan_kernelILb1ENS0_19wrapped_scan_configINS_14default_configEfEEN6hipcub22TransformInputIteratorIsNS5_6CastOpIsEEPslEEPfNS5_3MaxENS_12future_valueIfSB_EEfEEvT1_mT4_T2_T3_,comdat
.Lfunc_end152:
	.size	_ZN7rocprim6detail18single_scan_kernelILb1ENS0_19wrapped_scan_configINS_14default_configEfEEN6hipcub22TransformInputIteratorIsNS5_6CastOpIsEEPslEEPfNS5_3MaxENS_12future_valueIfSB_EEfEEvT1_mT4_T2_T3_, .Lfunc_end152-_ZN7rocprim6detail18single_scan_kernelILb1ENS0_19wrapped_scan_configINS_14default_configEfEEN6hipcub22TransformInputIteratorIsNS5_6CastOpIsEEPslEEPfNS5_3MaxENS_12future_valueIfSB_EEfEEvT1_mT4_T2_T3_
                                        ; -- End function
	.set _ZN7rocprim6detail18single_scan_kernelILb1ENS0_19wrapped_scan_configINS_14default_configEfEEN6hipcub22TransformInputIteratorIsNS5_6CastOpIsEEPslEEPfNS5_3MaxENS_12future_valueIfSB_EEfEEvT1_mT4_T2_T3_.num_vgpr, 22
	.set _ZN7rocprim6detail18single_scan_kernelILb1ENS0_19wrapped_scan_configINS_14default_configEfEEN6hipcub22TransformInputIteratorIsNS5_6CastOpIsEEPslEEPfNS5_3MaxENS_12future_valueIfSB_EEfEEvT1_mT4_T2_T3_.num_agpr, 0
	.set _ZN7rocprim6detail18single_scan_kernelILb1ENS0_19wrapped_scan_configINS_14default_configEfEEN6hipcub22TransformInputIteratorIsNS5_6CastOpIsEEPslEEPfNS5_3MaxENS_12future_valueIfSB_EEfEEvT1_mT4_T2_T3_.numbered_sgpr, 40
	.set _ZN7rocprim6detail18single_scan_kernelILb1ENS0_19wrapped_scan_configINS_14default_configEfEEN6hipcub22TransformInputIteratorIsNS5_6CastOpIsEEPslEEPfNS5_3MaxENS_12future_valueIfSB_EEfEEvT1_mT4_T2_T3_.num_named_barrier, 0
	.set _ZN7rocprim6detail18single_scan_kernelILb1ENS0_19wrapped_scan_configINS_14default_configEfEEN6hipcub22TransformInputIteratorIsNS5_6CastOpIsEEPslEEPfNS5_3MaxENS_12future_valueIfSB_EEfEEvT1_mT4_T2_T3_.private_seg_size, 0
	.set _ZN7rocprim6detail18single_scan_kernelILb1ENS0_19wrapped_scan_configINS_14default_configEfEEN6hipcub22TransformInputIteratorIsNS5_6CastOpIsEEPslEEPfNS5_3MaxENS_12future_valueIfSB_EEfEEvT1_mT4_T2_T3_.uses_vcc, 1
	.set _ZN7rocprim6detail18single_scan_kernelILb1ENS0_19wrapped_scan_configINS_14default_configEfEEN6hipcub22TransformInputIteratorIsNS5_6CastOpIsEEPslEEPfNS5_3MaxENS_12future_valueIfSB_EEfEEvT1_mT4_T2_T3_.uses_flat_scratch, 0
	.set _ZN7rocprim6detail18single_scan_kernelILb1ENS0_19wrapped_scan_configINS_14default_configEfEEN6hipcub22TransformInputIteratorIsNS5_6CastOpIsEEPslEEPfNS5_3MaxENS_12future_valueIfSB_EEfEEvT1_mT4_T2_T3_.has_dyn_sized_stack, 0
	.set _ZN7rocprim6detail18single_scan_kernelILb1ENS0_19wrapped_scan_configINS_14default_configEfEEN6hipcub22TransformInputIteratorIsNS5_6CastOpIsEEPslEEPfNS5_3MaxENS_12future_valueIfSB_EEfEEvT1_mT4_T2_T3_.has_recursion, 0
	.set _ZN7rocprim6detail18single_scan_kernelILb1ENS0_19wrapped_scan_configINS_14default_configEfEEN6hipcub22TransformInputIteratorIsNS5_6CastOpIsEEPslEEPfNS5_3MaxENS_12future_valueIfSB_EEfEEvT1_mT4_T2_T3_.has_indirect_call, 0
	.section	.AMDGPU.csdata,"",@progbits
; Kernel info:
; codeLenInByte = 2768
; TotalNumSgprs: 44
; NumVgprs: 22
; ScratchSize: 0
; MemoryBound: 0
; FloatMode: 240
; IeeeMode: 1
; LDSByteSize: 15360 bytes/workgroup (compile time only)
; SGPRBlocks: 12
; VGPRBlocks: 12
; NumSGPRsForWavesPerEU: 102
; NumVGPRsForWavesPerEU: 49
; Occupancy: 4
; WaveLimiterHint : 0
; COMPUTE_PGM_RSRC2:SCRATCH_EN: 0
; COMPUTE_PGM_RSRC2:USER_SGPR: 6
; COMPUTE_PGM_RSRC2:TRAP_HANDLER: 0
; COMPUTE_PGM_RSRC2:TGID_X_EN: 1
; COMPUTE_PGM_RSRC2:TGID_Y_EN: 0
; COMPUTE_PGM_RSRC2:TGID_Z_EN: 0
; COMPUTE_PGM_RSRC2:TIDIG_COMP_CNT: 0
	.section	.text._ZL18fill_initial_valueIfEvPT_S0_,"axG",@progbits,_ZL18fill_initial_valueIfEvPT_S0_,comdat
	.globl	_ZL18fill_initial_valueIfEvPT_S0_ ; -- Begin function _ZL18fill_initial_valueIfEvPT_S0_
	.p2align	8
	.type	_ZL18fill_initial_valueIfEvPT_S0_,@function
_ZL18fill_initial_valueIfEvPT_S0_:      ; @_ZL18fill_initial_valueIfEvPT_S0_
; %bb.0:
	s_load_dword s2, s[4:5], 0x8
	s_load_dwordx2 s[0:1], s[4:5], 0x0
	v_mov_b32_e32 v0, 0
	s_waitcnt lgkmcnt(0)
	v_mov_b32_e32 v1, s2
	global_store_dword v0, v1, s[0:1]
	s_endpgm
	.section	.rodata,"a",@progbits
	.p2align	6, 0x0
	.amdhsa_kernel _ZL18fill_initial_valueIfEvPT_S0_
		.amdhsa_group_segment_fixed_size 0
		.amdhsa_private_segment_fixed_size 0
		.amdhsa_kernarg_size 12
		.amdhsa_user_sgpr_count 6
		.amdhsa_user_sgpr_private_segment_buffer 1
		.amdhsa_user_sgpr_dispatch_ptr 0
		.amdhsa_user_sgpr_queue_ptr 0
		.amdhsa_user_sgpr_kernarg_segment_ptr 1
		.amdhsa_user_sgpr_dispatch_id 0
		.amdhsa_user_sgpr_flat_scratch_init 0
		.amdhsa_user_sgpr_private_segment_size 0
		.amdhsa_uses_dynamic_stack 0
		.amdhsa_system_sgpr_private_segment_wavefront_offset 0
		.amdhsa_system_sgpr_workgroup_id_x 1
		.amdhsa_system_sgpr_workgroup_id_y 0
		.amdhsa_system_sgpr_workgroup_id_z 0
		.amdhsa_system_sgpr_workgroup_info 0
		.amdhsa_system_vgpr_workitem_id 0
		.amdhsa_next_free_vgpr 2
		.amdhsa_next_free_sgpr 6
		.amdhsa_reserve_vcc 0
		.amdhsa_reserve_flat_scratch 0
		.amdhsa_float_round_mode_32 0
		.amdhsa_float_round_mode_16_64 0
		.amdhsa_float_denorm_mode_32 3
		.amdhsa_float_denorm_mode_16_64 3
		.amdhsa_dx10_clamp 1
		.amdhsa_ieee_mode 1
		.amdhsa_fp16_overflow 0
		.amdhsa_exception_fp_ieee_invalid_op 0
		.amdhsa_exception_fp_denorm_src 0
		.amdhsa_exception_fp_ieee_div_zero 0
		.amdhsa_exception_fp_ieee_overflow 0
		.amdhsa_exception_fp_ieee_underflow 0
		.amdhsa_exception_fp_ieee_inexact 0
		.amdhsa_exception_int_div_zero 0
	.end_amdhsa_kernel
	.section	.text._ZL18fill_initial_valueIfEvPT_S0_,"axG",@progbits,_ZL18fill_initial_valueIfEvPT_S0_,comdat
.Lfunc_end153:
	.size	_ZL18fill_initial_valueIfEvPT_S0_, .Lfunc_end153-_ZL18fill_initial_valueIfEvPT_S0_
                                        ; -- End function
	.set _ZL18fill_initial_valueIfEvPT_S0_.num_vgpr, 2
	.set _ZL18fill_initial_valueIfEvPT_S0_.num_agpr, 0
	.set _ZL18fill_initial_valueIfEvPT_S0_.numbered_sgpr, 6
	.set _ZL18fill_initial_valueIfEvPT_S0_.num_named_barrier, 0
	.set _ZL18fill_initial_valueIfEvPT_S0_.private_seg_size, 0
	.set _ZL18fill_initial_valueIfEvPT_S0_.uses_vcc, 0
	.set _ZL18fill_initial_valueIfEvPT_S0_.uses_flat_scratch, 0
	.set _ZL18fill_initial_valueIfEvPT_S0_.has_dyn_sized_stack, 0
	.set _ZL18fill_initial_valueIfEvPT_S0_.has_recursion, 0
	.set _ZL18fill_initial_valueIfEvPT_S0_.has_indirect_call, 0
	.section	.AMDGPU.csdata,"",@progbits
; Kernel info:
; codeLenInByte = 40
; TotalNumSgprs: 10
; NumVgprs: 2
; ScratchSize: 0
; MemoryBound: 0
; FloatMode: 240
; IeeeMode: 1
; LDSByteSize: 0 bytes/workgroup (compile time only)
; SGPRBlocks: 1
; VGPRBlocks: 0
; NumSGPRsForWavesPerEU: 10
; NumVGPRsForWavesPerEU: 2
; Occupancy: 10
; WaveLimiterHint : 0
; COMPUTE_PGM_RSRC2:SCRATCH_EN: 0
; COMPUTE_PGM_RSRC2:USER_SGPR: 6
; COMPUTE_PGM_RSRC2:TRAP_HANDLER: 0
; COMPUTE_PGM_RSRC2:TGID_X_EN: 1
; COMPUTE_PGM_RSRC2:TGID_Y_EN: 0
; COMPUTE_PGM_RSRC2:TGID_Z_EN: 0
; COMPUTE_PGM_RSRC2:TIDIG_COMP_CNT: 0
	.section	.text._ZN7rocprim6detail20lookback_scan_kernelILNS0_25lookback_scan_determinismE0ELb1ENS0_19wrapped_scan_configINS_14default_configEmEEN6hipcub22TransformInputIteratorImNS6_6CastOpImEEPmlEESA_NS6_3SumENS_12future_valueImSA_EEmNS0_19lookback_scan_stateImLb1ELb1EEEEEvT2_T3_mT5_T4_T7_jPT6_SN_bb,"axG",@progbits,_ZN7rocprim6detail20lookback_scan_kernelILNS0_25lookback_scan_determinismE0ELb1ENS0_19wrapped_scan_configINS_14default_configEmEEN6hipcub22TransformInputIteratorImNS6_6CastOpImEEPmlEESA_NS6_3SumENS_12future_valueImSA_EEmNS0_19lookback_scan_stateImLb1ELb1EEEEEvT2_T3_mT5_T4_T7_jPT6_SN_bb,comdat
	.protected	_ZN7rocprim6detail20lookback_scan_kernelILNS0_25lookback_scan_determinismE0ELb1ENS0_19wrapped_scan_configINS_14default_configEmEEN6hipcub22TransformInputIteratorImNS6_6CastOpImEEPmlEESA_NS6_3SumENS_12future_valueImSA_EEmNS0_19lookback_scan_stateImLb1ELb1EEEEEvT2_T3_mT5_T4_T7_jPT6_SN_bb ; -- Begin function _ZN7rocprim6detail20lookback_scan_kernelILNS0_25lookback_scan_determinismE0ELb1ENS0_19wrapped_scan_configINS_14default_configEmEEN6hipcub22TransformInputIteratorImNS6_6CastOpImEEPmlEESA_NS6_3SumENS_12future_valueImSA_EEmNS0_19lookback_scan_stateImLb1ELb1EEEEEvT2_T3_mT5_T4_T7_jPT6_SN_bb
	.globl	_ZN7rocprim6detail20lookback_scan_kernelILNS0_25lookback_scan_determinismE0ELb1ENS0_19wrapped_scan_configINS_14default_configEmEEN6hipcub22TransformInputIteratorImNS6_6CastOpImEEPmlEESA_NS6_3SumENS_12future_valueImSA_EEmNS0_19lookback_scan_stateImLb1ELb1EEEEEvT2_T3_mT5_T4_T7_jPT6_SN_bb
	.p2align	8
	.type	_ZN7rocprim6detail20lookback_scan_kernelILNS0_25lookback_scan_determinismE0ELb1ENS0_19wrapped_scan_configINS_14default_configEmEEN6hipcub22TransformInputIteratorImNS6_6CastOpImEEPmlEESA_NS6_3SumENS_12future_valueImSA_EEmNS0_19lookback_scan_stateImLb1ELb1EEEEEvT2_T3_mT5_T4_T7_jPT6_SN_bb,@function
_ZN7rocprim6detail20lookback_scan_kernelILNS0_25lookback_scan_determinismE0ELb1ENS0_19wrapped_scan_configINS_14default_configEmEEN6hipcub22TransformInputIteratorImNS6_6CastOpImEEPmlEESA_NS6_3SumENS_12future_valueImSA_EEmNS0_19lookback_scan_stateImLb1ELb1EEEEEvT2_T3_mT5_T4_T7_jPT6_SN_bb: ; @_ZN7rocprim6detail20lookback_scan_kernelILNS0_25lookback_scan_determinismE0ELb1ENS0_19wrapped_scan_configINS_14default_configEmEEN6hipcub22TransformInputIteratorImNS6_6CastOpImEEPmlEESA_NS6_3SumENS_12future_valueImSA_EEmNS0_19lookback_scan_stateImLb1ELb1EEEEEvT2_T3_mT5_T4_T7_jPT6_SN_bb
; %bb.0:
	s_endpgm
	.section	.rodata,"a",@progbits
	.p2align	6, 0x0
	.amdhsa_kernel _ZN7rocprim6detail20lookback_scan_kernelILNS0_25lookback_scan_determinismE0ELb1ENS0_19wrapped_scan_configINS_14default_configEmEEN6hipcub22TransformInputIteratorImNS6_6CastOpImEEPmlEESA_NS6_3SumENS_12future_valueImSA_EEmNS0_19lookback_scan_stateImLb1ELb1EEEEEvT2_T3_mT5_T4_T7_jPT6_SN_bb
		.amdhsa_group_segment_fixed_size 0
		.amdhsa_private_segment_fixed_size 0
		.amdhsa_kernarg_size 84
		.amdhsa_user_sgpr_count 6
		.amdhsa_user_sgpr_private_segment_buffer 1
		.amdhsa_user_sgpr_dispatch_ptr 0
		.amdhsa_user_sgpr_queue_ptr 0
		.amdhsa_user_sgpr_kernarg_segment_ptr 1
		.amdhsa_user_sgpr_dispatch_id 0
		.amdhsa_user_sgpr_flat_scratch_init 0
		.amdhsa_user_sgpr_private_segment_size 0
		.amdhsa_uses_dynamic_stack 0
		.amdhsa_system_sgpr_private_segment_wavefront_offset 0
		.amdhsa_system_sgpr_workgroup_id_x 1
		.amdhsa_system_sgpr_workgroup_id_y 0
		.amdhsa_system_sgpr_workgroup_id_z 0
		.amdhsa_system_sgpr_workgroup_info 0
		.amdhsa_system_vgpr_workitem_id 0
		.amdhsa_next_free_vgpr 1
		.amdhsa_next_free_sgpr 0
		.amdhsa_reserve_vcc 0
		.amdhsa_reserve_flat_scratch 0
		.amdhsa_float_round_mode_32 0
		.amdhsa_float_round_mode_16_64 0
		.amdhsa_float_denorm_mode_32 3
		.amdhsa_float_denorm_mode_16_64 3
		.amdhsa_dx10_clamp 1
		.amdhsa_ieee_mode 1
		.amdhsa_fp16_overflow 0
		.amdhsa_exception_fp_ieee_invalid_op 0
		.amdhsa_exception_fp_denorm_src 0
		.amdhsa_exception_fp_ieee_div_zero 0
		.amdhsa_exception_fp_ieee_overflow 0
		.amdhsa_exception_fp_ieee_underflow 0
		.amdhsa_exception_fp_ieee_inexact 0
		.amdhsa_exception_int_div_zero 0
	.end_amdhsa_kernel
	.section	.text._ZN7rocprim6detail20lookback_scan_kernelILNS0_25lookback_scan_determinismE0ELb1ENS0_19wrapped_scan_configINS_14default_configEmEEN6hipcub22TransformInputIteratorImNS6_6CastOpImEEPmlEESA_NS6_3SumENS_12future_valueImSA_EEmNS0_19lookback_scan_stateImLb1ELb1EEEEEvT2_T3_mT5_T4_T7_jPT6_SN_bb,"axG",@progbits,_ZN7rocprim6detail20lookback_scan_kernelILNS0_25lookback_scan_determinismE0ELb1ENS0_19wrapped_scan_configINS_14default_configEmEEN6hipcub22TransformInputIteratorImNS6_6CastOpImEEPmlEESA_NS6_3SumENS_12future_valueImSA_EEmNS0_19lookback_scan_stateImLb1ELb1EEEEEvT2_T3_mT5_T4_T7_jPT6_SN_bb,comdat
.Lfunc_end154:
	.size	_ZN7rocprim6detail20lookback_scan_kernelILNS0_25lookback_scan_determinismE0ELb1ENS0_19wrapped_scan_configINS_14default_configEmEEN6hipcub22TransformInputIteratorImNS6_6CastOpImEEPmlEESA_NS6_3SumENS_12future_valueImSA_EEmNS0_19lookback_scan_stateImLb1ELb1EEEEEvT2_T3_mT5_T4_T7_jPT6_SN_bb, .Lfunc_end154-_ZN7rocprim6detail20lookback_scan_kernelILNS0_25lookback_scan_determinismE0ELb1ENS0_19wrapped_scan_configINS_14default_configEmEEN6hipcub22TransformInputIteratorImNS6_6CastOpImEEPmlEESA_NS6_3SumENS_12future_valueImSA_EEmNS0_19lookback_scan_stateImLb1ELb1EEEEEvT2_T3_mT5_T4_T7_jPT6_SN_bb
                                        ; -- End function
	.set _ZN7rocprim6detail20lookback_scan_kernelILNS0_25lookback_scan_determinismE0ELb1ENS0_19wrapped_scan_configINS_14default_configEmEEN6hipcub22TransformInputIteratorImNS6_6CastOpImEEPmlEESA_NS6_3SumENS_12future_valueImSA_EEmNS0_19lookback_scan_stateImLb1ELb1EEEEEvT2_T3_mT5_T4_T7_jPT6_SN_bb.num_vgpr, 0
	.set _ZN7rocprim6detail20lookback_scan_kernelILNS0_25lookback_scan_determinismE0ELb1ENS0_19wrapped_scan_configINS_14default_configEmEEN6hipcub22TransformInputIteratorImNS6_6CastOpImEEPmlEESA_NS6_3SumENS_12future_valueImSA_EEmNS0_19lookback_scan_stateImLb1ELb1EEEEEvT2_T3_mT5_T4_T7_jPT6_SN_bb.num_agpr, 0
	.set _ZN7rocprim6detail20lookback_scan_kernelILNS0_25lookback_scan_determinismE0ELb1ENS0_19wrapped_scan_configINS_14default_configEmEEN6hipcub22TransformInputIteratorImNS6_6CastOpImEEPmlEESA_NS6_3SumENS_12future_valueImSA_EEmNS0_19lookback_scan_stateImLb1ELb1EEEEEvT2_T3_mT5_T4_T7_jPT6_SN_bb.numbered_sgpr, 0
	.set _ZN7rocprim6detail20lookback_scan_kernelILNS0_25lookback_scan_determinismE0ELb1ENS0_19wrapped_scan_configINS_14default_configEmEEN6hipcub22TransformInputIteratorImNS6_6CastOpImEEPmlEESA_NS6_3SumENS_12future_valueImSA_EEmNS0_19lookback_scan_stateImLb1ELb1EEEEEvT2_T3_mT5_T4_T7_jPT6_SN_bb.num_named_barrier, 0
	.set _ZN7rocprim6detail20lookback_scan_kernelILNS0_25lookback_scan_determinismE0ELb1ENS0_19wrapped_scan_configINS_14default_configEmEEN6hipcub22TransformInputIteratorImNS6_6CastOpImEEPmlEESA_NS6_3SumENS_12future_valueImSA_EEmNS0_19lookback_scan_stateImLb1ELb1EEEEEvT2_T3_mT5_T4_T7_jPT6_SN_bb.private_seg_size, 0
	.set _ZN7rocprim6detail20lookback_scan_kernelILNS0_25lookback_scan_determinismE0ELb1ENS0_19wrapped_scan_configINS_14default_configEmEEN6hipcub22TransformInputIteratorImNS6_6CastOpImEEPmlEESA_NS6_3SumENS_12future_valueImSA_EEmNS0_19lookback_scan_stateImLb1ELb1EEEEEvT2_T3_mT5_T4_T7_jPT6_SN_bb.uses_vcc, 0
	.set _ZN7rocprim6detail20lookback_scan_kernelILNS0_25lookback_scan_determinismE0ELb1ENS0_19wrapped_scan_configINS_14default_configEmEEN6hipcub22TransformInputIteratorImNS6_6CastOpImEEPmlEESA_NS6_3SumENS_12future_valueImSA_EEmNS0_19lookback_scan_stateImLb1ELb1EEEEEvT2_T3_mT5_T4_T7_jPT6_SN_bb.uses_flat_scratch, 0
	.set _ZN7rocprim6detail20lookback_scan_kernelILNS0_25lookback_scan_determinismE0ELb1ENS0_19wrapped_scan_configINS_14default_configEmEEN6hipcub22TransformInputIteratorImNS6_6CastOpImEEPmlEESA_NS6_3SumENS_12future_valueImSA_EEmNS0_19lookback_scan_stateImLb1ELb1EEEEEvT2_T3_mT5_T4_T7_jPT6_SN_bb.has_dyn_sized_stack, 0
	.set _ZN7rocprim6detail20lookback_scan_kernelILNS0_25lookback_scan_determinismE0ELb1ENS0_19wrapped_scan_configINS_14default_configEmEEN6hipcub22TransformInputIteratorImNS6_6CastOpImEEPmlEESA_NS6_3SumENS_12future_valueImSA_EEmNS0_19lookback_scan_stateImLb1ELb1EEEEEvT2_T3_mT5_T4_T7_jPT6_SN_bb.has_recursion, 0
	.set _ZN7rocprim6detail20lookback_scan_kernelILNS0_25lookback_scan_determinismE0ELb1ENS0_19wrapped_scan_configINS_14default_configEmEEN6hipcub22TransformInputIteratorImNS6_6CastOpImEEPmlEESA_NS6_3SumENS_12future_valueImSA_EEmNS0_19lookback_scan_stateImLb1ELb1EEEEEvT2_T3_mT5_T4_T7_jPT6_SN_bb.has_indirect_call, 0
	.section	.AMDGPU.csdata,"",@progbits
; Kernel info:
; codeLenInByte = 4
; TotalNumSgprs: 4
; NumVgprs: 0
; ScratchSize: 0
; MemoryBound: 0
; FloatMode: 240
; IeeeMode: 1
; LDSByteSize: 0 bytes/workgroup (compile time only)
; SGPRBlocks: 0
; VGPRBlocks: 0
; NumSGPRsForWavesPerEU: 4
; NumVGPRsForWavesPerEU: 1
; Occupancy: 10
; WaveLimiterHint : 0
; COMPUTE_PGM_RSRC2:SCRATCH_EN: 0
; COMPUTE_PGM_RSRC2:USER_SGPR: 6
; COMPUTE_PGM_RSRC2:TRAP_HANDLER: 0
; COMPUTE_PGM_RSRC2:TGID_X_EN: 1
; COMPUTE_PGM_RSRC2:TGID_Y_EN: 0
; COMPUTE_PGM_RSRC2:TGID_Z_EN: 0
; COMPUTE_PGM_RSRC2:TIDIG_COMP_CNT: 0
	.section	.text._ZN7rocprim6detail20lookback_scan_kernelILNS0_25lookback_scan_determinismE0ELb1ENS0_19wrapped_scan_configINS_14default_configEmEEN6hipcub22TransformInputIteratorImNS6_6CastOpImEEPmlEESA_NS6_3SumENS_12future_valueImSA_EEmNS0_19lookback_scan_stateImLb0ELb1EEEEEvT2_T3_mT5_T4_T7_jPT6_SN_bb,"axG",@progbits,_ZN7rocprim6detail20lookback_scan_kernelILNS0_25lookback_scan_determinismE0ELb1ENS0_19wrapped_scan_configINS_14default_configEmEEN6hipcub22TransformInputIteratorImNS6_6CastOpImEEPmlEESA_NS6_3SumENS_12future_valueImSA_EEmNS0_19lookback_scan_stateImLb0ELb1EEEEEvT2_T3_mT5_T4_T7_jPT6_SN_bb,comdat
	.protected	_ZN7rocprim6detail20lookback_scan_kernelILNS0_25lookback_scan_determinismE0ELb1ENS0_19wrapped_scan_configINS_14default_configEmEEN6hipcub22TransformInputIteratorImNS6_6CastOpImEEPmlEESA_NS6_3SumENS_12future_valueImSA_EEmNS0_19lookback_scan_stateImLb0ELb1EEEEEvT2_T3_mT5_T4_T7_jPT6_SN_bb ; -- Begin function _ZN7rocprim6detail20lookback_scan_kernelILNS0_25lookback_scan_determinismE0ELb1ENS0_19wrapped_scan_configINS_14default_configEmEEN6hipcub22TransformInputIteratorImNS6_6CastOpImEEPmlEESA_NS6_3SumENS_12future_valueImSA_EEmNS0_19lookback_scan_stateImLb0ELb1EEEEEvT2_T3_mT5_T4_T7_jPT6_SN_bb
	.globl	_ZN7rocprim6detail20lookback_scan_kernelILNS0_25lookback_scan_determinismE0ELb1ENS0_19wrapped_scan_configINS_14default_configEmEEN6hipcub22TransformInputIteratorImNS6_6CastOpImEEPmlEESA_NS6_3SumENS_12future_valueImSA_EEmNS0_19lookback_scan_stateImLb0ELb1EEEEEvT2_T3_mT5_T4_T7_jPT6_SN_bb
	.p2align	8
	.type	_ZN7rocprim6detail20lookback_scan_kernelILNS0_25lookback_scan_determinismE0ELb1ENS0_19wrapped_scan_configINS_14default_configEmEEN6hipcub22TransformInputIteratorImNS6_6CastOpImEEPmlEESA_NS6_3SumENS_12future_valueImSA_EEmNS0_19lookback_scan_stateImLb0ELb1EEEEEvT2_T3_mT5_T4_T7_jPT6_SN_bb,@function
_ZN7rocprim6detail20lookback_scan_kernelILNS0_25lookback_scan_determinismE0ELb1ENS0_19wrapped_scan_configINS_14default_configEmEEN6hipcub22TransformInputIteratorImNS6_6CastOpImEEPmlEESA_NS6_3SumENS_12future_valueImSA_EEmNS0_19lookback_scan_stateImLb0ELb1EEEEEvT2_T3_mT5_T4_T7_jPT6_SN_bb: ; @_ZN7rocprim6detail20lookback_scan_kernelILNS0_25lookback_scan_determinismE0ELb1ENS0_19wrapped_scan_configINS_14default_configEmEEN6hipcub22TransformInputIteratorImNS6_6CastOpImEEPmlEESA_NS6_3SumENS_12future_valueImSA_EEmNS0_19lookback_scan_stateImLb0ELb1EEEEEvT2_T3_mT5_T4_T7_jPT6_SN_bb
; %bb.0:
	s_load_dwordx2 s[0:1], s[4:5], 0x20
	s_load_dword s2, s[4:5], 0x38
	s_load_dwordx2 s[14:15], s[4:5], 0x0
	s_load_dwordx4 s[8:11], s[4:5], 0x10
	v_lshlrev_b32_e32 v43, 3, v0
	s_waitcnt lgkmcnt(0)
	s_load_dwordx2 s[16:17], s[0:1], 0x0
	s_add_i32 s2, s2, -1
	s_mul_i32 s3, s2, 0x380
	s_sub_u32 s22, s10, s3
	s_subb_u32 s23, s11, 0
	s_mul_i32 s0, s6, 0x380
	s_mov_b32 s1, 0
	s_cmp_lg_u32 s6, s2
	s_cselect_b64 s[10:11], -1, 0
	s_lshl_b64 s[12:13], s[0:1], 3
	s_add_u32 s18, s14, s12
	s_addc_u32 s19, s15, s13
	s_mov_b64 s[0:1], -1
	s_and_b64 vcc, exec, s[10:11]
	s_cbranch_vccz .LBB155_2
; %bb.1:
	v_mov_b32_e32 v1, s19
	v_add_co_u32_e32 v17, vcc, s18, v43
	v_addc_co_u32_e32 v18, vcc, 0, v1, vcc
	v_add_co_u32_e32 v17, vcc, 0x1000, v17
	v_addc_co_u32_e32 v18, vcc, 0, v18, vcc
	global_load_dwordx2 v[1:2], v43, s[18:19]
	global_load_dwordx2 v[3:4], v43, s[18:19] offset:512
	global_load_dwordx2 v[5:6], v43, s[18:19] offset:1024
	;; [unrolled: 1-line block ×7, first 2 shown]
	global_load_dwordx2 v[19:20], v[17:18], off
	global_load_dwordx2 v[21:22], v[17:18], off offset:512
	global_load_dwordx2 v[23:24], v[17:18], off offset:1024
	;; [unrolled: 1-line block ×5, first 2 shown]
	s_mov_b64 s[0:1], 0
	s_waitcnt vmcnt(12)
	ds_write2st64_b64 v43, v[1:2], v[3:4] offset1:1
	s_waitcnt vmcnt(10)
	ds_write2st64_b64 v43, v[5:6], v[7:8] offset0:2 offset1:3
	s_waitcnt vmcnt(8)
	ds_write2st64_b64 v43, v[9:10], v[11:12] offset0:4 offset1:5
	;; [unrolled: 2-line block ×6, first 2 shown]
	s_waitcnt lgkmcnt(0)
	; wave barrier
.LBB155_2:
	s_andn2_b64 vcc, exec, s[0:1]
	v_cmp_gt_u32_e64 s[0:1], s22, v0
	s_cbranch_vccnz .LBB155_32
; %bb.3:
	s_load_dwordx2 s[2:3], s[18:19], 0x0
	v_mov_b32_e32 v1, s19
	v_add_co_u32_e32 v3, vcc, s18, v43
	v_addc_co_u32_e32 v4, vcc, 0, v1, vcc
	s_waitcnt lgkmcnt(0)
	v_mov_b32_e32 v1, s2
	v_mov_b32_e32 v2, s3
	s_and_saveexec_b64 s[18:19], s[0:1]
	s_cbranch_execz .LBB155_5
; %bb.4:
	global_load_dwordx2 v[1:2], v[3:4], off
.LBB155_5:
	s_or_b64 exec, exec, s[18:19]
	v_or_b32_e32 v5, 64, v0
	v_cmp_gt_u32_e32 vcc, s22, v5
	v_mov_b32_e32 v6, s3
	v_mov_b32_e32 v5, s2
	s_and_saveexec_b64 s[0:1], vcc
	s_cbranch_execz .LBB155_7
; %bb.6:
	global_load_dwordx2 v[5:6], v[3:4], off offset:512
.LBB155_7:
	s_or_b64 exec, exec, s[0:1]
	v_or_b32_e32 v7, 0x80, v0
	v_cmp_gt_u32_e32 vcc, s22, v7
	v_mov_b32_e32 v8, s3
	v_mov_b32_e32 v7, s2
	s_and_saveexec_b64 s[0:1], vcc
	s_cbranch_execz .LBB155_9
; %bb.8:
	global_load_dwordx2 v[7:8], v[3:4], off offset:1024
.LBB155_9:
	;; [unrolled: 10-line block ×7, first 2 shown]
	s_or_b64 exec, exec, s[0:1]
	v_or_b32_e32 v19, 0x200, v0
	v_cmp_gt_u32_e32 vcc, s22, v19
	v_mov_b32_e32 v20, s3
	v_mov_b32_e32 v19, s2
	s_and_saveexec_b64 s[0:1], vcc
	s_cbranch_execz .LBB155_21
; %bb.20:
	v_add_co_u32_e32 v19, vcc, 0x1000, v3
	v_addc_co_u32_e32 v20, vcc, 0, v4, vcc
	global_load_dwordx2 v[19:20], v[19:20], off
.LBB155_21:
	s_or_b64 exec, exec, s[0:1]
	v_or_b32_e32 v21, 0x240, v0
	v_cmp_gt_u32_e32 vcc, s22, v21
	v_mov_b32_e32 v22, s3
	v_mov_b32_e32 v21, s2
	s_and_saveexec_b64 s[0:1], vcc
	s_cbranch_execz .LBB155_23
; %bb.22:
	v_add_co_u32_e32 v21, vcc, 0x1000, v3
	v_addc_co_u32_e32 v22, vcc, 0, v4, vcc
	global_load_dwordx2 v[21:22], v[21:22], off offset:512
.LBB155_23:
	s_or_b64 exec, exec, s[0:1]
	v_or_b32_e32 v23, 0x280, v0
	v_cmp_gt_u32_e32 vcc, s22, v23
	v_mov_b32_e32 v24, s3
	v_mov_b32_e32 v23, s2
	s_and_saveexec_b64 s[0:1], vcc
	s_cbranch_execz .LBB155_25
; %bb.24:
	v_add_co_u32_e32 v23, vcc, 0x1000, v3
	v_addc_co_u32_e32 v24, vcc, 0, v4, vcc
	global_load_dwordx2 v[23:24], v[23:24], off offset:1024
.LBB155_25:
	;; [unrolled: 12-line block ×5, first 2 shown]
	s_or_b64 exec, exec, s[0:1]
	s_waitcnt vmcnt(0)
	ds_write2st64_b64 v43, v[1:2], v[5:6] offset1:1
	ds_write2st64_b64 v43, v[7:8], v[9:10] offset0:2 offset1:3
	ds_write2st64_b64 v43, v[11:12], v[13:14] offset0:4 offset1:5
	;; [unrolled: 1-line block ×6, first 2 shown]
	s_waitcnt lgkmcnt(0)
	; wave barrier
.LBB155_32:
	v_mul_u32_u24_e32 v44, 0x70, v0
	s_waitcnt lgkmcnt(0)
	ds_read_b128 v[25:28], v44
	ds_read_b128 v[21:24], v44 offset:16
	ds_read_b128 v[17:20], v44 offset:32
	;; [unrolled: 1-line block ×6, first 2 shown]
	s_load_dwordx2 s[18:19], s[4:5], 0x30
	s_cmp_lg_u32 s6, 0
	v_mbcnt_lo_u32_b32 v45, -1, 0
	s_waitcnt lgkmcnt(0)
	; wave barrier
	s_cbranch_scc0 .LBB155_86
; %bb.33:
	v_add_co_u32_e32 v29, vcc, v27, v25
	v_addc_co_u32_e32 v30, vcc, v28, v26, vcc
	v_add_co_u32_e32 v29, vcc, v29, v21
	v_addc_co_u32_e32 v30, vcc, v30, v22, vcc
	;; [unrolled: 2-line block ×13, first 2 shown]
	v_mbcnt_hi_u32_b32 v40, -1, v45
	v_and_b32_e32 v33, 15, v40
	v_mov_b32_e32 v32, v30
	v_mov_b32_dpp v35, v29 row_shr:1 row_mask:0xf bank_mask:0xf
	v_mov_b32_dpp v34, v30 row_shr:1 row_mask:0xf bank_mask:0xf
	v_cmp_ne_u32_e32 vcc, 0, v33
	v_mov_b32_e32 v31, v29
	s_and_saveexec_b64 s[0:1], vcc
; %bb.34:
	v_add_co_u32_e32 v29, vcc, v29, v35
	v_addc_co_u32_e32 v30, vcc, 0, v30, vcc
	v_add_co_u32_e32 v31, vcc, 0, v29
	v_addc_co_u32_e32 v32, vcc, v34, v30, vcc
	v_mov_b32_e32 v30, v32
; %bb.35:
	s_or_b64 exec, exec, s[0:1]
	v_mov_b32_dpp v35, v29 row_shr:2 row_mask:0xf bank_mask:0xf
	v_mov_b32_dpp v34, v30 row_shr:2 row_mask:0xf bank_mask:0xf
	v_cmp_lt_u32_e32 vcc, 1, v33
	s_and_saveexec_b64 s[0:1], vcc
; %bb.36:
	v_add_co_u32_e32 v29, vcc, v31, v35
	v_addc_co_u32_e32 v30, vcc, 0, v32, vcc
	v_add_co_u32_e32 v31, vcc, 0, v29
	v_addc_co_u32_e32 v32, vcc, v34, v30, vcc
	v_mov_b32_e32 v30, v32
; %bb.37:
	s_or_b64 exec, exec, s[0:1]
	v_mov_b32_dpp v35, v29 row_shr:4 row_mask:0xf bank_mask:0xf
	v_mov_b32_dpp v34, v30 row_shr:4 row_mask:0xf bank_mask:0xf
	v_cmp_lt_u32_e32 vcc, 3, v33
	;; [unrolled: 12-line block ×3, first 2 shown]
	s_and_saveexec_b64 s[0:1], vcc
; %bb.40:
	v_add_co_u32_e32 v29, vcc, v31, v35
	v_addc_co_u32_e32 v30, vcc, 0, v32, vcc
	v_add_co_u32_e32 v31, vcc, 0, v29
	v_addc_co_u32_e32 v32, vcc, v34, v30, vcc
	v_mov_b32_e32 v30, v32
; %bb.41:
	s_or_b64 exec, exec, s[0:1]
	v_and_b32_e32 v35, 16, v40
	v_mov_b32_dpp v34, v29 row_bcast:15 row_mask:0xf bank_mask:0xf
	v_mov_b32_dpp v33, v30 row_bcast:15 row_mask:0xf bank_mask:0xf
	v_cmp_ne_u32_e32 vcc, 0, v35
	s_and_saveexec_b64 s[0:1], vcc
; %bb.42:
	v_add_co_u32_e32 v29, vcc, v31, v34
	v_addc_co_u32_e32 v30, vcc, 0, v32, vcc
	v_add_co_u32_e32 v31, vcc, 0, v29
	v_addc_co_u32_e32 v32, vcc, v33, v30, vcc
	v_mov_b32_e32 v30, v32
; %bb.43:
	s_or_b64 exec, exec, s[0:1]
	v_mov_b32_dpp v34, v29 row_bcast:31 row_mask:0xf bank_mask:0xf
	v_mov_b32_dpp v33, v30 row_bcast:31 row_mask:0xf bank_mask:0xf
	v_cmp_lt_u32_e32 vcc, 31, v40
	s_and_saveexec_b64 s[0:1], vcc
; %bb.44:
	v_add_co_u32_e32 v29, vcc, v31, v34
	v_addc_co_u32_e32 v30, vcc, 0, v32, vcc
	v_add_co_u32_e32 v31, vcc, 0, v29
	v_addc_co_u32_e32 v32, vcc, v33, v30, vcc
	v_mov_b32_e32 v30, v32
; %bb.45:
	s_or_b64 exec, exec, s[0:1]
	v_cmp_eq_u32_e32 vcc, 63, v0
	s_and_saveexec_b64 s[0:1], vcc
; %bb.46:
	v_mov_b32_e32 v33, 0
	ds_write_b64 v33, v[31:32]
; %bb.47:
	s_or_b64 exec, exec, s[0:1]
	v_subrev_co_u32_e64 v31, s[0:1], 1, v40
	v_and_b32_e32 v32, 64, v40
	v_cmp_lt_i32_e32 vcc, v31, v32
	v_cndmask_b32_e32 v31, v31, v40, vcc
	v_lshlrev_b32_e32 v31, 2, v31
	v_mov_b32_e32 v32, 0
	s_waitcnt lgkmcnt(0)
	; wave barrier
	ds_bpermute_b32 v46, v31, v29
	ds_bpermute_b32 v47, v31, v30
	ds_read_b64 v[29:30], v32
	s_and_saveexec_b64 s[2:3], s[0:1]
	s_cbranch_execz .LBB155_49
; %bb.48:
	s_add_i32 s20, s6, 64
	s_mov_b32 s21, 0
	s_lshl_b64 s[20:21], s[20:21], 4
	s_add_u32 s20, s18, s20
	s_addc_u32 s21, s19, s21
	v_mov_b32_e32 v34, s21
	v_mov_b32_e32 v31, 1
	;; [unrolled: 1-line block ×3, first 2 shown]
	s_waitcnt lgkmcnt(0)
	;;#ASMSTART
	global_store_dwordx4 v[33:34], v[29:32] off	
s_waitcnt vmcnt(0)
	;;#ASMEND
.LBB155_49:
	s_or_b64 exec, exec, s[2:3]
	v_xad_u32 v37, v40, -1, s6
	v_add_u32_e32 v31, 64, v37
	v_lshlrev_b64 v[33:34], 4, v[31:32]
	v_mov_b32_e32 v31, s19
	v_add_co_u32_e32 v38, vcc, s18, v33
	v_addc_co_u32_e32 v39, vcc, v31, v34, vcc
	;;#ASMSTART
	global_load_dwordx4 v[33:36], v[38:39] off glc	
s_waitcnt vmcnt(0)
	;;#ASMEND
	v_cmp_eq_u16_sdwa s[20:21], v35, v32 src0_sel:BYTE_0 src1_sel:DWORD
	s_and_saveexec_b64 s[2:3], s[20:21]
	s_cbranch_execz .LBB155_53
; %bb.50:
	s_mov_b64 s[20:21], 0
	v_mov_b32_e32 v31, 0
.LBB155_51:                             ; =>This Inner Loop Header: Depth=1
	;;#ASMSTART
	global_load_dwordx4 v[33:36], v[38:39] off glc	
s_waitcnt vmcnt(0)
	;;#ASMEND
	v_cmp_ne_u16_sdwa s[24:25], v35, v31 src0_sel:BYTE_0 src1_sel:DWORD
	s_or_b64 s[20:21], s[24:25], s[20:21]
	s_andn2_b64 exec, exec, s[20:21]
	s_cbranch_execnz .LBB155_51
; %bb.52:
	s_or_b64 exec, exec, s[20:21]
.LBB155_53:
	s_or_b64 exec, exec, s[2:3]
	v_and_b32_e32 v39, 63, v40
	v_mov_b32_e32 v36, 2
	v_lshlrev_b64 v[31:32], v40, -1
	v_cmp_ne_u32_e32 vcc, 63, v39
	v_cmp_eq_u16_sdwa s[2:3], v35, v36 src0_sel:BYTE_0 src1_sel:DWORD
	v_addc_co_u32_e32 v41, vcc, 0, v40, vcc
	v_and_b32_e32 v36, s3, v32
	v_lshlrev_b32_e32 v48, 2, v41
	v_or_b32_e32 v36, 0x80000000, v36
	ds_bpermute_b32 v42, v48, v33
	ds_bpermute_b32 v41, v48, v34
	v_and_b32_e32 v38, s2, v31
	v_ffbl_b32_e32 v36, v36
	v_add_u32_e32 v36, 32, v36
	v_ffbl_b32_e32 v38, v38
	v_min_u32_e32 v36, v38, v36
	v_add_u32_e32 v49, 1, v40
	v_cmp_le_u32_e32 vcc, v49, v36
	v_mov_b32_e32 v38, v33
	s_and_saveexec_b64 s[2:3], vcc
	s_cbranch_execz .LBB155_55
; %bb.54:
	s_waitcnt lgkmcnt(1)
	v_add_co_u32_e32 v38, vcc, v33, v42
	v_addc_co_u32_e32 v34, vcc, 0, v34, vcc
	v_add_co_u32_e32 v33, vcc, 0, v38
	s_waitcnt lgkmcnt(0)
	v_addc_co_u32_e32 v34, vcc, v41, v34, vcc
.LBB155_55:
	s_or_b64 exec, exec, s[2:3]
	v_cmp_gt_u32_e32 vcc, 62, v39
	s_waitcnt lgkmcnt(0)
	v_cndmask_b32_e64 v41, 0, 2, vcc
	v_add_lshl_u32 v50, v41, v40, 2
	ds_bpermute_b32 v42, v50, v38
	ds_bpermute_b32 v41, v50, v34
	v_add_u32_e32 v51, 2, v40
	v_cmp_le_u32_e32 vcc, v51, v36
	s_and_saveexec_b64 s[2:3], vcc
	s_cbranch_execz .LBB155_57
; %bb.56:
	s_waitcnt lgkmcnt(1)
	v_add_co_u32_e32 v38, vcc, v33, v42
	v_addc_co_u32_e32 v34, vcc, 0, v34, vcc
	v_add_co_u32_e32 v33, vcc, 0, v38
	s_waitcnt lgkmcnt(0)
	v_addc_co_u32_e32 v34, vcc, v41, v34, vcc
.LBB155_57:
	s_or_b64 exec, exec, s[2:3]
	v_cmp_gt_u32_e32 vcc, 60, v39
	s_waitcnt lgkmcnt(0)
	v_cndmask_b32_e64 v41, 0, 4, vcc
	v_add_lshl_u32 v52, v41, v40, 2
	ds_bpermute_b32 v42, v52, v38
	ds_bpermute_b32 v41, v52, v34
	v_add_u32_e32 v53, 4, v40
	v_cmp_le_u32_e32 vcc, v53, v36
	;; [unrolled: 19-line block ×3, first 2 shown]
	s_and_saveexec_b64 s[2:3], vcc
	s_cbranch_execz .LBB155_61
; %bb.60:
	s_waitcnt lgkmcnt(1)
	v_add_co_u32_e32 v38, vcc, v33, v42
	v_addc_co_u32_e32 v34, vcc, 0, v34, vcc
	v_add_co_u32_e32 v33, vcc, 0, v38
	s_waitcnt lgkmcnt(0)
	v_addc_co_u32_e32 v34, vcc, v41, v34, vcc
.LBB155_61:
	s_or_b64 exec, exec, s[2:3]
	v_cmp_gt_u32_e32 vcc, 48, v39
	v_cndmask_b32_e64 v39, 0, 16, vcc
	v_add_lshl_u32 v56, v39, v40, 2
	s_waitcnt lgkmcnt(0)
	ds_bpermute_b32 v41, v56, v38
	ds_bpermute_b32 v39, v56, v34
	v_add_u32_e32 v57, 16, v40
	v_cmp_le_u32_e32 vcc, v57, v36
	s_and_saveexec_b64 s[2:3], vcc
	s_cbranch_execz .LBB155_63
; %bb.62:
	s_waitcnt lgkmcnt(1)
	v_add_co_u32_e32 v38, vcc, v33, v41
	v_addc_co_u32_e32 v34, vcc, 0, v34, vcc
	v_add_co_u32_e32 v33, vcc, 0, v38
	s_waitcnt lgkmcnt(0)
	v_addc_co_u32_e32 v34, vcc, v39, v34, vcc
.LBB155_63:
	s_or_b64 exec, exec, s[2:3]
	s_waitcnt lgkmcnt(0)
	v_mov_b32_e32 v39, 0x80
	v_lshl_or_b32 v58, v40, 2, v39
	ds_bpermute_b32 v39, v58, v38
	v_add_u32_e32 v59, 32, v40
	ds_bpermute_b32 v40, v58, v34
	v_mov_b32_e32 v38, 0
	v_mov_b32_e32 v60, 2
	s_waitcnt lgkmcnt(1)
	v_add_co_u32_e32 v39, vcc, v33, v39
	v_addc_co_u32_e32 v41, vcc, 0, v34, vcc
	v_add_co_u32_e32 v39, vcc, 0, v39
	s_waitcnt lgkmcnt(0)
	v_addc_co_u32_e32 v40, vcc, v41, v40, vcc
	v_cmp_gt_u32_e32 vcc, v59, v36
	v_cndmask_b32_e32 v34, v40, v34, vcc
	v_cndmask_b32_e32 v33, v39, v33, vcc
	s_branch .LBB155_66
.LBB155_64:                             ;   in Loop: Header=BB155_66 Depth=1
	s_or_b64 exec, exec, s[2:3]
	ds_bpermute_b32 v41, v58, v41
	s_waitcnt lgkmcnt(1)
	ds_bpermute_b32 v42, v58, v34
	v_subrev_u32_e32 v37, 64, v37
	s_mov_b64 s[2:3], 0
	s_waitcnt lgkmcnt(1)
	v_add_co_u32_e32 v41, vcc, v33, v41
	v_addc_co_u32_e32 v61, vcc, 0, v34, vcc
	v_add_co_u32_e32 v41, vcc, 0, v41
	s_waitcnt lgkmcnt(0)
	v_addc_co_u32_e32 v42, vcc, v61, v42, vcc
	v_cmp_gt_u32_e32 vcc, v59, v36
	v_cndmask_b32_e32 v33, v41, v33, vcc
	v_cndmask_b32_e32 v34, v42, v34, vcc
	v_add_co_u32_e32 v33, vcc, v33, v39
	v_addc_co_u32_e32 v34, vcc, v34, v40, vcc
.LBB155_65:                             ;   in Loop: Header=BB155_66 Depth=1
	s_and_b64 vcc, exec, s[2:3]
	s_cbranch_vccnz .LBB155_81
.LBB155_66:                             ; =>This Loop Header: Depth=1
                                        ;     Child Loop BB155_69 Depth 2
	v_mov_b32_e32 v40, v34
	v_cmp_ne_u16_sdwa s[2:3], v35, v60 src0_sel:BYTE_0 src1_sel:DWORD
	v_mov_b32_e32 v39, v33
	s_cmp_lg_u64 s[2:3], exec
	s_mov_b64 s[2:3], -1
                                        ; implicit-def: $vgpr33_vgpr34
                                        ; implicit-def: $vgpr35
	s_cbranch_scc1 .LBB155_65
; %bb.67:                               ;   in Loop: Header=BB155_66 Depth=1
	v_lshlrev_b64 v[33:34], 4, v[37:38]
	v_mov_b32_e32 v35, s19
	v_add_co_u32_e32 v41, vcc, s18, v33
	v_addc_co_u32_e32 v42, vcc, v35, v34, vcc
	;;#ASMSTART
	global_load_dwordx4 v[33:36], v[41:42] off glc	
s_waitcnt vmcnt(0)
	;;#ASMEND
	v_cmp_eq_u16_sdwa s[20:21], v35, v38 src0_sel:BYTE_0 src1_sel:DWORD
	s_and_saveexec_b64 s[2:3], s[20:21]
	s_cbranch_execz .LBB155_71
; %bb.68:                               ;   in Loop: Header=BB155_66 Depth=1
	s_mov_b64 s[20:21], 0
.LBB155_69:                             ;   Parent Loop BB155_66 Depth=1
                                        ; =>  This Inner Loop Header: Depth=2
	;;#ASMSTART
	global_load_dwordx4 v[33:36], v[41:42] off glc	
s_waitcnt vmcnt(0)
	;;#ASMEND
	v_cmp_ne_u16_sdwa s[24:25], v35, v38 src0_sel:BYTE_0 src1_sel:DWORD
	s_or_b64 s[20:21], s[24:25], s[20:21]
	s_andn2_b64 exec, exec, s[20:21]
	s_cbranch_execnz .LBB155_69
; %bb.70:                               ;   in Loop: Header=BB155_66 Depth=1
	s_or_b64 exec, exec, s[20:21]
.LBB155_71:                             ;   in Loop: Header=BB155_66 Depth=1
	s_or_b64 exec, exec, s[2:3]
	v_cmp_eq_u16_sdwa s[2:3], v35, v60 src0_sel:BYTE_0 src1_sel:DWORD
	v_and_b32_e32 v36, s3, v32
	v_or_b32_e32 v36, 0x80000000, v36
	ds_bpermute_b32 v61, v48, v33
	ds_bpermute_b32 v42, v48, v34
	v_and_b32_e32 v41, s2, v31
	v_ffbl_b32_e32 v36, v36
	v_add_u32_e32 v36, 32, v36
	v_ffbl_b32_e32 v41, v41
	v_min_u32_e32 v36, v41, v36
	v_cmp_le_u32_e32 vcc, v49, v36
	v_mov_b32_e32 v41, v33
	s_and_saveexec_b64 s[2:3], vcc
	s_cbranch_execz .LBB155_73
; %bb.72:                               ;   in Loop: Header=BB155_66 Depth=1
	s_waitcnt lgkmcnt(1)
	v_add_co_u32_e32 v41, vcc, v33, v61
	v_addc_co_u32_e32 v34, vcc, 0, v34, vcc
	v_add_co_u32_e32 v33, vcc, 0, v41
	s_waitcnt lgkmcnt(0)
	v_addc_co_u32_e32 v34, vcc, v42, v34, vcc
.LBB155_73:                             ;   in Loop: Header=BB155_66 Depth=1
	s_or_b64 exec, exec, s[2:3]
	s_waitcnt lgkmcnt(1)
	ds_bpermute_b32 v61, v50, v41
	s_waitcnt lgkmcnt(1)
	ds_bpermute_b32 v42, v50, v34
	v_cmp_le_u32_e32 vcc, v51, v36
	s_and_saveexec_b64 s[2:3], vcc
	s_cbranch_execz .LBB155_75
; %bb.74:                               ;   in Loop: Header=BB155_66 Depth=1
	s_waitcnt lgkmcnt(1)
	v_add_co_u32_e32 v41, vcc, v33, v61
	v_addc_co_u32_e32 v34, vcc, 0, v34, vcc
	v_add_co_u32_e32 v33, vcc, 0, v41
	s_waitcnt lgkmcnt(0)
	v_addc_co_u32_e32 v34, vcc, v42, v34, vcc
.LBB155_75:                             ;   in Loop: Header=BB155_66 Depth=1
	s_or_b64 exec, exec, s[2:3]
	s_waitcnt lgkmcnt(1)
	ds_bpermute_b32 v61, v52, v41
	s_waitcnt lgkmcnt(1)
	ds_bpermute_b32 v42, v52, v34
	v_cmp_le_u32_e32 vcc, v53, v36
	;; [unrolled: 16-line block ×4, first 2 shown]
	s_and_saveexec_b64 s[2:3], vcc
	s_cbranch_execz .LBB155_64
; %bb.80:                               ;   in Loop: Header=BB155_66 Depth=1
	s_waitcnt lgkmcnt(1)
	v_add_co_u32_e32 v41, vcc, v33, v61
	v_addc_co_u32_e32 v34, vcc, 0, v34, vcc
	v_add_co_u32_e32 v33, vcc, 0, v41
	s_waitcnt lgkmcnt(0)
	v_addc_co_u32_e32 v34, vcc, v42, v34, vcc
	s_branch .LBB155_64
.LBB155_81:
	s_and_saveexec_b64 s[2:3], s[0:1]
	s_cbranch_execz .LBB155_83
; %bb.82:
	s_add_i32 s0, s6, 64
	s_mov_b32 s1, 0
	s_lshl_b64 s[0:1], s[0:1], 4
	s_add_u32 s0, s18, s0
	s_addc_u32 s1, s19, s1
	v_add_co_u32_e32 v29, vcc, v39, v29
	v_mov_b32_e32 v34, s1
	v_addc_co_u32_e32 v30, vcc, v40, v30, vcc
	v_mov_b32_e32 v31, 2
	v_mov_b32_e32 v32, 0
	;; [unrolled: 1-line block ×3, first 2 shown]
	;;#ASMSTART
	global_store_dwordx4 v[33:34], v[29:32] off	
s_waitcnt vmcnt(0)
	;;#ASMEND
.LBB155_83:
	s_or_b64 exec, exec, s[2:3]
	v_cmp_eq_u32_e32 vcc, 0, v0
	s_and_saveexec_b64 s[0:1], vcc
; %bb.84:
	v_mov_b32_e32 v29, 0
	ds_write_b64 v29, v[39:40]
; %bb.85:
	s_or_b64 exec, exec, s[0:1]
	v_mov_b32_e32 v29, 0
	s_waitcnt lgkmcnt(0)
	; wave barrier
	ds_read_b64 v[29:30], v29
	v_cndmask_b32_e64 v32, v46, 0, vcc
	v_cndmask_b32_e64 v31, v47, 0, vcc
	s_waitcnt lgkmcnt(0)
	v_add_co_u32_e32 v29, vcc, v29, v32
	v_addc_co_u32_e32 v30, vcc, v30, v31, vcc
	s_load_dwordx4 s[0:3], s[4:5], 0x40
	s_branch .LBB155_104
.LBB155_86:
                                        ; implicit-def: $vgpr29_vgpr30
	s_load_dwordx4 s[0:3], s[4:5], 0x40
	s_cbranch_execz .LBB155_104
; %bb.87:
	s_load_dword s6, s[4:5], 0x50
	v_mov_b32_e32 v32, s17
	v_mov_b32_e32 v31, s16
	s_waitcnt lgkmcnt(0)
	s_bitcmp0_b32 s6, 0
	s_cbranch_scc1 .LBB155_89
; %bb.88:
	v_mov_b32_e32 v33, 0
	global_load_dwordx2 v[29:30], v33, s[14:15] offset:-8
	global_load_dwordx2 v[31:32], v33, s[0:1]
	s_waitcnt vmcnt(0)
	v_add_co_u32_e32 v31, vcc, v31, v29
	v_addc_co_u32_e32 v32, vcc, v32, v30, vcc
.LBB155_89:
	v_add_co_u32_e32 v29, vcc, v27, v25
	v_addc_co_u32_e32 v30, vcc, v28, v26, vcc
	v_add_co_u32_e32 v29, vcc, v29, v21
	v_addc_co_u32_e32 v30, vcc, v30, v22, vcc
	;; [unrolled: 2-line block ×12, first 2 shown]
	v_add_co_u32_e32 v3, vcc, v29, v3
	v_mbcnt_hi_u32_b32 v29, -1, v45
	v_addc_co_u32_e32 v4, vcc, v30, v4, vcc
	v_and_b32_e32 v33, 15, v29
	v_mov_b32_dpp v35, v3 row_shr:1 row_mask:0xf bank_mask:0xf
	v_mov_b32_dpp v34, v4 row_shr:1 row_mask:0xf bank_mask:0xf
	v_cmp_ne_u32_e32 vcc, 0, v33
	v_mov_b32_e32 v30, v3
	s_and_saveexec_b64 s[0:1], vcc
; %bb.90:
	v_add_co_u32_e32 v30, vcc, v3, v35
	v_addc_co_u32_e32 v4, vcc, 0, v4, vcc
	v_add_co_u32_e32 v3, vcc, 0, v30
	v_addc_co_u32_e32 v4, vcc, v34, v4, vcc
; %bb.91:
	s_or_b64 exec, exec, s[0:1]
	v_mov_b32_dpp v35, v30 row_shr:2 row_mask:0xf bank_mask:0xf
	v_mov_b32_dpp v34, v4 row_shr:2 row_mask:0xf bank_mask:0xf
	v_cmp_lt_u32_e32 vcc, 1, v33
	s_and_saveexec_b64 s[0:1], vcc
; %bb.92:
	v_add_co_u32_e32 v30, vcc, v3, v35
	v_addc_co_u32_e32 v4, vcc, 0, v4, vcc
	v_add_co_u32_e32 v3, vcc, 0, v30
	v_addc_co_u32_e32 v4, vcc, v34, v4, vcc
; %bb.93:
	s_or_b64 exec, exec, s[0:1]
	v_mov_b32_dpp v35, v30 row_shr:4 row_mask:0xf bank_mask:0xf
	v_mov_b32_dpp v34, v4 row_shr:4 row_mask:0xf bank_mask:0xf
	v_cmp_lt_u32_e32 vcc, 3, v33
	;; [unrolled: 11-line block ×3, first 2 shown]
	s_and_saveexec_b64 s[0:1], vcc
; %bb.96:
	v_add_co_u32_e32 v30, vcc, v3, v35
	v_addc_co_u32_e32 v4, vcc, 0, v4, vcc
	v_add_co_u32_e32 v3, vcc, 0, v30
	v_addc_co_u32_e32 v4, vcc, v34, v4, vcc
; %bb.97:
	s_or_b64 exec, exec, s[0:1]
	v_and_b32_e32 v35, 16, v29
	v_mov_b32_dpp v34, v30 row_bcast:15 row_mask:0xf bank_mask:0xf
	v_mov_b32_dpp v33, v4 row_bcast:15 row_mask:0xf bank_mask:0xf
	v_cmp_ne_u32_e32 vcc, 0, v35
	s_and_saveexec_b64 s[0:1], vcc
; %bb.98:
	v_add_co_u32_e32 v30, vcc, v3, v34
	v_addc_co_u32_e32 v4, vcc, 0, v4, vcc
	v_add_co_u32_e32 v3, vcc, 0, v30
	v_addc_co_u32_e32 v4, vcc, v33, v4, vcc
; %bb.99:
	s_or_b64 exec, exec, s[0:1]
	v_mov_b32_dpp v33, v30 row_bcast:31 row_mask:0xf bank_mask:0xf
	v_add_co_u32_e32 v33, vcc, v3, v33
	v_addc_co_u32_e32 v35, vcc, 0, v4, vcc
	v_mov_b32_dpp v34, v4 row_bcast:31 row_mask:0xf bank_mask:0xf
	v_add_co_u32_e32 v33, vcc, 0, v33
	v_addc_co_u32_e32 v34, vcc, v35, v34, vcc
	v_cmp_lt_u32_e32 vcc, 31, v29
	v_mov_b32_e32 v30, 0
	v_cndmask_b32_e32 v4, v4, v34, vcc
	v_cndmask_b32_e32 v3, v3, v33, vcc
	v_cmp_eq_u32_e32 vcc, 63, v0
	s_and_saveexec_b64 s[0:1], vcc
; %bb.100:
	ds_write_b64 v30, v[3:4]
; %bb.101:
	s_or_b64 exec, exec, s[0:1]
	v_add_co_u32_e32 v3, vcc, v3, v31
	v_addc_co_u32_e32 v4, vcc, v4, v32, vcc
	v_subrev_co_u32_e32 v30, vcc, 1, v29
	v_and_b32_e32 v33, 64, v29
	v_cmp_lt_i32_e64 s[0:1], v30, v33
	v_cndmask_b32_e64 v29, v30, v29, s[0:1]
	v_lshlrev_b32_e32 v29, 2, v29
	ds_bpermute_b32 v4, v29, v4
	ds_bpermute_b32 v3, v29, v3
	v_cmp_eq_u32_e64 s[0:1], 0, v0
	s_or_b64 vcc, s[0:1], vcc
	s_waitcnt lgkmcnt(0)
	v_cndmask_b32_e32 v30, v4, v32, vcc
	v_cndmask_b32_e32 v29, v3, v31, vcc
	; wave barrier
	s_and_saveexec_b64 s[6:7], s[0:1]
	s_cbranch_execz .LBB155_103
; %bb.102:
	v_mov_b32_e32 v36, 0
	ds_read_b64 v[3:4], v36
	s_add_u32 s0, s18, 0x400
	s_addc_u32 s1, s19, 0
	v_mov_b32_e32 v35, 2
	v_mov_b32_e32 v29, v31
	s_waitcnt lgkmcnt(0)
	v_add_co_u32_e32 v33, vcc, v3, v31
	v_addc_co_u32_e32 v34, vcc, v4, v32, vcc
	v_mov_b32_e32 v4, s1
	v_mov_b32_e32 v3, s0
	;;#ASMSTART
	global_store_dwordx4 v[3:4], v[33:36] off	
s_waitcnt vmcnt(0)
	;;#ASMEND
	v_mov_b32_e32 v30, v32
.LBB155_103:
	s_or_b64 exec, exec, s[6:7]
.LBB155_104:
	v_add_co_u32_e32 v31, vcc, v29, v25
	v_addc_co_u32_e32 v32, vcc, v30, v26, vcc
	v_add_co_u32_e32 v25, vcc, v31, v27
	v_addc_co_u32_e32 v26, vcc, v32, v28, vcc
	;; [unrolled: 2-line block ×13, first 2 shown]
	s_waitcnt lgkmcnt(0)
	s_add_u32 s0, s8, s12
	s_addc_u32 s1, s9, s13
	s_mov_b64 s[6:7], -1
	s_and_b64 vcc, exec, s[10:11]
	; wave barrier
	s_cbranch_vccz .LBB155_106
; %bb.105:
	ds_write_b128 v44, v[29:32]
	ds_write_b128 v44, v[25:28] offset:16
	ds_write_b128 v44, v[21:24] offset:32
	;; [unrolled: 1-line block ×6, first 2 shown]
	s_waitcnt lgkmcnt(0)
	; wave barrier
	ds_read2st64_b64 v[33:36], v43 offset1:1
	ds_read2st64_b64 v[37:40], v43 offset0:2 offset1:3
	ds_read2st64_b64 v[45:48], v43 offset0:4 offset1:5
	;; [unrolled: 1-line block ×6, first 2 shown]
	v_mov_b32_e32 v1, s1
	v_add_co_u32_e32 v2, vcc, s0, v43
	v_addc_co_u32_e32 v7, vcc, 0, v1, vcc
	v_add_co_u32_e32 v1, vcc, 0x1000, v2
	v_addc_co_u32_e32 v2, vcc, 0, v7, vcc
	s_waitcnt lgkmcnt(6)
	global_store_dwordx2 v43, v[33:34], s[0:1]
	global_store_dwordx2 v43, v[35:36], s[0:1] offset:512
	s_waitcnt lgkmcnt(5)
	global_store_dwordx2 v43, v[37:38], s[0:1] offset:1024
	global_store_dwordx2 v43, v[39:40], s[0:1] offset:1536
	s_waitcnt lgkmcnt(4)
	global_store_dwordx2 v43, v[45:46], s[0:1] offset:2048
	;; [unrolled: 3-line block ×3, first 2 shown]
	global_store_dwordx2 v43, v[51:52], s[0:1] offset:3584
	s_waitcnt lgkmcnt(2)
	global_store_dwordx2 v[1:2], v[53:54], off
	global_store_dwordx2 v[1:2], v[55:56], off offset:512
	s_waitcnt lgkmcnt(1)
	global_store_dwordx2 v[1:2], v[57:58], off offset:1024
	global_store_dwordx2 v[1:2], v[59:60], off offset:1536
	s_waitcnt lgkmcnt(0)
	global_store_dwordx2 v[1:2], v[61:62], off offset:2048
	global_store_dwordx2 v[1:2], v[63:64], off offset:2560
	s_mov_b64 s[6:7], 0
.LBB155_106:
	s_andn2_b64 vcc, exec, s[6:7]
	s_cbranch_vccnz .LBB155_186
; %bb.107:
	ds_write_b128 v44, v[29:32]
	ds_write_b128 v44, v[25:28] offset:16
	ds_write_b128 v44, v[21:24] offset:32
	;; [unrolled: 1-line block ×6, first 2 shown]
	s_waitcnt lgkmcnt(0)
	; wave barrier
	ds_read2st64_b64 v[6:9], v43 offset1:1
	ds_read2st64_b64 v[10:13], v43 offset0:2 offset1:3
	ds_read2st64_b64 v[14:17], v43 offset0:4 offset1:5
	;; [unrolled: 1-line block ×6, first 2 shown]
	v_mov_b32_e32 v31, s1
	v_add_co_u32_e32 v30, vcc, s0, v43
	v_addc_co_u32_e32 v31, vcc, 0, v31, vcc
	v_mov_b32_e32 v1, 0
	v_cmp_gt_u32_e32 vcc, s22, v0
	s_and_saveexec_b64 s[0:1], vcc
	s_cbranch_execz .LBB155_109
; %bb.108:
	s_waitcnt lgkmcnt(6)
	global_store_dwordx2 v[30:31], v[6:7], off
.LBB155_109:
	s_or_b64 exec, exec, s[0:1]
	v_or_b32_e32 v32, 64, v0
	v_cmp_gt_u32_e32 vcc, s22, v32
	s_and_saveexec_b64 s[0:1], vcc
	s_cbranch_execz .LBB155_111
; %bb.110:
	s_waitcnt lgkmcnt(6)
	global_store_dwordx2 v[30:31], v[8:9], off offset:512
.LBB155_111:
	s_or_b64 exec, exec, s[0:1]
	v_or_b32_e32 v32, 0x80, v0
	v_cmp_gt_u32_e32 vcc, s22, v32
	s_and_saveexec_b64 s[0:1], vcc
	s_cbranch_execz .LBB155_113
; %bb.112:
	s_waitcnt lgkmcnt(5)
	global_store_dwordx2 v[30:31], v[10:11], off offset:1024
.LBB155_113:
	s_or_b64 exec, exec, s[0:1]
	v_or_b32_e32 v32, 0xc0, v0
	v_cmp_gt_u32_e32 vcc, s22, v32
	s_and_saveexec_b64 s[0:1], vcc
	s_cbranch_execz .LBB155_115
; %bb.114:
	s_waitcnt lgkmcnt(5)
	global_store_dwordx2 v[30:31], v[12:13], off offset:1536
.LBB155_115:
	s_or_b64 exec, exec, s[0:1]
	v_or_b32_e32 v32, 0x100, v0
	v_cmp_gt_u32_e32 vcc, s22, v32
	s_and_saveexec_b64 s[0:1], vcc
	s_cbranch_execz .LBB155_117
; %bb.116:
	s_waitcnt lgkmcnt(4)
	global_store_dwordx2 v[30:31], v[14:15], off offset:2048
.LBB155_117:
	s_or_b64 exec, exec, s[0:1]
	v_or_b32_e32 v32, 0x140, v0
	v_cmp_gt_u32_e32 vcc, s22, v32
	s_and_saveexec_b64 s[0:1], vcc
	s_cbranch_execz .LBB155_119
; %bb.118:
	s_waitcnt lgkmcnt(4)
	global_store_dwordx2 v[30:31], v[16:17], off offset:2560
.LBB155_119:
	s_or_b64 exec, exec, s[0:1]
	v_or_b32_e32 v32, 0x180, v0
	v_cmp_gt_u32_e32 vcc, s22, v32
	s_and_saveexec_b64 s[0:1], vcc
	s_cbranch_execz .LBB155_121
; %bb.120:
	s_waitcnt lgkmcnt(3)
	global_store_dwordx2 v[30:31], v[2:3], off offset:3072
.LBB155_121:
	s_or_b64 exec, exec, s[0:1]
	v_or_b32_e32 v32, 0x1c0, v0
	v_cmp_gt_u32_e32 vcc, s22, v32
	s_and_saveexec_b64 s[0:1], vcc
	s_cbranch_execz .LBB155_123
; %bb.122:
	s_waitcnt lgkmcnt(3)
	global_store_dwordx2 v[30:31], v[4:5], off offset:3584
.LBB155_123:
	s_or_b64 exec, exec, s[0:1]
	v_or_b32_e32 v32, 0x200, v0
	v_cmp_gt_u32_e32 vcc, s22, v32
	s_and_saveexec_b64 s[0:1], vcc
	s_cbranch_execz .LBB155_125
; %bb.124:
	v_add_co_u32_e32 v32, vcc, 0x1000, v30
	v_addc_co_u32_e32 v33, vcc, 0, v31, vcc
	s_waitcnt lgkmcnt(2)
	global_store_dwordx2 v[32:33], v[22:23], off
.LBB155_125:
	s_or_b64 exec, exec, s[0:1]
	v_or_b32_e32 v32, 0x240, v0
	v_cmp_gt_u32_e32 vcc, s22, v32
	s_and_saveexec_b64 s[0:1], vcc
	s_cbranch_execz .LBB155_127
; %bb.126:
	v_add_co_u32_e32 v32, vcc, 0x1000, v30
	v_addc_co_u32_e32 v33, vcc, 0, v31, vcc
	s_waitcnt lgkmcnt(2)
	global_store_dwordx2 v[32:33], v[24:25], off offset:512
.LBB155_127:
	s_or_b64 exec, exec, s[0:1]
	v_or_b32_e32 v32, 0x280, v0
	v_cmp_gt_u32_e32 vcc, s22, v32
	s_and_saveexec_b64 s[0:1], vcc
	s_cbranch_execz .LBB155_129
; %bb.128:
	v_add_co_u32_e32 v32, vcc, 0x1000, v30
	v_addc_co_u32_e32 v33, vcc, 0, v31, vcc
	s_waitcnt lgkmcnt(1)
	global_store_dwordx2 v[32:33], v[18:19], off offset:1024
.LBB155_129:
	;; [unrolled: 11-line block ×5, first 2 shown]
	s_or_b64 exec, exec, s[0:1]
	s_load_dword s0, s[4:5], 0x50
	s_waitcnt lgkmcnt(0)
	s_bfe_u32 s0, s0, 0x10008
	s_cmp_eq_u32 s0, 0
	s_cbranch_scc1 .LBB155_186
; %bb.136:
	s_add_u32 s0, s22, -1
	s_addc_u32 s1, s23, -1
	s_lshr_b64 s[4:5], s[0:1], 1
	s_lshr_b32 s7, s1, 1
	s_mul_hi_u32 s5, s4, 0x49249249
	s_mul_i32 s6, s4, 0x49249249
	s_mul_i32 s9, s7, 0x24924925
	s_mul_hi_u32 s4, s4, 0x24924925
	s_mul_hi_u32 s8, s7, 0x24924925
	s_add_u32 s4, s9, s4
	s_addc_u32 s8, s8, 0
	s_add_u32 s4, s6, s4
	s_addc_u32 s4, s5, 0
	;; [unrolled: 2-line block ×3, first 2 shown]
	s_mul_hi_u32 s6, s7, 0x49249249
	s_mul_i32 s7, s7, 0x49249249
	s_add_u32 s4, s7, s4
	s_addc_u32 s5, s6, s5
	s_lshr_b64 s[4:5], s[4:5], 1
	v_cmp_eq_u64_e32 vcc, s[4:5], v[0:1]
	s_and_saveexec_b64 s[4:5], vcc
	s_cbranch_execz .LBB155_186
; %bb.137:
	v_mul_hi_u32_u24_e32 v1, 14, v0
	v_mul_u32_u24_e32 v0, 14, v0
	v_mov_b32_e32 v30, s1
	v_sub_co_u32_e32 v0, vcc, s0, v0
	v_subb_co_u32_e32 v1, vcc, v30, v1, vcc
	v_cmp_lt_i64_e32 vcc, 6, v[0:1]
	s_and_saveexec_b64 s[0:1], vcc
	s_xor_b64 s[0:1], exec, s[0:1]
	s_cbranch_execz .LBB155_163
; %bb.138:
	v_cmp_lt_i64_e32 vcc, 9, v[0:1]
	s_and_saveexec_b64 s[4:5], vcc
	s_xor_b64 s[4:5], exec, s[4:5]
	s_cbranch_execz .LBB155_152
; %bb.139:
	;; [unrolled: 5-line block ×4, first 2 shown]
	v_mov_b32_e32 v0, 0
	global_store_dwordx2 v0, v[28:29], s[2:3]
                                        ; implicit-def: $vgpr26_vgpr27_vgpr28_vgpr29
.LBB155_142:
	s_andn2_saveexec_b64 s[8:9], s[8:9]
	s_cbranch_execz .LBB155_144
; %bb.143:
	v_mov_b32_e32 v0, 0
	global_store_dwordx2 v0, v[26:27], s[2:3]
.LBB155_144:
	s_or_b64 exec, exec, s[8:9]
                                        ; implicit-def: $vgpr18_vgpr19_vgpr20_vgpr21
                                        ; implicit-def: $vgpr0_vgpr1
.LBB155_145:
	s_andn2_saveexec_b64 s[6:7], s[6:7]
	s_cbranch_execz .LBB155_151
; %bb.146:
	v_cmp_lt_i64_e32 vcc, 10, v[0:1]
	s_and_saveexec_b64 s[8:9], vcc
	s_xor_b64 s[8:9], exec, s[8:9]
	s_cbranch_execz .LBB155_148
; %bb.147:
	v_mov_b32_e32 v0, 0
	global_store_dwordx2 v0, v[20:21], s[2:3]
                                        ; implicit-def: $vgpr18_vgpr19_vgpr20_vgpr21
.LBB155_148:
	s_andn2_saveexec_b64 s[8:9], s[8:9]
	s_cbranch_execz .LBB155_150
; %bb.149:
	v_mov_b32_e32 v0, 0
	global_store_dwordx2 v0, v[18:19], s[2:3]
.LBB155_150:
	s_or_b64 exec, exec, s[8:9]
.LBB155_151:
	s_or_b64 exec, exec, s[6:7]
                                        ; implicit-def: $vgpr2_vgpr3_vgpr4_vgpr5
                                        ; implicit-def: $vgpr0_vgpr1
                                        ; implicit-def: $vgpr22_vgpr23_vgpr24_vgpr25
.LBB155_152:
	s_andn2_saveexec_b64 s[4:5], s[4:5]
	s_cbranch_execz .LBB155_162
; %bb.153:
	v_cmp_lt_i64_e32 vcc, 7, v[0:1]
	s_and_saveexec_b64 s[6:7], vcc
	s_xor_b64 s[6:7], exec, s[6:7]
	s_cbranch_execz .LBB155_159
; %bb.154:
	v_cmp_lt_i64_e32 vcc, 8, v[0:1]
	s_and_saveexec_b64 s[8:9], vcc
	s_xor_b64 s[8:9], exec, s[8:9]
	s_cbranch_execz .LBB155_156
; %bb.155:
	v_mov_b32_e32 v0, 0
	global_store_dwordx2 v0, v[24:25], s[2:3]
                                        ; implicit-def: $vgpr22_vgpr23_vgpr24_vgpr25
.LBB155_156:
	s_andn2_saveexec_b64 s[8:9], s[8:9]
	s_cbranch_execz .LBB155_158
; %bb.157:
	v_mov_b32_e32 v0, 0
	global_store_dwordx2 v0, v[22:23], s[2:3]
.LBB155_158:
	s_or_b64 exec, exec, s[8:9]
                                        ; implicit-def: $vgpr2_vgpr3_vgpr4_vgpr5
.LBB155_159:
	s_andn2_saveexec_b64 s[6:7], s[6:7]
	s_cbranch_execz .LBB155_161
; %bb.160:
	v_mov_b32_e32 v0, 0
	global_store_dwordx2 v0, v[4:5], s[2:3]
.LBB155_161:
	s_or_b64 exec, exec, s[6:7]
.LBB155_162:
	s_or_b64 exec, exec, s[4:5]
                                        ; implicit-def: $vgpr0_vgpr1
                                        ; implicit-def: $vgpr14_vgpr15_vgpr16_vgpr17
                                        ; implicit-def: $vgpr6_vgpr7_vgpr8_vgpr9
                                        ; implicit-def: $vgpr10_vgpr11_vgpr12_vgpr13
                                        ; implicit-def: $vgpr2_vgpr3_vgpr4_vgpr5
.LBB155_163:
	s_andn2_saveexec_b64 s[0:1], s[0:1]
	s_cbranch_execz .LBB155_186
; %bb.164:
	v_cmp_lt_i64_e32 vcc, 3, v[0:1]
	s_and_saveexec_b64 s[0:1], vcc
	s_xor_b64 s[0:1], exec, s[0:1]
	s_cbranch_execz .LBB155_174
; %bb.165:
	v_cmp_lt_i64_e32 vcc, 4, v[0:1]
	s_and_saveexec_b64 s[4:5], vcc
	s_xor_b64 s[4:5], exec, s[4:5]
	;; [unrolled: 5-line block ×3, first 2 shown]
	s_cbranch_execz .LBB155_168
; %bb.167:
	v_mov_b32_e32 v0, 0
	global_store_dwordx2 v0, v[2:3], s[2:3]
                                        ; implicit-def: $vgpr14_vgpr15_vgpr16_vgpr17
.LBB155_168:
	s_andn2_saveexec_b64 s[6:7], s[6:7]
	s_cbranch_execz .LBB155_170
; %bb.169:
	v_mov_b32_e32 v0, 0
	global_store_dwordx2 v0, v[16:17], s[2:3]
.LBB155_170:
	s_or_b64 exec, exec, s[6:7]
                                        ; implicit-def: $vgpr14_vgpr15_vgpr16_vgpr17
.LBB155_171:
	s_andn2_saveexec_b64 s[4:5], s[4:5]
	s_cbranch_execz .LBB155_173
; %bb.172:
	v_mov_b32_e32 v0, 0
	global_store_dwordx2 v0, v[14:15], s[2:3]
.LBB155_173:
	s_or_b64 exec, exec, s[4:5]
                                        ; implicit-def: $vgpr0_vgpr1
                                        ; implicit-def: $vgpr6_vgpr7_vgpr8_vgpr9
                                        ; implicit-def: $vgpr10_vgpr11_vgpr12_vgpr13
.LBB155_174:
	s_andn2_saveexec_b64 s[0:1], s[0:1]
	s_cbranch_execz .LBB155_186
; %bb.175:
	v_cmp_lt_i64_e32 vcc, 1, v[0:1]
	s_and_saveexec_b64 s[0:1], vcc
	s_xor_b64 s[0:1], exec, s[0:1]
	s_cbranch_execz .LBB155_181
; %bb.176:
	v_cmp_lt_i64_e32 vcc, 2, v[0:1]
	s_and_saveexec_b64 s[4:5], vcc
	s_xor_b64 s[4:5], exec, s[4:5]
	s_cbranch_execz .LBB155_178
; %bb.177:
	v_mov_b32_e32 v0, 0
	global_store_dwordx2 v0, v[12:13], s[2:3]
                                        ; implicit-def: $vgpr10_vgpr11_vgpr12_vgpr13
.LBB155_178:
	s_andn2_saveexec_b64 s[4:5], s[4:5]
	s_cbranch_execz .LBB155_180
; %bb.179:
	v_mov_b32_e32 v0, 0
	global_store_dwordx2 v0, v[10:11], s[2:3]
.LBB155_180:
	s_or_b64 exec, exec, s[4:5]
                                        ; implicit-def: $vgpr6_vgpr7_vgpr8_vgpr9
                                        ; implicit-def: $vgpr0_vgpr1
.LBB155_181:
	s_andn2_saveexec_b64 s[0:1], s[0:1]
	s_cbranch_execz .LBB155_186
; %bb.182:
	v_cmp_ne_u64_e32 vcc, 1, v[0:1]
	s_and_saveexec_b64 s[0:1], vcc
	s_xor_b64 s[0:1], exec, s[0:1]
	s_cbranch_execz .LBB155_184
; %bb.183:
	v_mov_b32_e32 v0, 0
	global_store_dwordx2 v0, v[6:7], s[2:3]
                                        ; implicit-def: $vgpr6_vgpr7_vgpr8_vgpr9
.LBB155_184:
	s_andn2_saveexec_b64 s[0:1], s[0:1]
	s_cbranch_execz .LBB155_186
; %bb.185:
	v_mov_b32_e32 v0, 0
	global_store_dwordx2 v0, v[8:9], s[2:3]
.LBB155_186:
	s_endpgm
	.section	.rodata,"a",@progbits
	.p2align	6, 0x0
	.amdhsa_kernel _ZN7rocprim6detail20lookback_scan_kernelILNS0_25lookback_scan_determinismE0ELb1ENS0_19wrapped_scan_configINS_14default_configEmEEN6hipcub22TransformInputIteratorImNS6_6CastOpImEEPmlEESA_NS6_3SumENS_12future_valueImSA_EEmNS0_19lookback_scan_stateImLb0ELb1EEEEEvT2_T3_mT5_T4_T7_jPT6_SN_bb
		.amdhsa_group_segment_fixed_size 7168
		.amdhsa_private_segment_fixed_size 0
		.amdhsa_kernarg_size 84
		.amdhsa_user_sgpr_count 6
		.amdhsa_user_sgpr_private_segment_buffer 1
		.amdhsa_user_sgpr_dispatch_ptr 0
		.amdhsa_user_sgpr_queue_ptr 0
		.amdhsa_user_sgpr_kernarg_segment_ptr 1
		.amdhsa_user_sgpr_dispatch_id 0
		.amdhsa_user_sgpr_flat_scratch_init 0
		.amdhsa_user_sgpr_private_segment_size 0
		.amdhsa_uses_dynamic_stack 0
		.amdhsa_system_sgpr_private_segment_wavefront_offset 0
		.amdhsa_system_sgpr_workgroup_id_x 1
		.amdhsa_system_sgpr_workgroup_id_y 0
		.amdhsa_system_sgpr_workgroup_id_z 0
		.amdhsa_system_sgpr_workgroup_info 0
		.amdhsa_system_vgpr_workitem_id 0
		.amdhsa_next_free_vgpr 65
		.amdhsa_next_free_sgpr 98
		.amdhsa_reserve_vcc 1
		.amdhsa_reserve_flat_scratch 0
		.amdhsa_float_round_mode_32 0
		.amdhsa_float_round_mode_16_64 0
		.amdhsa_float_denorm_mode_32 3
		.amdhsa_float_denorm_mode_16_64 3
		.amdhsa_dx10_clamp 1
		.amdhsa_ieee_mode 1
		.amdhsa_fp16_overflow 0
		.amdhsa_exception_fp_ieee_invalid_op 0
		.amdhsa_exception_fp_denorm_src 0
		.amdhsa_exception_fp_ieee_div_zero 0
		.amdhsa_exception_fp_ieee_overflow 0
		.amdhsa_exception_fp_ieee_underflow 0
		.amdhsa_exception_fp_ieee_inexact 0
		.amdhsa_exception_int_div_zero 0
	.end_amdhsa_kernel
	.section	.text._ZN7rocprim6detail20lookback_scan_kernelILNS0_25lookback_scan_determinismE0ELb1ENS0_19wrapped_scan_configINS_14default_configEmEEN6hipcub22TransformInputIteratorImNS6_6CastOpImEEPmlEESA_NS6_3SumENS_12future_valueImSA_EEmNS0_19lookback_scan_stateImLb0ELb1EEEEEvT2_T3_mT5_T4_T7_jPT6_SN_bb,"axG",@progbits,_ZN7rocprim6detail20lookback_scan_kernelILNS0_25lookback_scan_determinismE0ELb1ENS0_19wrapped_scan_configINS_14default_configEmEEN6hipcub22TransformInputIteratorImNS6_6CastOpImEEPmlEESA_NS6_3SumENS_12future_valueImSA_EEmNS0_19lookback_scan_stateImLb0ELb1EEEEEvT2_T3_mT5_T4_T7_jPT6_SN_bb,comdat
.Lfunc_end155:
	.size	_ZN7rocprim6detail20lookback_scan_kernelILNS0_25lookback_scan_determinismE0ELb1ENS0_19wrapped_scan_configINS_14default_configEmEEN6hipcub22TransformInputIteratorImNS6_6CastOpImEEPmlEESA_NS6_3SumENS_12future_valueImSA_EEmNS0_19lookback_scan_stateImLb0ELb1EEEEEvT2_T3_mT5_T4_T7_jPT6_SN_bb, .Lfunc_end155-_ZN7rocprim6detail20lookback_scan_kernelILNS0_25lookback_scan_determinismE0ELb1ENS0_19wrapped_scan_configINS_14default_configEmEEN6hipcub22TransformInputIteratorImNS6_6CastOpImEEPmlEESA_NS6_3SumENS_12future_valueImSA_EEmNS0_19lookback_scan_stateImLb0ELb1EEEEEvT2_T3_mT5_T4_T7_jPT6_SN_bb
                                        ; -- End function
	.set _ZN7rocprim6detail20lookback_scan_kernelILNS0_25lookback_scan_determinismE0ELb1ENS0_19wrapped_scan_configINS_14default_configEmEEN6hipcub22TransformInputIteratorImNS6_6CastOpImEEPmlEESA_NS6_3SumENS_12future_valueImSA_EEmNS0_19lookback_scan_stateImLb0ELb1EEEEEvT2_T3_mT5_T4_T7_jPT6_SN_bb.num_vgpr, 65
	.set _ZN7rocprim6detail20lookback_scan_kernelILNS0_25lookback_scan_determinismE0ELb1ENS0_19wrapped_scan_configINS_14default_configEmEEN6hipcub22TransformInputIteratorImNS6_6CastOpImEEPmlEESA_NS6_3SumENS_12future_valueImSA_EEmNS0_19lookback_scan_stateImLb0ELb1EEEEEvT2_T3_mT5_T4_T7_jPT6_SN_bb.num_agpr, 0
	.set _ZN7rocprim6detail20lookback_scan_kernelILNS0_25lookback_scan_determinismE0ELb1ENS0_19wrapped_scan_configINS_14default_configEmEEN6hipcub22TransformInputIteratorImNS6_6CastOpImEEPmlEESA_NS6_3SumENS_12future_valueImSA_EEmNS0_19lookback_scan_stateImLb0ELb1EEEEEvT2_T3_mT5_T4_T7_jPT6_SN_bb.numbered_sgpr, 26
	.set _ZN7rocprim6detail20lookback_scan_kernelILNS0_25lookback_scan_determinismE0ELb1ENS0_19wrapped_scan_configINS_14default_configEmEEN6hipcub22TransformInputIteratorImNS6_6CastOpImEEPmlEESA_NS6_3SumENS_12future_valueImSA_EEmNS0_19lookback_scan_stateImLb0ELb1EEEEEvT2_T3_mT5_T4_T7_jPT6_SN_bb.num_named_barrier, 0
	.set _ZN7rocprim6detail20lookback_scan_kernelILNS0_25lookback_scan_determinismE0ELb1ENS0_19wrapped_scan_configINS_14default_configEmEEN6hipcub22TransformInputIteratorImNS6_6CastOpImEEPmlEESA_NS6_3SumENS_12future_valueImSA_EEmNS0_19lookback_scan_stateImLb0ELb1EEEEEvT2_T3_mT5_T4_T7_jPT6_SN_bb.private_seg_size, 0
	.set _ZN7rocprim6detail20lookback_scan_kernelILNS0_25lookback_scan_determinismE0ELb1ENS0_19wrapped_scan_configINS_14default_configEmEEN6hipcub22TransformInputIteratorImNS6_6CastOpImEEPmlEESA_NS6_3SumENS_12future_valueImSA_EEmNS0_19lookback_scan_stateImLb0ELb1EEEEEvT2_T3_mT5_T4_T7_jPT6_SN_bb.uses_vcc, 1
	.set _ZN7rocprim6detail20lookback_scan_kernelILNS0_25lookback_scan_determinismE0ELb1ENS0_19wrapped_scan_configINS_14default_configEmEEN6hipcub22TransformInputIteratorImNS6_6CastOpImEEPmlEESA_NS6_3SumENS_12future_valueImSA_EEmNS0_19lookback_scan_stateImLb0ELb1EEEEEvT2_T3_mT5_T4_T7_jPT6_SN_bb.uses_flat_scratch, 0
	.set _ZN7rocprim6detail20lookback_scan_kernelILNS0_25lookback_scan_determinismE0ELb1ENS0_19wrapped_scan_configINS_14default_configEmEEN6hipcub22TransformInputIteratorImNS6_6CastOpImEEPmlEESA_NS6_3SumENS_12future_valueImSA_EEmNS0_19lookback_scan_stateImLb0ELb1EEEEEvT2_T3_mT5_T4_T7_jPT6_SN_bb.has_dyn_sized_stack, 0
	.set _ZN7rocprim6detail20lookback_scan_kernelILNS0_25lookback_scan_determinismE0ELb1ENS0_19wrapped_scan_configINS_14default_configEmEEN6hipcub22TransformInputIteratorImNS6_6CastOpImEEPmlEESA_NS6_3SumENS_12future_valueImSA_EEmNS0_19lookback_scan_stateImLb0ELb1EEEEEvT2_T3_mT5_T4_T7_jPT6_SN_bb.has_recursion, 0
	.set _ZN7rocprim6detail20lookback_scan_kernelILNS0_25lookback_scan_determinismE0ELb1ENS0_19wrapped_scan_configINS_14default_configEmEEN6hipcub22TransformInputIteratorImNS6_6CastOpImEEPmlEESA_NS6_3SumENS_12future_valueImSA_EEmNS0_19lookback_scan_stateImLb0ELb1EEEEEvT2_T3_mT5_T4_T7_jPT6_SN_bb.has_indirect_call, 0
	.section	.AMDGPU.csdata,"",@progbits
; Kernel info:
; codeLenInByte = 5556
; TotalNumSgprs: 30
; NumVgprs: 65
; ScratchSize: 0
; MemoryBound: 0
; FloatMode: 240
; IeeeMode: 1
; LDSByteSize: 7168 bytes/workgroup (compile time only)
; SGPRBlocks: 12
; VGPRBlocks: 16
; NumSGPRsForWavesPerEU: 102
; NumVGPRsForWavesPerEU: 65
; Occupancy: 3
; WaveLimiterHint : 1
; COMPUTE_PGM_RSRC2:SCRATCH_EN: 0
; COMPUTE_PGM_RSRC2:USER_SGPR: 6
; COMPUTE_PGM_RSRC2:TRAP_HANDLER: 0
; COMPUTE_PGM_RSRC2:TGID_X_EN: 1
; COMPUTE_PGM_RSRC2:TGID_Y_EN: 0
; COMPUTE_PGM_RSRC2:TGID_Z_EN: 0
; COMPUTE_PGM_RSRC2:TIDIG_COMP_CNT: 0
	.section	.text._ZN7rocprim6detail18single_scan_kernelILb1ENS0_19wrapped_scan_configINS_14default_configEmEEN6hipcub22TransformInputIteratorImNS5_6CastOpImEEPmlEES9_NS5_3SumENS_12future_valueImS9_EEmEEvT1_mT4_T2_T3_,"axG",@progbits,_ZN7rocprim6detail18single_scan_kernelILb1ENS0_19wrapped_scan_configINS_14default_configEmEEN6hipcub22TransformInputIteratorImNS5_6CastOpImEEPmlEES9_NS5_3SumENS_12future_valueImS9_EEmEEvT1_mT4_T2_T3_,comdat
	.protected	_ZN7rocprim6detail18single_scan_kernelILb1ENS0_19wrapped_scan_configINS_14default_configEmEEN6hipcub22TransformInputIteratorImNS5_6CastOpImEEPmlEES9_NS5_3SumENS_12future_valueImS9_EEmEEvT1_mT4_T2_T3_ ; -- Begin function _ZN7rocprim6detail18single_scan_kernelILb1ENS0_19wrapped_scan_configINS_14default_configEmEEN6hipcub22TransformInputIteratorImNS5_6CastOpImEEPmlEES9_NS5_3SumENS_12future_valueImS9_EEmEEvT1_mT4_T2_T3_
	.globl	_ZN7rocprim6detail18single_scan_kernelILb1ENS0_19wrapped_scan_configINS_14default_configEmEEN6hipcub22TransformInputIteratorImNS5_6CastOpImEEPmlEES9_NS5_3SumENS_12future_valueImS9_EEmEEvT1_mT4_T2_T3_
	.p2align	8
	.type	_ZN7rocprim6detail18single_scan_kernelILb1ENS0_19wrapped_scan_configINS_14default_configEmEEN6hipcub22TransformInputIteratorImNS5_6CastOpImEEPmlEES9_NS5_3SumENS_12future_valueImS9_EEmEEvT1_mT4_T2_T3_,@function
_ZN7rocprim6detail18single_scan_kernelILb1ENS0_19wrapped_scan_configINS_14default_configEmEEN6hipcub22TransformInputIteratorImNS5_6CastOpImEEPmlEES9_NS5_3SumENS_12future_valueImS9_EEmEEvT1_mT4_T2_T3_: ; @_ZN7rocprim6detail18single_scan_kernelILb1ENS0_19wrapped_scan_configINS_14default_configEmEEN6hipcub22TransformInputIteratorImNS5_6CastOpImEEPmlEES9_NS5_3SumENS_12future_valueImS9_EEmEEvT1_mT4_T2_T3_
; %bb.0:
	s_load_dwordx2 s[0:1], s[4:5], 0x0
	s_load_dwordx4 s[36:39], s[4:5], 0x10
	v_lshlrev_b32_e32 v31, 3, v0
	s_waitcnt lgkmcnt(0)
	s_load_dwordx2 s[30:31], s[0:1], 0x0
	v_mov_b32_e32 v1, s1
	v_add_co_u32_e32 v3, vcc, s0, v31
	v_addc_co_u32_e32 v4, vcc, 0, v1, vcc
	s_waitcnt lgkmcnt(0)
	v_mov_b32_e32 v1, s30
	v_cmp_gt_u32_e64 s[0:1], s36, v0
	v_mov_b32_e32 v2, s31
	s_and_saveexec_b64 s[2:3], s[0:1]
	s_cbranch_execz .LBB156_2
; %bb.1:
	global_load_dwordx2 v[1:2], v[3:4], off
.LBB156_2:
	s_or_b64 exec, exec, s[2:3]
	v_or_b32_e32 v5, 64, v0
	v_cmp_gt_u32_e64 s[2:3], s36, v5
	v_mov_b32_e32 v5, s30
	v_mov_b32_e32 v6, s31
	s_and_saveexec_b64 s[6:7], s[2:3]
	s_cbranch_execz .LBB156_4
; %bb.3:
	global_load_dwordx2 v[5:6], v[3:4], off offset:512
.LBB156_4:
	s_or_b64 exec, exec, s[6:7]
	v_or_b32_e32 v7, 0x80, v0
	v_cmp_gt_u32_e64 s[28:29], s36, v7
	v_mov_b32_e32 v7, s30
	v_mov_b32_e32 v8, s31
	s_and_saveexec_b64 s[6:7], s[28:29]
	s_cbranch_execz .LBB156_6
; %bb.5:
	global_load_dwordx2 v[7:8], v[3:4], off offset:1024
.LBB156_6:
	;; [unrolled: 10-line block ×7, first 2 shown]
	s_or_b64 exec, exec, s[16:17]
	v_or_b32_e32 v19, 0x200, v0
	v_cmp_gt_u32_e64 s[16:17], s36, v19
	v_mov_b32_e32 v19, s30
	v_mov_b32_e32 v20, s31
	s_and_saveexec_b64 s[18:19], s[16:17]
	s_cbranch_execz .LBB156_18
; %bb.17:
	v_add_co_u32_e32 v19, vcc, 0x1000, v3
	v_addc_co_u32_e32 v20, vcc, 0, v4, vcc
	global_load_dwordx2 v[19:20], v[19:20], off
.LBB156_18:
	s_or_b64 exec, exec, s[18:19]
	v_or_b32_e32 v21, 0x240, v0
	v_cmp_gt_u32_e64 s[18:19], s36, v21
	v_mov_b32_e32 v21, s30
	v_mov_b32_e32 v22, s31
	s_and_saveexec_b64 s[20:21], s[18:19]
	s_cbranch_execz .LBB156_20
; %bb.19:
	v_add_co_u32_e32 v21, vcc, 0x1000, v3
	v_addc_co_u32_e32 v22, vcc, 0, v4, vcc
	global_load_dwordx2 v[21:22], v[21:22], off offset:512
.LBB156_20:
	s_or_b64 exec, exec, s[20:21]
	v_or_b32_e32 v23, 0x280, v0
	v_cmp_gt_u32_e64 s[20:21], s36, v23
	v_mov_b32_e32 v23, s30
	v_mov_b32_e32 v24, s31
	s_and_saveexec_b64 s[22:23], s[20:21]
	s_cbranch_execz .LBB156_22
; %bb.21:
	v_add_co_u32_e32 v23, vcc, 0x1000, v3
	v_addc_co_u32_e32 v24, vcc, 0, v4, vcc
	global_load_dwordx2 v[23:24], v[23:24], off offset:1024
.LBB156_22:
	;; [unrolled: 12-line block ×5, first 2 shown]
	s_or_b64 exec, exec, s[30:31]
	s_movk_i32 s33, 0x68
	s_load_dwordx2 s[30:31], s[38:39], 0x0
	s_waitcnt vmcnt(0)
	ds_write2st64_b64 v31, v[1:2], v[5:6] offset1:1
	ds_write2st64_b64 v31, v[7:8], v[9:10] offset0:2 offset1:3
	ds_write2st64_b64 v31, v[11:12], v[13:14] offset0:4 offset1:5
	;; [unrolled: 1-line block ×6, first 2 shown]
	v_mad_u32_u24 v25, v0, s33, v31
	s_waitcnt lgkmcnt(0)
	; wave barrier
	ds_read_b128 v[13:16], v25
	ds_read_b128 v[9:12], v25 offset:16
	ds_read_b128 v[5:8], v25 offset:32
	;; [unrolled: 1-line block ×6, first 2 shown]
	s_waitcnt lgkmcnt(6)
	v_add_co_u32_e32 v29, vcc, v15, v13
	v_addc_co_u32_e32 v30, vcc, v16, v14, vcc
	s_waitcnt lgkmcnt(5)
	v_add_co_u32_e32 v29, vcc, v29, v9
	v_addc_co_u32_e32 v30, vcc, v30, v10, vcc
	v_add_co_u32_e32 v29, vcc, v29, v11
	v_addc_co_u32_e32 v30, vcc, v30, v12, vcc
	s_waitcnt lgkmcnt(4)
	v_add_co_u32_e32 v29, vcc, v29, v5
	v_addc_co_u32_e32 v30, vcc, v30, v6, vcc
	;; [unrolled: 5-line block ×6, first 2 shown]
	v_add_co_u32_e32 v27, vcc, v29, v27
	v_mbcnt_lo_u32_b32 v29, -1, 0
	v_mbcnt_hi_u32_b32 v29, -1, v29
	v_addc_co_u32_e32 v28, vcc, v30, v28, vcc
	v_and_b32_e32 v32, 15, v29
	v_mov_b32_dpp v34, v27 row_shr:1 row_mask:0xf bank_mask:0xf
	v_mov_b32_dpp v33, v28 row_shr:1 row_mask:0xf bank_mask:0xf
	v_cmp_ne_u32_e32 vcc, 0, v32
	v_mov_b32_e32 v30, v27
	; wave barrier
	s_and_saveexec_b64 s[34:35], vcc
; %bb.29:
	v_add_co_u32_e32 v30, vcc, v27, v34
	v_addc_co_u32_e32 v28, vcc, 0, v28, vcc
	v_add_co_u32_e32 v27, vcc, 0, v30
	v_addc_co_u32_e32 v28, vcc, v33, v28, vcc
; %bb.30:
	s_or_b64 exec, exec, s[34:35]
	v_mov_b32_dpp v34, v30 row_shr:2 row_mask:0xf bank_mask:0xf
	v_mov_b32_dpp v33, v28 row_shr:2 row_mask:0xf bank_mask:0xf
	v_cmp_lt_u32_e32 vcc, 1, v32
	s_and_saveexec_b64 s[34:35], vcc
; %bb.31:
	v_add_co_u32_e32 v30, vcc, v27, v34
	v_addc_co_u32_e32 v28, vcc, 0, v28, vcc
	v_add_co_u32_e32 v27, vcc, 0, v30
	v_addc_co_u32_e32 v28, vcc, v33, v28, vcc
; %bb.32:
	s_or_b64 exec, exec, s[34:35]
	v_mov_b32_dpp v34, v30 row_shr:4 row_mask:0xf bank_mask:0xf
	v_mov_b32_dpp v33, v28 row_shr:4 row_mask:0xf bank_mask:0xf
	v_cmp_lt_u32_e32 vcc, 3, v32
	s_and_saveexec_b64 s[34:35], vcc
; %bb.33:
	v_add_co_u32_e32 v30, vcc, v27, v34
	v_addc_co_u32_e32 v28, vcc, 0, v28, vcc
	v_add_co_u32_e32 v27, vcc, 0, v30
	v_addc_co_u32_e32 v28, vcc, v33, v28, vcc
; %bb.34:
	s_or_b64 exec, exec, s[34:35]
	s_load_dwordx2 s[34:35], s[4:5], 0x20
	v_mov_b32_dpp v34, v30 row_shr:8 row_mask:0xf bank_mask:0xf
	v_mov_b32_dpp v33, v28 row_shr:8 row_mask:0xf bank_mask:0xf
	v_cmp_lt_u32_e32 vcc, 7, v32
	s_and_saveexec_b64 s[4:5], vcc
; %bb.35:
	v_add_co_u32_e32 v30, vcc, v27, v34
	v_addc_co_u32_e32 v28, vcc, 0, v28, vcc
	v_add_co_u32_e32 v27, vcc, 0, v30
	v_addc_co_u32_e32 v28, vcc, v33, v28, vcc
; %bb.36:
	s_or_b64 exec, exec, s[4:5]
	v_and_b32_e32 v34, 16, v29
	v_mov_b32_dpp v33, v30 row_bcast:15 row_mask:0xf bank_mask:0xf
	v_mov_b32_dpp v32, v28 row_bcast:15 row_mask:0xf bank_mask:0xf
	v_cmp_ne_u32_e32 vcc, 0, v34
	s_and_saveexec_b64 s[4:5], vcc
; %bb.37:
	v_add_co_u32_e32 v30, vcc, v27, v33
	v_addc_co_u32_e32 v28, vcc, 0, v28, vcc
	v_add_co_u32_e32 v27, vcc, 0, v30
	v_addc_co_u32_e32 v28, vcc, v32, v28, vcc
; %bb.38:
	s_or_b64 exec, exec, s[4:5]
	v_mov_b32_dpp v33, v30 row_bcast:31 row_mask:0xf bank_mask:0xf
	v_add_co_u32_e32 v33, vcc, v27, v33
	v_addc_co_u32_e32 v35, vcc, 0, v28, vcc
	v_mov_b32_dpp v34, v28 row_bcast:31 row_mask:0xf bank_mask:0xf
	v_add_co_u32_e32 v33, vcc, 0, v33
	v_addc_co_u32_e32 v34, vcc, v35, v34, vcc
	v_cmp_lt_u32_e32 vcc, 31, v29
	v_mul_u32_u24_e32 v32, 0x68, v0
	v_mov_b32_e32 v30, 0
	v_cndmask_b32_e32 v28, v28, v34, vcc
	v_cndmask_b32_e32 v27, v27, v33, vcc
	v_cmp_eq_u32_e32 vcc, 63, v0
	s_and_saveexec_b64 s[4:5], vcc
; %bb.39:
	ds_write_b64 v30, v[27:28]
; %bb.40:
	s_or_b64 exec, exec, s[4:5]
	v_mov_b32_e32 v30, s31
	v_add_co_u32_e32 v27, vcc, s30, v27
	v_addc_co_u32_e32 v28, vcc, v28, v30, vcc
	v_subrev_co_u32_e32 v30, vcc, 1, v29
	v_and_b32_e32 v33, 64, v29
	v_cmp_lt_i32_e64 s[4:5], v30, v33
	v_cndmask_b32_e64 v29, v30, v29, s[4:5]
	v_lshlrev_b32_e32 v29, 2, v29
	ds_bpermute_b32 v28, v29, v28
	ds_bpermute_b32 v27, v29, v27
	v_cmp_eq_u32_e64 s[4:5], 0, v0
	v_mov_b32_e32 v0, s31
	s_or_b64 vcc, s[4:5], vcc
	s_waitcnt lgkmcnt(0)
	v_cndmask_b32_e32 v28, v28, v0, vcc
	v_mov_b32_e32 v0, s30
	v_cndmask_b32_e32 v27, v27, v0, vcc
	v_add_co_u32_e32 v29, vcc, v27, v13
	v_addc_co_u32_e32 v30, vcc, v28, v14, vcc
	v_add_co_u32_e32 v13, vcc, v29, v15
	v_addc_co_u32_e32 v14, vcc, v30, v16, vcc
	;; [unrolled: 2-line block ×13, first 2 shown]
	v_add_u32_e32 v4, v31, v32
	; wave barrier
	; wave barrier
	ds_write_b128 v4, v[27:30]
	ds_write_b128 v4, v[13:16] offset:16
	ds_write_b128 v4, v[9:12] offset:32
	;; [unrolled: 1-line block ×6, first 2 shown]
	s_waitcnt lgkmcnt(0)
	; wave barrier
	ds_read2st64_b64 v[20:23], v31 offset0:1 offset1:2
	ds_read2st64_b64 v[16:19], v31 offset0:3 offset1:4
	;; [unrolled: 1-line block ×6, first 2 shown]
	ds_read_b64 v[24:25], v31 offset:6656
	v_mov_b32_e32 v27, s35
	v_add_co_u32_e32 v26, vcc, s34, v31
	v_addc_co_u32_e32 v27, vcc, 0, v27, vcc
	s_and_saveexec_b64 s[4:5], s[0:1]
	s_cbranch_execnz .LBB156_55
; %bb.41:
	s_or_b64 exec, exec, s[4:5]
	s_and_saveexec_b64 s[0:1], s[2:3]
	s_cbranch_execnz .LBB156_56
.LBB156_42:
	s_or_b64 exec, exec, s[0:1]
	s_and_saveexec_b64 s[0:1], s[28:29]
	s_cbranch_execnz .LBB156_57
.LBB156_43:
	s_or_b64 exec, exec, s[0:1]
	s_and_saveexec_b64 s[0:1], s[6:7]
	s_cbranch_execnz .LBB156_58
.LBB156_44:
	s_or_b64 exec, exec, s[0:1]
	s_and_saveexec_b64 s[0:1], s[8:9]
	s_cbranch_execnz .LBB156_59
.LBB156_45:
	s_or_b64 exec, exec, s[0:1]
	s_and_saveexec_b64 s[0:1], s[10:11]
	s_cbranch_execnz .LBB156_60
.LBB156_46:
	s_or_b64 exec, exec, s[0:1]
	s_and_saveexec_b64 s[0:1], s[12:13]
	s_cbranch_execnz .LBB156_61
.LBB156_47:
	s_or_b64 exec, exec, s[0:1]
	s_and_saveexec_b64 s[0:1], s[14:15]
	s_cbranch_execnz .LBB156_62
.LBB156_48:
	s_or_b64 exec, exec, s[0:1]
	s_and_saveexec_b64 s[0:1], s[16:17]
	s_cbranch_execnz .LBB156_63
.LBB156_49:
	s_or_b64 exec, exec, s[0:1]
	s_and_saveexec_b64 s[0:1], s[18:19]
	s_cbranch_execnz .LBB156_64
.LBB156_50:
	s_or_b64 exec, exec, s[0:1]
	s_and_saveexec_b64 s[0:1], s[20:21]
	s_cbranch_execnz .LBB156_65
.LBB156_51:
	s_or_b64 exec, exec, s[0:1]
	s_and_saveexec_b64 s[0:1], s[22:23]
	s_cbranch_execnz .LBB156_66
.LBB156_52:
	s_or_b64 exec, exec, s[0:1]
	s_and_saveexec_b64 s[0:1], s[24:25]
	s_cbranch_execnz .LBB156_67
.LBB156_53:
	s_or_b64 exec, exec, s[0:1]
	s_and_saveexec_b64 s[0:1], s[26:27]
	s_cbranch_execnz .LBB156_68
.LBB156_54:
	s_endpgm
.LBB156_55:
	ds_read_b64 v[28:29], v31
	s_waitcnt lgkmcnt(0)
	global_store_dwordx2 v[26:27], v[28:29], off
	s_or_b64 exec, exec, s[4:5]
	s_and_saveexec_b64 s[0:1], s[2:3]
	s_cbranch_execz .LBB156_42
.LBB156_56:
	s_waitcnt lgkmcnt(6)
	global_store_dwordx2 v[26:27], v[20:21], off offset:512
	s_or_b64 exec, exec, s[0:1]
	s_and_saveexec_b64 s[0:1], s[28:29]
	s_cbranch_execz .LBB156_43
.LBB156_57:
	s_waitcnt lgkmcnt(6)
	global_store_dwordx2 v[26:27], v[22:23], off offset:1024
	s_or_b64 exec, exec, s[0:1]
	s_and_saveexec_b64 s[0:1], s[6:7]
	s_cbranch_execz .LBB156_44
.LBB156_58:
	s_waitcnt lgkmcnt(5)
	global_store_dwordx2 v[26:27], v[16:17], off offset:1536
	s_or_b64 exec, exec, s[0:1]
	s_and_saveexec_b64 s[0:1], s[8:9]
	s_cbranch_execz .LBB156_45
.LBB156_59:
	s_waitcnt lgkmcnt(5)
	global_store_dwordx2 v[26:27], v[18:19], off offset:2048
	s_or_b64 exec, exec, s[0:1]
	s_and_saveexec_b64 s[0:1], s[10:11]
	s_cbranch_execz .LBB156_46
.LBB156_60:
	s_waitcnt lgkmcnt(4)
	global_store_dwordx2 v[26:27], v[12:13], off offset:2560
	s_or_b64 exec, exec, s[0:1]
	s_and_saveexec_b64 s[0:1], s[12:13]
	s_cbranch_execz .LBB156_47
.LBB156_61:
	s_waitcnt lgkmcnt(4)
	global_store_dwordx2 v[26:27], v[14:15], off offset:3072
	s_or_b64 exec, exec, s[0:1]
	s_and_saveexec_b64 s[0:1], s[14:15]
	s_cbranch_execz .LBB156_48
.LBB156_62:
	s_waitcnt lgkmcnt(3)
	global_store_dwordx2 v[26:27], v[8:9], off offset:3584
	s_or_b64 exec, exec, s[0:1]
	s_and_saveexec_b64 s[0:1], s[16:17]
	s_cbranch_execz .LBB156_49
.LBB156_63:
	s_waitcnt lgkmcnt(3)
	v_add_co_u32_e32 v8, vcc, 0x1000, v26
	v_addc_co_u32_e32 v9, vcc, 0, v27, vcc
	global_store_dwordx2 v[8:9], v[10:11], off
	s_or_b64 exec, exec, s[0:1]
	s_and_saveexec_b64 s[0:1], s[18:19]
	s_cbranch_execz .LBB156_50
.LBB156_64:
	s_waitcnt lgkmcnt(3)
	v_add_co_u32_e32 v8, vcc, 0x1000, v26
	v_addc_co_u32_e32 v9, vcc, 0, v27, vcc
	s_waitcnt lgkmcnt(2)
	global_store_dwordx2 v[8:9], v[4:5], off offset:512
	s_or_b64 exec, exec, s[0:1]
	s_and_saveexec_b64 s[0:1], s[20:21]
	s_cbranch_execz .LBB156_51
.LBB156_65:
	s_waitcnt lgkmcnt(2)
	v_add_co_u32_e32 v4, vcc, 0x1000, v26
	v_addc_co_u32_e32 v5, vcc, 0, v27, vcc
	global_store_dwordx2 v[4:5], v[6:7], off offset:1024
	s_or_b64 exec, exec, s[0:1]
	s_and_saveexec_b64 s[0:1], s[22:23]
	s_cbranch_execz .LBB156_52
.LBB156_66:
	s_waitcnt lgkmcnt(2)
	v_add_co_u32_e32 v4, vcc, 0x1000, v26
	v_addc_co_u32_e32 v5, vcc, 0, v27, vcc
	s_waitcnt lgkmcnt(1)
	global_store_dwordx2 v[4:5], v[0:1], off offset:1536
	s_or_b64 exec, exec, s[0:1]
	s_and_saveexec_b64 s[0:1], s[24:25]
	s_cbranch_execz .LBB156_53
.LBB156_67:
	s_waitcnt lgkmcnt(1)
	v_add_co_u32_e32 v0, vcc, 0x1000, v26
	v_addc_co_u32_e32 v1, vcc, 0, v27, vcc
	global_store_dwordx2 v[0:1], v[2:3], off offset:2048
	s_or_b64 exec, exec, s[0:1]
	s_and_saveexec_b64 s[0:1], s[26:27]
	s_cbranch_execz .LBB156_54
.LBB156_68:
	s_waitcnt lgkmcnt(1)
	v_add_co_u32_e32 v0, vcc, 0x1000, v26
	v_addc_co_u32_e32 v1, vcc, 0, v27, vcc
	s_waitcnt lgkmcnt(0)
	global_store_dwordx2 v[0:1], v[24:25], off offset:2560
	s_endpgm
	.section	.rodata,"a",@progbits
	.p2align	6, 0x0
	.amdhsa_kernel _ZN7rocprim6detail18single_scan_kernelILb1ENS0_19wrapped_scan_configINS_14default_configEmEEN6hipcub22TransformInputIteratorImNS5_6CastOpImEEPmlEES9_NS5_3SumENS_12future_valueImS9_EEmEEvT1_mT4_T2_T3_
		.amdhsa_group_segment_fixed_size 7168
		.amdhsa_private_segment_fixed_size 0
		.amdhsa_kernarg_size 44
		.amdhsa_user_sgpr_count 6
		.amdhsa_user_sgpr_private_segment_buffer 1
		.amdhsa_user_sgpr_dispatch_ptr 0
		.amdhsa_user_sgpr_queue_ptr 0
		.amdhsa_user_sgpr_kernarg_segment_ptr 1
		.amdhsa_user_sgpr_dispatch_id 0
		.amdhsa_user_sgpr_flat_scratch_init 0
		.amdhsa_user_sgpr_private_segment_size 0
		.amdhsa_uses_dynamic_stack 0
		.amdhsa_system_sgpr_private_segment_wavefront_offset 0
		.amdhsa_system_sgpr_workgroup_id_x 1
		.amdhsa_system_sgpr_workgroup_id_y 0
		.amdhsa_system_sgpr_workgroup_id_z 0
		.amdhsa_system_sgpr_workgroup_info 0
		.amdhsa_system_vgpr_workitem_id 0
		.amdhsa_next_free_vgpr 65
		.amdhsa_next_free_sgpr 98
		.amdhsa_reserve_vcc 1
		.amdhsa_reserve_flat_scratch 0
		.amdhsa_float_round_mode_32 0
		.amdhsa_float_round_mode_16_64 0
		.amdhsa_float_denorm_mode_32 3
		.amdhsa_float_denorm_mode_16_64 3
		.amdhsa_dx10_clamp 1
		.amdhsa_ieee_mode 1
		.amdhsa_fp16_overflow 0
		.amdhsa_exception_fp_ieee_invalid_op 0
		.amdhsa_exception_fp_denorm_src 0
		.amdhsa_exception_fp_ieee_div_zero 0
		.amdhsa_exception_fp_ieee_overflow 0
		.amdhsa_exception_fp_ieee_underflow 0
		.amdhsa_exception_fp_ieee_inexact 0
		.amdhsa_exception_int_div_zero 0
	.end_amdhsa_kernel
	.section	.text._ZN7rocprim6detail18single_scan_kernelILb1ENS0_19wrapped_scan_configINS_14default_configEmEEN6hipcub22TransformInputIteratorImNS5_6CastOpImEEPmlEES9_NS5_3SumENS_12future_valueImS9_EEmEEvT1_mT4_T2_T3_,"axG",@progbits,_ZN7rocprim6detail18single_scan_kernelILb1ENS0_19wrapped_scan_configINS_14default_configEmEEN6hipcub22TransformInputIteratorImNS5_6CastOpImEEPmlEES9_NS5_3SumENS_12future_valueImS9_EEmEEvT1_mT4_T2_T3_,comdat
.Lfunc_end156:
	.size	_ZN7rocprim6detail18single_scan_kernelILb1ENS0_19wrapped_scan_configINS_14default_configEmEEN6hipcub22TransformInputIteratorImNS5_6CastOpImEEPmlEES9_NS5_3SumENS_12future_valueImS9_EEmEEvT1_mT4_T2_T3_, .Lfunc_end156-_ZN7rocprim6detail18single_scan_kernelILb1ENS0_19wrapped_scan_configINS_14default_configEmEEN6hipcub22TransformInputIteratorImNS5_6CastOpImEEPmlEES9_NS5_3SumENS_12future_valueImS9_EEmEEvT1_mT4_T2_T3_
                                        ; -- End function
	.set _ZN7rocprim6detail18single_scan_kernelILb1ENS0_19wrapped_scan_configINS_14default_configEmEEN6hipcub22TransformInputIteratorImNS5_6CastOpImEEPmlEES9_NS5_3SumENS_12future_valueImS9_EEmEEvT1_mT4_T2_T3_.num_vgpr, 36
	.set _ZN7rocprim6detail18single_scan_kernelILb1ENS0_19wrapped_scan_configINS_14default_configEmEEN6hipcub22TransformInputIteratorImNS5_6CastOpImEEPmlEES9_NS5_3SumENS_12future_valueImS9_EEmEEvT1_mT4_T2_T3_.num_agpr, 0
	.set _ZN7rocprim6detail18single_scan_kernelILb1ENS0_19wrapped_scan_configINS_14default_configEmEEN6hipcub22TransformInputIteratorImNS5_6CastOpImEEPmlEES9_NS5_3SumENS_12future_valueImS9_EEmEEvT1_mT4_T2_T3_.numbered_sgpr, 40
	.set _ZN7rocprim6detail18single_scan_kernelILb1ENS0_19wrapped_scan_configINS_14default_configEmEEN6hipcub22TransformInputIteratorImNS5_6CastOpImEEPmlEES9_NS5_3SumENS_12future_valueImS9_EEmEEvT1_mT4_T2_T3_.num_named_barrier, 0
	.set _ZN7rocprim6detail18single_scan_kernelILb1ENS0_19wrapped_scan_configINS_14default_configEmEEN6hipcub22TransformInputIteratorImNS5_6CastOpImEEPmlEES9_NS5_3SumENS_12future_valueImS9_EEmEEvT1_mT4_T2_T3_.private_seg_size, 0
	.set _ZN7rocprim6detail18single_scan_kernelILb1ENS0_19wrapped_scan_configINS_14default_configEmEEN6hipcub22TransformInputIteratorImNS5_6CastOpImEEPmlEES9_NS5_3SumENS_12future_valueImS9_EEmEEvT1_mT4_T2_T3_.uses_vcc, 1
	.set _ZN7rocprim6detail18single_scan_kernelILb1ENS0_19wrapped_scan_configINS_14default_configEmEEN6hipcub22TransformInputIteratorImNS5_6CastOpImEEPmlEES9_NS5_3SumENS_12future_valueImS9_EEmEEvT1_mT4_T2_T3_.uses_flat_scratch, 0
	.set _ZN7rocprim6detail18single_scan_kernelILb1ENS0_19wrapped_scan_configINS_14default_configEmEEN6hipcub22TransformInputIteratorImNS5_6CastOpImEEPmlEES9_NS5_3SumENS_12future_valueImS9_EEmEEvT1_mT4_T2_T3_.has_dyn_sized_stack, 0
	.set _ZN7rocprim6detail18single_scan_kernelILb1ENS0_19wrapped_scan_configINS_14default_configEmEEN6hipcub22TransformInputIteratorImNS5_6CastOpImEEPmlEES9_NS5_3SumENS_12future_valueImS9_EEmEEvT1_mT4_T2_T3_.has_recursion, 0
	.set _ZN7rocprim6detail18single_scan_kernelILb1ENS0_19wrapped_scan_configINS_14default_configEmEEN6hipcub22TransformInputIteratorImNS5_6CastOpImEEPmlEES9_NS5_3SumENS_12future_valueImS9_EEmEEvT1_mT4_T2_T3_.has_indirect_call, 0
	.section	.AMDGPU.csdata,"",@progbits
; Kernel info:
; codeLenInByte = 2240
; TotalNumSgprs: 44
; NumVgprs: 36
; ScratchSize: 0
; MemoryBound: 0
; FloatMode: 240
; IeeeMode: 1
; LDSByteSize: 7168 bytes/workgroup (compile time only)
; SGPRBlocks: 12
; VGPRBlocks: 16
; NumSGPRsForWavesPerEU: 102
; NumVGPRsForWavesPerEU: 65
; Occupancy: 3
; WaveLimiterHint : 0
; COMPUTE_PGM_RSRC2:SCRATCH_EN: 0
; COMPUTE_PGM_RSRC2:USER_SGPR: 6
; COMPUTE_PGM_RSRC2:TRAP_HANDLER: 0
; COMPUTE_PGM_RSRC2:TGID_X_EN: 1
; COMPUTE_PGM_RSRC2:TGID_Y_EN: 0
; COMPUTE_PGM_RSRC2:TGID_Z_EN: 0
; COMPUTE_PGM_RSRC2:TIDIG_COMP_CNT: 0
	.section	.text._ZL18fill_initial_valueImEvPT_S0_,"axG",@progbits,_ZL18fill_initial_valueImEvPT_S0_,comdat
	.globl	_ZL18fill_initial_valueImEvPT_S0_ ; -- Begin function _ZL18fill_initial_valueImEvPT_S0_
	.p2align	8
	.type	_ZL18fill_initial_valueImEvPT_S0_,@function
_ZL18fill_initial_valueImEvPT_S0_:      ; @_ZL18fill_initial_valueImEvPT_S0_
; %bb.0:
	s_load_dwordx4 s[0:3], s[4:5], 0x0
	v_mov_b32_e32 v2, 0
	s_waitcnt lgkmcnt(0)
	v_mov_b32_e32 v0, s2
	v_mov_b32_e32 v1, s3
	global_store_dwordx2 v2, v[0:1], s[0:1]
	s_endpgm
	.section	.rodata,"a",@progbits
	.p2align	6, 0x0
	.amdhsa_kernel _ZL18fill_initial_valueImEvPT_S0_
		.amdhsa_group_segment_fixed_size 0
		.amdhsa_private_segment_fixed_size 0
		.amdhsa_kernarg_size 16
		.amdhsa_user_sgpr_count 6
		.amdhsa_user_sgpr_private_segment_buffer 1
		.amdhsa_user_sgpr_dispatch_ptr 0
		.amdhsa_user_sgpr_queue_ptr 0
		.amdhsa_user_sgpr_kernarg_segment_ptr 1
		.amdhsa_user_sgpr_dispatch_id 0
		.amdhsa_user_sgpr_flat_scratch_init 0
		.amdhsa_user_sgpr_private_segment_size 0
		.amdhsa_uses_dynamic_stack 0
		.amdhsa_system_sgpr_private_segment_wavefront_offset 0
		.amdhsa_system_sgpr_workgroup_id_x 1
		.amdhsa_system_sgpr_workgroup_id_y 0
		.amdhsa_system_sgpr_workgroup_id_z 0
		.amdhsa_system_sgpr_workgroup_info 0
		.amdhsa_system_vgpr_workitem_id 0
		.amdhsa_next_free_vgpr 3
		.amdhsa_next_free_sgpr 6
		.amdhsa_reserve_vcc 0
		.amdhsa_reserve_flat_scratch 0
		.amdhsa_float_round_mode_32 0
		.amdhsa_float_round_mode_16_64 0
		.amdhsa_float_denorm_mode_32 3
		.amdhsa_float_denorm_mode_16_64 3
		.amdhsa_dx10_clamp 1
		.amdhsa_ieee_mode 1
		.amdhsa_fp16_overflow 0
		.amdhsa_exception_fp_ieee_invalid_op 0
		.amdhsa_exception_fp_denorm_src 0
		.amdhsa_exception_fp_ieee_div_zero 0
		.amdhsa_exception_fp_ieee_overflow 0
		.amdhsa_exception_fp_ieee_underflow 0
		.amdhsa_exception_fp_ieee_inexact 0
		.amdhsa_exception_int_div_zero 0
	.end_amdhsa_kernel
	.section	.text._ZL18fill_initial_valueImEvPT_S0_,"axG",@progbits,_ZL18fill_initial_valueImEvPT_S0_,comdat
.Lfunc_end157:
	.size	_ZL18fill_initial_valueImEvPT_S0_, .Lfunc_end157-_ZL18fill_initial_valueImEvPT_S0_
                                        ; -- End function
	.set _ZL18fill_initial_valueImEvPT_S0_.num_vgpr, 3
	.set _ZL18fill_initial_valueImEvPT_S0_.num_agpr, 0
	.set _ZL18fill_initial_valueImEvPT_S0_.numbered_sgpr, 6
	.set _ZL18fill_initial_valueImEvPT_S0_.num_named_barrier, 0
	.set _ZL18fill_initial_valueImEvPT_S0_.private_seg_size, 0
	.set _ZL18fill_initial_valueImEvPT_S0_.uses_vcc, 0
	.set _ZL18fill_initial_valueImEvPT_S0_.uses_flat_scratch, 0
	.set _ZL18fill_initial_valueImEvPT_S0_.has_dyn_sized_stack, 0
	.set _ZL18fill_initial_valueImEvPT_S0_.has_recursion, 0
	.set _ZL18fill_initial_valueImEvPT_S0_.has_indirect_call, 0
	.section	.AMDGPU.csdata,"",@progbits
; Kernel info:
; codeLenInByte = 36
; TotalNumSgprs: 10
; NumVgprs: 3
; ScratchSize: 0
; MemoryBound: 0
; FloatMode: 240
; IeeeMode: 1
; LDSByteSize: 0 bytes/workgroup (compile time only)
; SGPRBlocks: 1
; VGPRBlocks: 0
; NumSGPRsForWavesPerEU: 10
; NumVGPRsForWavesPerEU: 3
; Occupancy: 10
; WaveLimiterHint : 0
; COMPUTE_PGM_RSRC2:SCRATCH_EN: 0
; COMPUTE_PGM_RSRC2:USER_SGPR: 6
; COMPUTE_PGM_RSRC2:TRAP_HANDLER: 0
; COMPUTE_PGM_RSRC2:TGID_X_EN: 1
; COMPUTE_PGM_RSRC2:TGID_Y_EN: 0
; COMPUTE_PGM_RSRC2:TGID_Z_EN: 0
; COMPUTE_PGM_RSRC2:TIDIG_COMP_CNT: 0
	.section	.text._ZN7rocprim6detail20lookback_scan_kernelILNS0_25lookback_scan_determinismE0ELb1ENS0_19wrapped_scan_configINS_14default_configEyEEN6hipcub22TransformInputIteratorIyNS6_6CastOpIyEEPylEESA_NS6_3MinENS_12future_valueIySA_EEyNS0_19lookback_scan_stateIyLb1ELb1EEEEEvT2_T3_mT5_T4_T7_jPT6_SN_bb,"axG",@progbits,_ZN7rocprim6detail20lookback_scan_kernelILNS0_25lookback_scan_determinismE0ELb1ENS0_19wrapped_scan_configINS_14default_configEyEEN6hipcub22TransformInputIteratorIyNS6_6CastOpIyEEPylEESA_NS6_3MinENS_12future_valueIySA_EEyNS0_19lookback_scan_stateIyLb1ELb1EEEEEvT2_T3_mT5_T4_T7_jPT6_SN_bb,comdat
	.protected	_ZN7rocprim6detail20lookback_scan_kernelILNS0_25lookback_scan_determinismE0ELb1ENS0_19wrapped_scan_configINS_14default_configEyEEN6hipcub22TransformInputIteratorIyNS6_6CastOpIyEEPylEESA_NS6_3MinENS_12future_valueIySA_EEyNS0_19lookback_scan_stateIyLb1ELb1EEEEEvT2_T3_mT5_T4_T7_jPT6_SN_bb ; -- Begin function _ZN7rocprim6detail20lookback_scan_kernelILNS0_25lookback_scan_determinismE0ELb1ENS0_19wrapped_scan_configINS_14default_configEyEEN6hipcub22TransformInputIteratorIyNS6_6CastOpIyEEPylEESA_NS6_3MinENS_12future_valueIySA_EEyNS0_19lookback_scan_stateIyLb1ELb1EEEEEvT2_T3_mT5_T4_T7_jPT6_SN_bb
	.globl	_ZN7rocprim6detail20lookback_scan_kernelILNS0_25lookback_scan_determinismE0ELb1ENS0_19wrapped_scan_configINS_14default_configEyEEN6hipcub22TransformInputIteratorIyNS6_6CastOpIyEEPylEESA_NS6_3MinENS_12future_valueIySA_EEyNS0_19lookback_scan_stateIyLb1ELb1EEEEEvT2_T3_mT5_T4_T7_jPT6_SN_bb
	.p2align	8
	.type	_ZN7rocprim6detail20lookback_scan_kernelILNS0_25lookback_scan_determinismE0ELb1ENS0_19wrapped_scan_configINS_14default_configEyEEN6hipcub22TransformInputIteratorIyNS6_6CastOpIyEEPylEESA_NS6_3MinENS_12future_valueIySA_EEyNS0_19lookback_scan_stateIyLb1ELb1EEEEEvT2_T3_mT5_T4_T7_jPT6_SN_bb,@function
_ZN7rocprim6detail20lookback_scan_kernelILNS0_25lookback_scan_determinismE0ELb1ENS0_19wrapped_scan_configINS_14default_configEyEEN6hipcub22TransformInputIteratorIyNS6_6CastOpIyEEPylEESA_NS6_3MinENS_12future_valueIySA_EEyNS0_19lookback_scan_stateIyLb1ELb1EEEEEvT2_T3_mT5_T4_T7_jPT6_SN_bb: ; @_ZN7rocprim6detail20lookback_scan_kernelILNS0_25lookback_scan_determinismE0ELb1ENS0_19wrapped_scan_configINS_14default_configEyEEN6hipcub22TransformInputIteratorIyNS6_6CastOpIyEEPylEESA_NS6_3MinENS_12future_valueIySA_EEyNS0_19lookback_scan_stateIyLb1ELb1EEEEEvT2_T3_mT5_T4_T7_jPT6_SN_bb
; %bb.0:
	s_endpgm
	.section	.rodata,"a",@progbits
	.p2align	6, 0x0
	.amdhsa_kernel _ZN7rocprim6detail20lookback_scan_kernelILNS0_25lookback_scan_determinismE0ELb1ENS0_19wrapped_scan_configINS_14default_configEyEEN6hipcub22TransformInputIteratorIyNS6_6CastOpIyEEPylEESA_NS6_3MinENS_12future_valueIySA_EEyNS0_19lookback_scan_stateIyLb1ELb1EEEEEvT2_T3_mT5_T4_T7_jPT6_SN_bb
		.amdhsa_group_segment_fixed_size 0
		.amdhsa_private_segment_fixed_size 0
		.amdhsa_kernarg_size 84
		.amdhsa_user_sgpr_count 6
		.amdhsa_user_sgpr_private_segment_buffer 1
		.amdhsa_user_sgpr_dispatch_ptr 0
		.amdhsa_user_sgpr_queue_ptr 0
		.amdhsa_user_sgpr_kernarg_segment_ptr 1
		.amdhsa_user_sgpr_dispatch_id 0
		.amdhsa_user_sgpr_flat_scratch_init 0
		.amdhsa_user_sgpr_private_segment_size 0
		.amdhsa_uses_dynamic_stack 0
		.amdhsa_system_sgpr_private_segment_wavefront_offset 0
		.amdhsa_system_sgpr_workgroup_id_x 1
		.amdhsa_system_sgpr_workgroup_id_y 0
		.amdhsa_system_sgpr_workgroup_id_z 0
		.amdhsa_system_sgpr_workgroup_info 0
		.amdhsa_system_vgpr_workitem_id 0
		.amdhsa_next_free_vgpr 1
		.amdhsa_next_free_sgpr 0
		.amdhsa_reserve_vcc 0
		.amdhsa_reserve_flat_scratch 0
		.amdhsa_float_round_mode_32 0
		.amdhsa_float_round_mode_16_64 0
		.amdhsa_float_denorm_mode_32 3
		.amdhsa_float_denorm_mode_16_64 3
		.amdhsa_dx10_clamp 1
		.amdhsa_ieee_mode 1
		.amdhsa_fp16_overflow 0
		.amdhsa_exception_fp_ieee_invalid_op 0
		.amdhsa_exception_fp_denorm_src 0
		.amdhsa_exception_fp_ieee_div_zero 0
		.amdhsa_exception_fp_ieee_overflow 0
		.amdhsa_exception_fp_ieee_underflow 0
		.amdhsa_exception_fp_ieee_inexact 0
		.amdhsa_exception_int_div_zero 0
	.end_amdhsa_kernel
	.section	.text._ZN7rocprim6detail20lookback_scan_kernelILNS0_25lookback_scan_determinismE0ELb1ENS0_19wrapped_scan_configINS_14default_configEyEEN6hipcub22TransformInputIteratorIyNS6_6CastOpIyEEPylEESA_NS6_3MinENS_12future_valueIySA_EEyNS0_19lookback_scan_stateIyLb1ELb1EEEEEvT2_T3_mT5_T4_T7_jPT6_SN_bb,"axG",@progbits,_ZN7rocprim6detail20lookback_scan_kernelILNS0_25lookback_scan_determinismE0ELb1ENS0_19wrapped_scan_configINS_14default_configEyEEN6hipcub22TransformInputIteratorIyNS6_6CastOpIyEEPylEESA_NS6_3MinENS_12future_valueIySA_EEyNS0_19lookback_scan_stateIyLb1ELb1EEEEEvT2_T3_mT5_T4_T7_jPT6_SN_bb,comdat
.Lfunc_end158:
	.size	_ZN7rocprim6detail20lookback_scan_kernelILNS0_25lookback_scan_determinismE0ELb1ENS0_19wrapped_scan_configINS_14default_configEyEEN6hipcub22TransformInputIteratorIyNS6_6CastOpIyEEPylEESA_NS6_3MinENS_12future_valueIySA_EEyNS0_19lookback_scan_stateIyLb1ELb1EEEEEvT2_T3_mT5_T4_T7_jPT6_SN_bb, .Lfunc_end158-_ZN7rocprim6detail20lookback_scan_kernelILNS0_25lookback_scan_determinismE0ELb1ENS0_19wrapped_scan_configINS_14default_configEyEEN6hipcub22TransformInputIteratorIyNS6_6CastOpIyEEPylEESA_NS6_3MinENS_12future_valueIySA_EEyNS0_19lookback_scan_stateIyLb1ELb1EEEEEvT2_T3_mT5_T4_T7_jPT6_SN_bb
                                        ; -- End function
	.set _ZN7rocprim6detail20lookback_scan_kernelILNS0_25lookback_scan_determinismE0ELb1ENS0_19wrapped_scan_configINS_14default_configEyEEN6hipcub22TransformInputIteratorIyNS6_6CastOpIyEEPylEESA_NS6_3MinENS_12future_valueIySA_EEyNS0_19lookback_scan_stateIyLb1ELb1EEEEEvT2_T3_mT5_T4_T7_jPT6_SN_bb.num_vgpr, 0
	.set _ZN7rocprim6detail20lookback_scan_kernelILNS0_25lookback_scan_determinismE0ELb1ENS0_19wrapped_scan_configINS_14default_configEyEEN6hipcub22TransformInputIteratorIyNS6_6CastOpIyEEPylEESA_NS6_3MinENS_12future_valueIySA_EEyNS0_19lookback_scan_stateIyLb1ELb1EEEEEvT2_T3_mT5_T4_T7_jPT6_SN_bb.num_agpr, 0
	.set _ZN7rocprim6detail20lookback_scan_kernelILNS0_25lookback_scan_determinismE0ELb1ENS0_19wrapped_scan_configINS_14default_configEyEEN6hipcub22TransformInputIteratorIyNS6_6CastOpIyEEPylEESA_NS6_3MinENS_12future_valueIySA_EEyNS0_19lookback_scan_stateIyLb1ELb1EEEEEvT2_T3_mT5_T4_T7_jPT6_SN_bb.numbered_sgpr, 0
	.set _ZN7rocprim6detail20lookback_scan_kernelILNS0_25lookback_scan_determinismE0ELb1ENS0_19wrapped_scan_configINS_14default_configEyEEN6hipcub22TransformInputIteratorIyNS6_6CastOpIyEEPylEESA_NS6_3MinENS_12future_valueIySA_EEyNS0_19lookback_scan_stateIyLb1ELb1EEEEEvT2_T3_mT5_T4_T7_jPT6_SN_bb.num_named_barrier, 0
	.set _ZN7rocprim6detail20lookback_scan_kernelILNS0_25lookback_scan_determinismE0ELb1ENS0_19wrapped_scan_configINS_14default_configEyEEN6hipcub22TransformInputIteratorIyNS6_6CastOpIyEEPylEESA_NS6_3MinENS_12future_valueIySA_EEyNS0_19lookback_scan_stateIyLb1ELb1EEEEEvT2_T3_mT5_T4_T7_jPT6_SN_bb.private_seg_size, 0
	.set _ZN7rocprim6detail20lookback_scan_kernelILNS0_25lookback_scan_determinismE0ELb1ENS0_19wrapped_scan_configINS_14default_configEyEEN6hipcub22TransformInputIteratorIyNS6_6CastOpIyEEPylEESA_NS6_3MinENS_12future_valueIySA_EEyNS0_19lookback_scan_stateIyLb1ELb1EEEEEvT2_T3_mT5_T4_T7_jPT6_SN_bb.uses_vcc, 0
	.set _ZN7rocprim6detail20lookback_scan_kernelILNS0_25lookback_scan_determinismE0ELb1ENS0_19wrapped_scan_configINS_14default_configEyEEN6hipcub22TransformInputIteratorIyNS6_6CastOpIyEEPylEESA_NS6_3MinENS_12future_valueIySA_EEyNS0_19lookback_scan_stateIyLb1ELb1EEEEEvT2_T3_mT5_T4_T7_jPT6_SN_bb.uses_flat_scratch, 0
	.set _ZN7rocprim6detail20lookback_scan_kernelILNS0_25lookback_scan_determinismE0ELb1ENS0_19wrapped_scan_configINS_14default_configEyEEN6hipcub22TransformInputIteratorIyNS6_6CastOpIyEEPylEESA_NS6_3MinENS_12future_valueIySA_EEyNS0_19lookback_scan_stateIyLb1ELb1EEEEEvT2_T3_mT5_T4_T7_jPT6_SN_bb.has_dyn_sized_stack, 0
	.set _ZN7rocprim6detail20lookback_scan_kernelILNS0_25lookback_scan_determinismE0ELb1ENS0_19wrapped_scan_configINS_14default_configEyEEN6hipcub22TransformInputIteratorIyNS6_6CastOpIyEEPylEESA_NS6_3MinENS_12future_valueIySA_EEyNS0_19lookback_scan_stateIyLb1ELb1EEEEEvT2_T3_mT5_T4_T7_jPT6_SN_bb.has_recursion, 0
	.set _ZN7rocprim6detail20lookback_scan_kernelILNS0_25lookback_scan_determinismE0ELb1ENS0_19wrapped_scan_configINS_14default_configEyEEN6hipcub22TransformInputIteratorIyNS6_6CastOpIyEEPylEESA_NS6_3MinENS_12future_valueIySA_EEyNS0_19lookback_scan_stateIyLb1ELb1EEEEEvT2_T3_mT5_T4_T7_jPT6_SN_bb.has_indirect_call, 0
	.section	.AMDGPU.csdata,"",@progbits
; Kernel info:
; codeLenInByte = 4
; TotalNumSgprs: 4
; NumVgprs: 0
; ScratchSize: 0
; MemoryBound: 0
; FloatMode: 240
; IeeeMode: 1
; LDSByteSize: 0 bytes/workgroup (compile time only)
; SGPRBlocks: 0
; VGPRBlocks: 0
; NumSGPRsForWavesPerEU: 4
; NumVGPRsForWavesPerEU: 1
; Occupancy: 10
; WaveLimiterHint : 0
; COMPUTE_PGM_RSRC2:SCRATCH_EN: 0
; COMPUTE_PGM_RSRC2:USER_SGPR: 6
; COMPUTE_PGM_RSRC2:TRAP_HANDLER: 0
; COMPUTE_PGM_RSRC2:TGID_X_EN: 1
; COMPUTE_PGM_RSRC2:TGID_Y_EN: 0
; COMPUTE_PGM_RSRC2:TGID_Z_EN: 0
; COMPUTE_PGM_RSRC2:TIDIG_COMP_CNT: 0
	.section	.text._ZN7rocprim6detail20lookback_scan_kernelILNS0_25lookback_scan_determinismE0ELb1ENS0_19wrapped_scan_configINS_14default_configEyEEN6hipcub22TransformInputIteratorIyNS6_6CastOpIyEEPylEESA_NS6_3MinENS_12future_valueIySA_EEyNS0_19lookback_scan_stateIyLb0ELb1EEEEEvT2_T3_mT5_T4_T7_jPT6_SN_bb,"axG",@progbits,_ZN7rocprim6detail20lookback_scan_kernelILNS0_25lookback_scan_determinismE0ELb1ENS0_19wrapped_scan_configINS_14default_configEyEEN6hipcub22TransformInputIteratorIyNS6_6CastOpIyEEPylEESA_NS6_3MinENS_12future_valueIySA_EEyNS0_19lookback_scan_stateIyLb0ELb1EEEEEvT2_T3_mT5_T4_T7_jPT6_SN_bb,comdat
	.protected	_ZN7rocprim6detail20lookback_scan_kernelILNS0_25lookback_scan_determinismE0ELb1ENS0_19wrapped_scan_configINS_14default_configEyEEN6hipcub22TransformInputIteratorIyNS6_6CastOpIyEEPylEESA_NS6_3MinENS_12future_valueIySA_EEyNS0_19lookback_scan_stateIyLb0ELb1EEEEEvT2_T3_mT5_T4_T7_jPT6_SN_bb ; -- Begin function _ZN7rocprim6detail20lookback_scan_kernelILNS0_25lookback_scan_determinismE0ELb1ENS0_19wrapped_scan_configINS_14default_configEyEEN6hipcub22TransformInputIteratorIyNS6_6CastOpIyEEPylEESA_NS6_3MinENS_12future_valueIySA_EEyNS0_19lookback_scan_stateIyLb0ELb1EEEEEvT2_T3_mT5_T4_T7_jPT6_SN_bb
	.globl	_ZN7rocprim6detail20lookback_scan_kernelILNS0_25lookback_scan_determinismE0ELb1ENS0_19wrapped_scan_configINS_14default_configEyEEN6hipcub22TransformInputIteratorIyNS6_6CastOpIyEEPylEESA_NS6_3MinENS_12future_valueIySA_EEyNS0_19lookback_scan_stateIyLb0ELb1EEEEEvT2_T3_mT5_T4_T7_jPT6_SN_bb
	.p2align	8
	.type	_ZN7rocprim6detail20lookback_scan_kernelILNS0_25lookback_scan_determinismE0ELb1ENS0_19wrapped_scan_configINS_14default_configEyEEN6hipcub22TransformInputIteratorIyNS6_6CastOpIyEEPylEESA_NS6_3MinENS_12future_valueIySA_EEyNS0_19lookback_scan_stateIyLb0ELb1EEEEEvT2_T3_mT5_T4_T7_jPT6_SN_bb,@function
_ZN7rocprim6detail20lookback_scan_kernelILNS0_25lookback_scan_determinismE0ELb1ENS0_19wrapped_scan_configINS_14default_configEyEEN6hipcub22TransformInputIteratorIyNS6_6CastOpIyEEPylEESA_NS6_3MinENS_12future_valueIySA_EEyNS0_19lookback_scan_stateIyLb0ELb1EEEEEvT2_T3_mT5_T4_T7_jPT6_SN_bb: ; @_ZN7rocprim6detail20lookback_scan_kernelILNS0_25lookback_scan_determinismE0ELb1ENS0_19wrapped_scan_configINS_14default_configEyEEN6hipcub22TransformInputIteratorIyNS6_6CastOpIyEEPylEESA_NS6_3MinENS_12future_valueIySA_EEyNS0_19lookback_scan_stateIyLb0ELb1EEEEEvT2_T3_mT5_T4_T7_jPT6_SN_bb
; %bb.0:
	s_load_dwordx2 s[0:1], s[4:5], 0x20
	s_load_dword s2, s[4:5], 0x38
	s_load_dwordx2 s[16:17], s[4:5], 0x0
	s_load_dwordx4 s[8:11], s[4:5], 0x10
	v_lshlrev_b32_e32 v59, 3, v0
	s_waitcnt lgkmcnt(0)
	s_load_dwordx2 s[18:19], s[0:1], 0x0
	s_add_i32 s2, s2, -1
	s_mul_i32 s3, s2, 0x380
	s_sub_u32 s22, s10, s3
	s_subb_u32 s23, s11, 0
	s_mul_i32 s0, s6, 0x380
	s_mov_b32 s1, 0
	s_cmp_lg_u32 s6, s2
	s_cselect_b64 s[10:11], -1, 0
	s_lshl_b64 s[12:13], s[0:1], 3
	s_add_u32 s14, s16, s12
	s_addc_u32 s15, s17, s13
	s_mov_b64 s[0:1], -1
	s_and_b64 vcc, exec, s[10:11]
	s_cbranch_vccz .LBB159_2
; %bb.1:
	v_mov_b32_e32 v1, s15
	v_add_co_u32_e32 v17, vcc, s14, v59
	v_addc_co_u32_e32 v18, vcc, 0, v1, vcc
	v_add_co_u32_e32 v17, vcc, 0x1000, v17
	v_addc_co_u32_e32 v18, vcc, 0, v18, vcc
	global_load_dwordx2 v[1:2], v59, s[14:15]
	global_load_dwordx2 v[3:4], v59, s[14:15] offset:512
	global_load_dwordx2 v[5:6], v59, s[14:15] offset:1024
	;; [unrolled: 1-line block ×7, first 2 shown]
	global_load_dwordx2 v[19:20], v[17:18], off
	global_load_dwordx2 v[21:22], v[17:18], off offset:512
	global_load_dwordx2 v[23:24], v[17:18], off offset:1024
	;; [unrolled: 1-line block ×5, first 2 shown]
	s_mov_b64 s[0:1], 0
	s_waitcnt vmcnt(12)
	ds_write2st64_b64 v59, v[1:2], v[3:4] offset1:1
	s_waitcnt vmcnt(10)
	ds_write2st64_b64 v59, v[5:6], v[7:8] offset0:2 offset1:3
	s_waitcnt vmcnt(8)
	ds_write2st64_b64 v59, v[9:10], v[11:12] offset0:4 offset1:5
	;; [unrolled: 2-line block ×6, first 2 shown]
	s_waitcnt lgkmcnt(0)
	; wave barrier
.LBB159_2:
	s_andn2_b64 vcc, exec, s[0:1]
	v_cmp_gt_u32_e64 s[0:1], s22, v0
	s_cbranch_vccnz .LBB159_32
; %bb.3:
	s_load_dwordx2 s[2:3], s[14:15], 0x0
	v_mov_b32_e32 v1, s15
	v_add_co_u32_e32 v3, vcc, s14, v59
	v_addc_co_u32_e32 v4, vcc, 0, v1, vcc
	s_waitcnt lgkmcnt(0)
	v_mov_b32_e32 v1, s2
	v_mov_b32_e32 v2, s3
	s_and_saveexec_b64 s[14:15], s[0:1]
	s_cbranch_execz .LBB159_5
; %bb.4:
	global_load_dwordx2 v[1:2], v[3:4], off
.LBB159_5:
	s_or_b64 exec, exec, s[14:15]
	v_or_b32_e32 v5, 64, v0
	v_cmp_gt_u32_e32 vcc, s22, v5
	v_mov_b32_e32 v6, s3
	v_mov_b32_e32 v5, s2
	s_and_saveexec_b64 s[0:1], vcc
	s_cbranch_execz .LBB159_7
; %bb.6:
	global_load_dwordx2 v[5:6], v[3:4], off offset:512
.LBB159_7:
	s_or_b64 exec, exec, s[0:1]
	v_or_b32_e32 v7, 0x80, v0
	v_cmp_gt_u32_e32 vcc, s22, v7
	v_mov_b32_e32 v8, s3
	v_mov_b32_e32 v7, s2
	s_and_saveexec_b64 s[0:1], vcc
	s_cbranch_execz .LBB159_9
; %bb.8:
	global_load_dwordx2 v[7:8], v[3:4], off offset:1024
.LBB159_9:
	;; [unrolled: 10-line block ×7, first 2 shown]
	s_or_b64 exec, exec, s[0:1]
	v_or_b32_e32 v19, 0x200, v0
	v_cmp_gt_u32_e32 vcc, s22, v19
	v_mov_b32_e32 v20, s3
	v_mov_b32_e32 v19, s2
	s_and_saveexec_b64 s[0:1], vcc
	s_cbranch_execz .LBB159_21
; %bb.20:
	v_add_co_u32_e32 v19, vcc, 0x1000, v3
	v_addc_co_u32_e32 v20, vcc, 0, v4, vcc
	global_load_dwordx2 v[19:20], v[19:20], off
.LBB159_21:
	s_or_b64 exec, exec, s[0:1]
	v_or_b32_e32 v21, 0x240, v0
	v_cmp_gt_u32_e32 vcc, s22, v21
	v_mov_b32_e32 v22, s3
	v_mov_b32_e32 v21, s2
	s_and_saveexec_b64 s[0:1], vcc
	s_cbranch_execz .LBB159_23
; %bb.22:
	v_add_co_u32_e32 v21, vcc, 0x1000, v3
	v_addc_co_u32_e32 v22, vcc, 0, v4, vcc
	global_load_dwordx2 v[21:22], v[21:22], off offset:512
.LBB159_23:
	s_or_b64 exec, exec, s[0:1]
	v_or_b32_e32 v23, 0x280, v0
	v_cmp_gt_u32_e32 vcc, s22, v23
	v_mov_b32_e32 v24, s3
	v_mov_b32_e32 v23, s2
	s_and_saveexec_b64 s[0:1], vcc
	s_cbranch_execz .LBB159_25
; %bb.24:
	v_add_co_u32_e32 v23, vcc, 0x1000, v3
	v_addc_co_u32_e32 v24, vcc, 0, v4, vcc
	global_load_dwordx2 v[23:24], v[23:24], off offset:1024
.LBB159_25:
	;; [unrolled: 12-line block ×5, first 2 shown]
	s_or_b64 exec, exec, s[0:1]
	s_waitcnt vmcnt(0)
	ds_write2st64_b64 v59, v[1:2], v[5:6] offset1:1
	ds_write2st64_b64 v59, v[7:8], v[9:10] offset0:2 offset1:3
	ds_write2st64_b64 v59, v[11:12], v[13:14] offset0:4 offset1:5
	;; [unrolled: 1-line block ×6, first 2 shown]
	s_waitcnt lgkmcnt(0)
	; wave barrier
.LBB159_32:
	s_load_dwordx2 s[14:15], s[4:5], 0x30
	v_mul_u32_u24_e32 v60, 0x70, v0
	s_waitcnt lgkmcnt(0)
	ds_read_b128 v[25:28], v60
	ds_read_b128 v[21:24], v60 offset:16
	ds_read_b128 v[17:20], v60 offset:32
	;; [unrolled: 1-line block ×6, first 2 shown]
	s_waitcnt lgkmcnt(6)
	v_cmp_lt_u64_e32 vcc, v[25:26], v[27:28]
	s_cmp_lg_u32 s6, 0
	v_mbcnt_lo_u32_b32 v61, -1, 0
	s_waitcnt lgkmcnt(0)
	; wave barrier
	s_cbranch_scc0 .LBB159_86
; %bb.33:
	v_cndmask_b32_e32 v30, v28, v26, vcc
	v_cndmask_b32_e32 v29, v27, v25, vcc
	v_cmp_lt_u64_e32 vcc, v[29:30], v[21:22]
	v_mbcnt_hi_u32_b32 v41, -1, v61
	v_cndmask_b32_e32 v30, v22, v30, vcc
	v_cndmask_b32_e32 v29, v21, v29, vcc
	v_cmp_lt_u64_e32 vcc, v[29:30], v[23:24]
	v_and_b32_e32 v33, 15, v41
	v_cndmask_b32_e32 v30, v24, v30, vcc
	v_cndmask_b32_e32 v29, v23, v29, vcc
	v_cmp_lt_u64_e32 vcc, v[29:30], v[17:18]
	v_cndmask_b32_e32 v30, v18, v30, vcc
	v_cndmask_b32_e32 v29, v17, v29, vcc
	v_cmp_lt_u64_e32 vcc, v[29:30], v[19:20]
	;; [unrolled: 3-line block ×10, first 2 shown]
	v_cndmask_b32_e32 v30, v12, v30, vcc
	v_cndmask_b32_e32 v29, v11, v29, vcc
	s_nop 0
	v_mov_b32_dpp v34, v30 row_shr:1 row_mask:0xf bank_mask:0xf
	v_cmp_ne_u32_e32 vcc, 0, v33
	v_mov_b32_dpp v31, v29 row_shr:1 row_mask:0xf bank_mask:0xf
	s_and_saveexec_b64 s[0:1], vcc
; %bb.34:
	v_mov_b32_e32 v32, v34
	v_cmp_lt_u64_e32 vcc, v[31:32], v[29:30]
	v_cndmask_b32_e32 v30, v30, v34, vcc
	v_cndmask_b32_e32 v29, v29, v31, vcc
; %bb.35:
	s_or_b64 exec, exec, s[0:1]
	s_nop 0
	v_mov_b32_dpp v31, v29 row_shr:2 row_mask:0xf bank_mask:0xf
	v_mov_b32_dpp v34, v30 row_shr:2 row_mask:0xf bank_mask:0xf
	v_cmp_lt_u32_e32 vcc, 1, v33
	s_and_saveexec_b64 s[0:1], vcc
; %bb.36:
	v_mov_b32_e32 v32, v34
	v_cmp_lt_u64_e32 vcc, v[31:32], v[29:30]
	v_cndmask_b32_e32 v30, v30, v34, vcc
	v_cndmask_b32_e32 v29, v29, v31, vcc
; %bb.37:
	s_or_b64 exec, exec, s[0:1]
	s_nop 0
	v_mov_b32_dpp v31, v29 row_shr:4 row_mask:0xf bank_mask:0xf
	v_mov_b32_dpp v34, v30 row_shr:4 row_mask:0xf bank_mask:0xf
	v_cmp_lt_u32_e32 vcc, 3, v33
	;; [unrolled: 12-line block ×3, first 2 shown]
	s_and_saveexec_b64 s[0:1], vcc
; %bb.40:
	v_mov_b32_e32 v32, v34
	v_cmp_lt_u64_e32 vcc, v[31:32], v[29:30]
	v_cndmask_b32_e32 v30, v30, v34, vcc
	v_cndmask_b32_e32 v29, v29, v31, vcc
; %bb.41:
	s_or_b64 exec, exec, s[0:1]
	v_and_b32_e32 v32, 16, v41
	v_mov_b32_dpp v31, v29 row_bcast:15 row_mask:0xf bank_mask:0xf
	v_mov_b32_dpp v33, v30 row_bcast:15 row_mask:0xf bank_mask:0xf
	v_cmp_ne_u32_e32 vcc, 0, v32
	s_and_saveexec_b64 s[0:1], vcc
; %bb.42:
	v_mov_b32_e32 v32, v33
	v_cmp_lt_u64_e32 vcc, v[31:32], v[29:30]
	v_cndmask_b32_e32 v30, v30, v33, vcc
	v_cndmask_b32_e32 v29, v29, v31, vcc
; %bb.43:
	s_or_b64 exec, exec, s[0:1]
	s_nop 0
	v_mov_b32_dpp v31, v29 row_bcast:31 row_mask:0xf bank_mask:0xf
	v_mov_b32_dpp v33, v30 row_bcast:31 row_mask:0xf bank_mask:0xf
	v_cmp_lt_u32_e32 vcc, 31, v41
	s_and_saveexec_b64 s[0:1], vcc
; %bb.44:
	v_mov_b32_e32 v32, v33
	v_cmp_lt_u64_e32 vcc, v[31:32], v[29:30]
	v_cndmask_b32_e32 v30, v30, v33, vcc
	v_cndmask_b32_e32 v29, v29, v31, vcc
; %bb.45:
	s_or_b64 exec, exec, s[0:1]
	v_cmp_eq_u32_e32 vcc, 63, v0
	s_and_saveexec_b64 s[0:1], vcc
; %bb.46:
	v_mov_b32_e32 v31, 0
	ds_write_b64 v31, v[29:30]
; %bb.47:
	s_or_b64 exec, exec, s[0:1]
	v_subrev_co_u32_e64 v31, s[0:1], 1, v41
	v_and_b32_e32 v32, 64, v41
	v_cmp_lt_i32_e32 vcc, v31, v32
	v_cndmask_b32_e32 v31, v31, v41, vcc
	v_lshlrev_b32_e32 v31, 2, v31
	v_mov_b32_e32 v32, 0
	s_waitcnt lgkmcnt(0)
	; wave barrier
	ds_bpermute_b32 v37, v31, v29
	ds_bpermute_b32 v44, v31, v30
	ds_read_b64 v[29:30], v32
	s_and_saveexec_b64 s[2:3], s[0:1]
	s_cbranch_execz .LBB159_49
; %bb.48:
	s_add_i32 s20, s6, 64
	s_mov_b32 s21, 0
	s_lshl_b64 s[20:21], s[20:21], 4
	s_add_u32 s20, s14, s20
	s_addc_u32 s21, s15, s21
	v_mov_b32_e32 v34, s21
	v_mov_b32_e32 v31, 1
	;; [unrolled: 1-line block ×3, first 2 shown]
	s_waitcnt lgkmcnt(0)
	;;#ASMSTART
	global_store_dwordx4 v[33:34], v[29:32] off	
s_waitcnt vmcnt(0)
	;;#ASMEND
.LBB159_49:
	s_or_b64 exec, exec, s[2:3]
	v_xad_u32 v38, v41, -1, s6
	v_add_u32_e32 v31, 64, v38
	v_lshlrev_b64 v[33:34], 4, v[31:32]
	v_mov_b32_e32 v31, s15
	v_add_co_u32_e32 v39, vcc, s14, v33
	v_addc_co_u32_e32 v40, vcc, v31, v34, vcc
	;;#ASMSTART
	global_load_dwordx4 v[33:36], v[39:40] off glc	
s_waitcnt vmcnt(0)
	;;#ASMEND
	v_cmp_eq_u16_sdwa s[20:21], v35, v32 src0_sel:BYTE_0 src1_sel:DWORD
	s_and_saveexec_b64 s[2:3], s[20:21]
	s_cbranch_execz .LBB159_53
; %bb.50:
	s_mov_b64 s[20:21], 0
	v_mov_b32_e32 v31, 0
.LBB159_51:                             ; =>This Inner Loop Header: Depth=1
	;;#ASMSTART
	global_load_dwordx4 v[33:36], v[39:40] off glc	
s_waitcnt vmcnt(0)
	;;#ASMEND
	v_cmp_ne_u16_sdwa s[24:25], v35, v31 src0_sel:BYTE_0 src1_sel:DWORD
	s_or_b64 s[20:21], s[24:25], s[20:21]
	s_andn2_b64 exec, exec, s[20:21]
	s_cbranch_execnz .LBB159_51
; %bb.52:
	s_or_b64 exec, exec, s[20:21]
.LBB159_53:
	s_or_b64 exec, exec, s[2:3]
	v_and_b32_e32 v42, 63, v41
	v_mov_b32_e32 v36, 2
	v_lshlrev_b64 v[31:32], v41, -1
	v_cmp_ne_u32_e32 vcc, 63, v42
	v_cmp_eq_u16_sdwa s[2:3], v35, v36 src0_sel:BYTE_0 src1_sel:DWORD
	v_addc_co_u32_e32 v39, vcc, 0, v41, vcc
	v_and_b32_e32 v36, s3, v32
	v_lshlrev_b32_e32 v45, 2, v39
	v_or_b32_e32 v36, 0x80000000, v36
	ds_bpermute_b32 v39, v45, v33
	ds_bpermute_b32 v43, v45, v34
	v_and_b32_e32 v40, s2, v31
	v_ffbl_b32_e32 v36, v36
	v_add_u32_e32 v36, 32, v36
	v_ffbl_b32_e32 v40, v40
	v_min_u32_e32 v36, v40, v36
	v_add_u32_e32 v46, 1, v41
	v_cmp_le_u32_e32 vcc, v46, v36
	s_and_saveexec_b64 s[2:3], vcc
	s_cbranch_execz .LBB159_55
; %bb.54:
	s_waitcnt lgkmcnt(0)
	v_mov_b32_e32 v40, v43
	v_cmp_lt_u64_e32 vcc, v[39:40], v[33:34]
	v_cndmask_b32_e32 v34, v34, v43, vcc
	v_cndmask_b32_e32 v33, v33, v39, vcc
.LBB159_55:
	s_or_b64 exec, exec, s[2:3]
	v_cmp_gt_u32_e32 vcc, 62, v42
	s_waitcnt lgkmcnt(1)
	v_cndmask_b32_e64 v39, 0, 2, vcc
	v_add_lshl_u32 v47, v39, v41, 2
	ds_bpermute_b32 v39, v47, v33
	s_waitcnt lgkmcnt(1)
	ds_bpermute_b32 v43, v47, v34
	v_add_u32_e32 v48, 2, v41
	v_cmp_le_u32_e32 vcc, v48, v36
	s_and_saveexec_b64 s[2:3], vcc
	s_cbranch_execz .LBB159_57
; %bb.56:
	s_waitcnt lgkmcnt(0)
	v_mov_b32_e32 v40, v43
	v_cmp_lt_u64_e32 vcc, v[39:40], v[33:34]
	v_cndmask_b32_e32 v34, v34, v43, vcc
	v_cndmask_b32_e32 v33, v33, v39, vcc
.LBB159_57:
	s_or_b64 exec, exec, s[2:3]
	v_cmp_gt_u32_e32 vcc, 60, v42
	s_waitcnt lgkmcnt(1)
	v_cndmask_b32_e64 v39, 0, 4, vcc
	v_add_lshl_u32 v49, v39, v41, 2
	ds_bpermute_b32 v39, v49, v33
	s_waitcnt lgkmcnt(1)
	ds_bpermute_b32 v43, v49, v34
	;; [unrolled: 19-line block ×3, first 2 shown]
	v_add_u32_e32 v52, 8, v41
	v_cmp_le_u32_e32 vcc, v52, v36
	s_and_saveexec_b64 s[2:3], vcc
	s_cbranch_execz .LBB159_61
; %bb.60:
	s_waitcnt lgkmcnt(0)
	v_mov_b32_e32 v40, v43
	v_cmp_lt_u64_e32 vcc, v[39:40], v[33:34]
	v_cndmask_b32_e32 v34, v34, v43, vcc
	v_cndmask_b32_e32 v33, v33, v39, vcc
.LBB159_61:
	s_or_b64 exec, exec, s[2:3]
	v_cmp_gt_u32_e32 vcc, 48, v42
	s_waitcnt lgkmcnt(1)
	v_cndmask_b32_e64 v39, 0, 16, vcc
	v_add_lshl_u32 v53, v39, v41, 2
	ds_bpermute_b32 v39, v53, v33
	ds_bpermute_b32 v42, v53, v34
	v_add_u32_e32 v54, 16, v41
	v_cmp_le_u32_e32 vcc, v54, v36
	s_and_saveexec_b64 s[2:3], vcc
	s_cbranch_execz .LBB159_63
; %bb.62:
	s_waitcnt lgkmcnt(0)
	v_mov_b32_e32 v40, v42
	v_cmp_lt_u64_e32 vcc, v[39:40], v[33:34]
	v_cndmask_b32_e32 v34, v34, v42, vcc
	v_cndmask_b32_e32 v33, v33, v39, vcc
.LBB159_63:
	s_or_b64 exec, exec, s[2:3]
	s_waitcnt lgkmcnt(1)
	v_mov_b32_e32 v39, 0x80
	v_lshl_or_b32 v55, v41, 2, v39
	s_waitcnt lgkmcnt(0)
	ds_bpermute_b32 v42, v55, v34
	ds_bpermute_b32 v39, v55, v33
	v_add_u32_e32 v56, 32, v41
	v_mov_b32_e32 v57, 2
	s_waitcnt lgkmcnt(1)
	v_mov_b32_e32 v40, v42
	s_waitcnt lgkmcnt(0)
	v_cmp_lt_u64_e32 vcc, v[39:40], v[33:34]
	v_cndmask_b32_e32 v39, v33, v39, vcc
	v_cndmask_b32_e32 v40, v34, v42, vcc
	v_cmp_gt_u32_e32 vcc, v56, v36
	v_cndmask_b32_e32 v34, v40, v34, vcc
	v_cndmask_b32_e32 v33, v39, v33, vcc
	v_mov_b32_e32 v39, 0
	s_branch .LBB159_66
.LBB159_64:                             ;   in Loop: Header=BB159_66 Depth=1
	s_or_b64 exec, exec, s[2:3]
	s_waitcnt lgkmcnt(0)
	ds_bpermute_b32 v58, v55, v34
	ds_bpermute_b32 v42, v55, v33
	v_subrev_u32_e32 v38, 64, v38
	s_mov_b64 s[2:3], 0
	s_waitcnt lgkmcnt(1)
	v_mov_b32_e32 v43, v58
	s_waitcnt lgkmcnt(0)
	v_cmp_lt_u64_e32 vcc, v[42:43], v[33:34]
	v_cndmask_b32_e32 v42, v33, v42, vcc
	v_cndmask_b32_e32 v43, v34, v58, vcc
	v_cmp_gt_u32_e32 vcc, v56, v36
	v_cndmask_b32_e32 v34, v43, v34, vcc
	v_cndmask_b32_e32 v33, v42, v33, vcc
	v_cmp_lt_u64_e32 vcc, v[33:34], v[40:41]
	v_cndmask_b32_e32 v34, v41, v34, vcc
	v_cndmask_b32_e32 v33, v40, v33, vcc
.LBB159_65:                             ;   in Loop: Header=BB159_66 Depth=1
	s_and_b64 vcc, exec, s[2:3]
	s_cbranch_vccnz .LBB159_81
.LBB159_66:                             ; =>This Loop Header: Depth=1
                                        ;     Child Loop BB159_69 Depth 2
	v_mov_b32_e32 v41, v34
	v_cmp_ne_u16_sdwa s[2:3], v35, v57 src0_sel:BYTE_0 src1_sel:DWORD
	v_mov_b32_e32 v40, v33
	s_cmp_lg_u64 s[2:3], exec
	s_mov_b64 s[2:3], -1
                                        ; implicit-def: $vgpr33_vgpr34
                                        ; implicit-def: $vgpr35
	s_cbranch_scc1 .LBB159_65
; %bb.67:                               ;   in Loop: Header=BB159_66 Depth=1
	v_lshlrev_b64 v[33:34], 4, v[38:39]
	v_mov_b32_e32 v35, s15
	v_add_co_u32_e32 v42, vcc, s14, v33
	v_addc_co_u32_e32 v43, vcc, v35, v34, vcc
	;;#ASMSTART
	global_load_dwordx4 v[33:36], v[42:43] off glc	
s_waitcnt vmcnt(0)
	;;#ASMEND
	v_cmp_eq_u16_sdwa s[20:21], v35, v39 src0_sel:BYTE_0 src1_sel:DWORD
	s_and_saveexec_b64 s[2:3], s[20:21]
	s_cbranch_execz .LBB159_71
; %bb.68:                               ;   in Loop: Header=BB159_66 Depth=1
	s_mov_b64 s[20:21], 0
.LBB159_69:                             ;   Parent Loop BB159_66 Depth=1
                                        ; =>  This Inner Loop Header: Depth=2
	;;#ASMSTART
	global_load_dwordx4 v[33:36], v[42:43] off glc	
s_waitcnt vmcnt(0)
	;;#ASMEND
	v_cmp_ne_u16_sdwa s[24:25], v35, v39 src0_sel:BYTE_0 src1_sel:DWORD
	s_or_b64 s[20:21], s[24:25], s[20:21]
	s_andn2_b64 exec, exec, s[20:21]
	s_cbranch_execnz .LBB159_69
; %bb.70:                               ;   in Loop: Header=BB159_66 Depth=1
	s_or_b64 exec, exec, s[20:21]
.LBB159_71:                             ;   in Loop: Header=BB159_66 Depth=1
	s_or_b64 exec, exec, s[2:3]
	v_cmp_eq_u16_sdwa s[2:3], v35, v57 src0_sel:BYTE_0 src1_sel:DWORD
	v_and_b32_e32 v36, s3, v32
	v_or_b32_e32 v36, 0x80000000, v36
	ds_bpermute_b32 v42, v45, v33
	ds_bpermute_b32 v58, v45, v34
	v_and_b32_e32 v43, s2, v31
	v_ffbl_b32_e32 v36, v36
	v_add_u32_e32 v36, 32, v36
	v_ffbl_b32_e32 v43, v43
	v_min_u32_e32 v36, v43, v36
	v_cmp_le_u32_e32 vcc, v46, v36
	s_and_saveexec_b64 s[2:3], vcc
	s_cbranch_execz .LBB159_73
; %bb.72:                               ;   in Loop: Header=BB159_66 Depth=1
	s_waitcnt lgkmcnt(0)
	v_mov_b32_e32 v43, v58
	v_cmp_lt_u64_e32 vcc, v[42:43], v[33:34]
	v_cndmask_b32_e32 v34, v34, v58, vcc
	v_cndmask_b32_e32 v33, v33, v42, vcc
.LBB159_73:                             ;   in Loop: Header=BB159_66 Depth=1
	s_or_b64 exec, exec, s[2:3]
	s_waitcnt lgkmcnt(1)
	ds_bpermute_b32 v42, v47, v33
	s_waitcnt lgkmcnt(1)
	ds_bpermute_b32 v58, v47, v34
	v_cmp_le_u32_e32 vcc, v48, v36
	s_and_saveexec_b64 s[2:3], vcc
	s_cbranch_execz .LBB159_75
; %bb.74:                               ;   in Loop: Header=BB159_66 Depth=1
	s_waitcnt lgkmcnt(0)
	v_mov_b32_e32 v43, v58
	v_cmp_lt_u64_e32 vcc, v[42:43], v[33:34]
	v_cndmask_b32_e32 v34, v34, v58, vcc
	v_cndmask_b32_e32 v33, v33, v42, vcc
.LBB159_75:                             ;   in Loop: Header=BB159_66 Depth=1
	s_or_b64 exec, exec, s[2:3]
	s_waitcnt lgkmcnt(1)
	ds_bpermute_b32 v42, v49, v33
	s_waitcnt lgkmcnt(1)
	ds_bpermute_b32 v58, v49, v34
	;; [unrolled: 15-line block ×4, first 2 shown]
	v_cmp_le_u32_e32 vcc, v54, v36
	s_and_saveexec_b64 s[2:3], vcc
	s_cbranch_execz .LBB159_64
; %bb.80:                               ;   in Loop: Header=BB159_66 Depth=1
	s_waitcnt lgkmcnt(0)
	v_mov_b32_e32 v43, v58
	v_cmp_lt_u64_e32 vcc, v[42:43], v[33:34]
	v_cndmask_b32_e32 v34, v34, v58, vcc
	v_cndmask_b32_e32 v33, v33, v42, vcc
	s_branch .LBB159_64
.LBB159_81:
	s_and_saveexec_b64 s[2:3], s[0:1]
	s_cbranch_execz .LBB159_83
; %bb.82:
	s_add_i32 s0, s6, 64
	s_mov_b32 s1, 0
	s_lshl_b64 s[0:1], s[0:1], 4
	s_add_u32 s0, s14, s0
	v_cmp_lt_u64_e32 vcc, v[40:41], v[29:30]
	s_addc_u32 s1, s15, s1
	v_mov_b32_e32 v34, s1
	v_cndmask_b32_e32 v30, v30, v41, vcc
	v_cndmask_b32_e32 v29, v29, v40, vcc
	v_mov_b32_e32 v31, 2
	v_mov_b32_e32 v32, 0
	;; [unrolled: 1-line block ×3, first 2 shown]
	;;#ASMSTART
	global_store_dwordx4 v[33:34], v[29:32] off	
s_waitcnt vmcnt(0)
	;;#ASMEND
.LBB159_83:
	s_or_b64 exec, exec, s[2:3]
	v_cmp_eq_u32_e32 vcc, 0, v0
	s_and_saveexec_b64 s[0:1], vcc
; %bb.84:
	v_mov_b32_e32 v29, 0
	ds_write_b64 v29, v[40:41]
; %bb.85:
	s_or_b64 exec, exec, s[0:1]
	v_mov_b32_e32 v29, 0
	s_waitcnt lgkmcnt(0)
	; wave barrier
	ds_read_b64 v[29:30], v29
	v_mov_b32_e32 v38, v44
	s_waitcnt lgkmcnt(0)
	v_cmp_lt_u64_e64 s[0:1], v[29:30], v[37:38]
	v_cndmask_b32_e64 v31, v44, v30, s[0:1]
	v_cndmask_b32_e32 v30, v31, v30, vcc
	v_cndmask_b32_e64 v31, v37, v29, s[0:1]
	v_cndmask_b32_e32 v29, v31, v29, vcc
	v_cmp_lt_u64_e32 vcc, v[29:30], v[25:26]
	v_cndmask_b32_e32 v32, v26, v30, vcc
	v_cndmask_b32_e32 v31, v25, v29, vcc
	v_cmp_lt_u64_e32 vcc, v[31:32], v[27:28]
	v_cndmask_b32_e32 v34, v28, v32, vcc
	;; [unrolled: 3-line block ×13, first 2 shown]
	v_cndmask_b32_e32 v55, v9, v53, vcc
	s_load_dwordx4 s[0:3], s[4:5], 0x40
	s_branch .LBB159_104
.LBB159_86:
                                        ; implicit-def: $vgpr29_vgpr30
                                        ; implicit-def: $vgpr33_vgpr34
                                        ; implicit-def: $vgpr37_vgpr38
                                        ; implicit-def: $vgpr41_vgpr42
                                        ; implicit-def: $vgpr45_vgpr46
                                        ; implicit-def: $vgpr49_vgpr50
                                        ; implicit-def: $vgpr53_vgpr54
	s_load_dwordx4 s[0:3], s[4:5], 0x40
	s_cbranch_execz .LBB159_104
; %bb.87:
	s_load_dword s6, s[4:5], 0x50
	v_mov_b32_e32 v58, s19
	v_mov_b32_e32 v57, s18
	s_waitcnt lgkmcnt(0)
	s_bitcmp0_b32 s6, 0
	s_cbranch_scc1 .LBB159_89
; %bb.88:
	v_mov_b32_e32 v33, 0
	global_load_dwordx2 v[29:30], v33, s[16:17] offset:-8
	global_load_dwordx2 v[31:32], v33, s[0:1]
	s_waitcnt vmcnt(0)
	v_cmp_lt_u64_e32 vcc, v[31:32], v[29:30]
	v_cndmask_b32_e32 v58, v30, v32, vcc
	v_cndmask_b32_e32 v57, v29, v31, vcc
.LBB159_89:
	v_cmp_lt_u64_e32 vcc, v[25:26], v[27:28]
	v_mbcnt_hi_u32_b32 v31, -1, v61
	v_cndmask_b32_e32 v30, v28, v26, vcc
	v_cndmask_b32_e32 v29, v27, v25, vcc
	v_cmp_lt_u64_e32 vcc, v[29:30], v[21:22]
	v_and_b32_e32 v32, 15, v31
	v_cndmask_b32_e32 v30, v22, v30, vcc
	v_cndmask_b32_e32 v29, v21, v29, vcc
	v_cmp_lt_u64_e32 vcc, v[29:30], v[23:24]
	v_cndmask_b32_e32 v30, v24, v30, vcc
	v_cndmask_b32_e32 v29, v23, v29, vcc
	v_cmp_lt_u64_e32 vcc, v[29:30], v[17:18]
	;; [unrolled: 3-line block ×11, first 2 shown]
	v_cndmask_b32_e32 v12, v12, v30, vcc
	v_cndmask_b32_e32 v11, v11, v29, vcc
	s_nop 0
	v_mov_b32_dpp v33, v12 row_shr:1 row_mask:0xf bank_mask:0xf
	v_cmp_ne_u32_e32 vcc, 0, v32
	v_mov_b32_dpp v29, v11 row_shr:1 row_mask:0xf bank_mask:0xf
	s_and_saveexec_b64 s[0:1], vcc
; %bb.90:
	v_mov_b32_e32 v30, v33
	v_cmp_lt_u64_e32 vcc, v[29:30], v[11:12]
	v_cndmask_b32_e32 v12, v12, v33, vcc
	v_cndmask_b32_e32 v11, v11, v29, vcc
; %bb.91:
	s_or_b64 exec, exec, s[0:1]
	s_nop 0
	v_mov_b32_dpp v29, v11 row_shr:2 row_mask:0xf bank_mask:0xf
	v_mov_b32_dpp v33, v12 row_shr:2 row_mask:0xf bank_mask:0xf
	v_cmp_lt_u32_e32 vcc, 1, v32
	s_and_saveexec_b64 s[0:1], vcc
; %bb.92:
	v_mov_b32_e32 v30, v33
	v_cmp_lt_u64_e32 vcc, v[29:30], v[11:12]
	v_cndmask_b32_e32 v12, v12, v33, vcc
	v_cndmask_b32_e32 v11, v11, v29, vcc
; %bb.93:
	s_or_b64 exec, exec, s[0:1]
	s_nop 0
	v_mov_b32_dpp v29, v11 row_shr:4 row_mask:0xf bank_mask:0xf
	v_mov_b32_dpp v33, v12 row_shr:4 row_mask:0xf bank_mask:0xf
	v_cmp_lt_u32_e32 vcc, 3, v32
	;; [unrolled: 12-line block ×3, first 2 shown]
	s_and_saveexec_b64 s[0:1], vcc
; %bb.96:
	v_mov_b32_e32 v30, v33
	v_cmp_lt_u64_e32 vcc, v[29:30], v[11:12]
	v_cndmask_b32_e32 v12, v12, v33, vcc
	v_cndmask_b32_e32 v11, v11, v29, vcc
; %bb.97:
	s_or_b64 exec, exec, s[0:1]
	v_and_b32_e32 v30, 16, v31
	v_mov_b32_dpp v29, v11 row_bcast:15 row_mask:0xf bank_mask:0xf
	v_mov_b32_dpp v32, v12 row_bcast:15 row_mask:0xf bank_mask:0xf
	v_cmp_ne_u32_e32 vcc, 0, v30
	s_and_saveexec_b64 s[0:1], vcc
; %bb.98:
	v_mov_b32_e32 v30, v32
	v_cmp_lt_u64_e32 vcc, v[29:30], v[11:12]
	v_cndmask_b32_e32 v12, v12, v32, vcc
	v_cndmask_b32_e32 v11, v11, v29, vcc
; %bb.99:
	s_or_b64 exec, exec, s[0:1]
	s_nop 0
	v_mov_b32_dpp v29, v11 row_bcast:31 row_mask:0xf bank_mask:0xf
	v_mov_b32_dpp v30, v12 row_bcast:31 row_mask:0xf bank_mask:0xf
	v_cmp_lt_u64_e32 vcc, v[29:30], v[11:12]
	v_cmp_lt_u32_e64 s[0:1], 31, v31
	s_and_b64 vcc, s[0:1], vcc
	v_cndmask_b32_e32 v12, v12, v30, vcc
	v_cndmask_b32_e32 v11, v11, v29, vcc
	v_cmp_eq_u32_e32 vcc, 63, v0
	s_and_saveexec_b64 s[0:1], vcc
; %bb.100:
	v_mov_b32_e32 v29, 0
	ds_write_b64 v29, v[11:12]
; %bb.101:
	s_or_b64 exec, exec, s[0:1]
	v_cmp_lt_u64_e32 vcc, v[57:58], v[11:12]
	v_and_b32_e32 v30, 64, v31
	v_cndmask_b32_e32 v12, v12, v58, vcc
	v_cndmask_b32_e32 v11, v11, v57, vcc
	v_subrev_co_u32_e32 v29, vcc, 1, v31
	v_cmp_lt_i32_e64 s[0:1], v29, v30
	v_cndmask_b32_e64 v29, v29, v31, s[0:1]
	v_lshlrev_b32_e32 v29, 2, v29
	ds_bpermute_b32 v11, v29, v11
	ds_bpermute_b32 v12, v29, v12
	v_cmp_eq_u32_e64 s[0:1], 0, v0
	s_or_b64 vcc, s[0:1], vcc
	s_waitcnt lgkmcnt(0)
	v_cndmask_b32_e32 v29, v11, v57, vcc
	v_cndmask_b32_e32 v30, v12, v58, vcc
	v_cmp_lt_u64_e32 vcc, v[29:30], v[25:26]
	; wave barrier
	v_cndmask_b32_e32 v32, v26, v30, vcc
	v_cndmask_b32_e32 v31, v25, v29, vcc
	v_cmp_lt_u64_e32 vcc, v[31:32], v[27:28]
	v_cndmask_b32_e32 v34, v28, v32, vcc
	v_cndmask_b32_e32 v33, v27, v31, vcc
	v_cmp_lt_u64_e32 vcc, v[33:34], v[21:22]
	;; [unrolled: 3-line block ×12, first 2 shown]
	v_cndmask_b32_e32 v56, v10, v54, vcc
	v_cndmask_b32_e32 v55, v9, v53, vcc
	s_and_saveexec_b64 s[6:7], s[0:1]
	s_cbranch_execz .LBB159_103
; %bb.102:
	v_mov_b32_e32 v4, 0
	ds_read_b64 v[1:2], v4
	s_add_u32 s0, s14, 0x400
	s_addc_u32 s1, s15, 0
	v_mov_b32_e32 v6, s1
	v_mov_b32_e32 v3, 2
	s_waitcnt lgkmcnt(0)
	v_cmp_lt_u64_e32 vcc, v[57:58], v[1:2]
	v_mov_b32_e32 v5, s0
	v_cndmask_b32_e32 v2, v2, v58, vcc
	v_cndmask_b32_e32 v1, v1, v57, vcc
	;;#ASMSTART
	global_store_dwordx4 v[5:6], v[1:4] off	
s_waitcnt vmcnt(0)
	;;#ASMEND
	v_mov_b32_e32 v29, v57
	v_mov_b32_e32 v30, v58
.LBB159_103:
	s_or_b64 exec, exec, s[6:7]
.LBB159_104:
	s_waitcnt lgkmcnt(0)
	s_add_u32 s0, s8, s12
	s_addc_u32 s1, s9, s13
	s_mov_b64 s[6:7], -1
	s_and_b64 vcc, exec, s[10:11]
	; wave barrier
	s_cbranch_vccz .LBB159_106
; %bb.105:
	ds_write_b128 v60, v[29:32]
	ds_write_b128 v60, v[33:36] offset:16
	ds_write_b128 v60, v[37:40] offset:32
	;; [unrolled: 1-line block ×6, first 2 shown]
	s_waitcnt lgkmcnt(0)
	; wave barrier
	ds_read2st64_b64 v[1:4], v59 offset1:1
	ds_read2st64_b64 v[5:8], v59 offset0:2 offset1:3
	ds_read2st64_b64 v[9:12], v59 offset0:4 offset1:5
	;; [unrolled: 1-line block ×6, first 2 shown]
	v_mov_b32_e32 v57, s1
	v_add_co_u32_e32 v58, vcc, s0, v59
	v_addc_co_u32_e32 v57, vcc, 0, v57, vcc
	s_waitcnt lgkmcnt(6)
	global_store_dwordx2 v59, v[1:2], s[0:1]
	global_store_dwordx2 v59, v[3:4], s[0:1] offset:512
	s_waitcnt lgkmcnt(5)
	global_store_dwordx2 v59, v[5:6], s[0:1] offset:1024
	global_store_dwordx2 v59, v[7:8], s[0:1] offset:1536
	s_waitcnt lgkmcnt(4)
	global_store_dwordx2 v59, v[9:10], s[0:1] offset:2048
	;; [unrolled: 3-line block ×3, first 2 shown]
	global_store_dwordx2 v59, v[15:16], s[0:1] offset:3584
	v_add_co_u32_e32 v1, vcc, 0x1000, v58
	v_addc_co_u32_e32 v2, vcc, 0, v57, vcc
	s_waitcnt lgkmcnt(2)
	global_store_dwordx2 v[1:2], v[17:18], off
	global_store_dwordx2 v[1:2], v[19:20], off offset:512
	s_waitcnt lgkmcnt(1)
	global_store_dwordx2 v[1:2], v[21:22], off offset:1024
	global_store_dwordx2 v[1:2], v[23:24], off offset:1536
	s_waitcnt lgkmcnt(0)
	global_store_dwordx2 v[1:2], v[25:26], off offset:2048
	global_store_dwordx2 v[1:2], v[27:28], off offset:2560
	s_mov_b64 s[6:7], 0
.LBB159_106:
	s_andn2_b64 vcc, exec, s[6:7]
	s_cbranch_vccnz .LBB159_186
; %bb.107:
	s_movk_i32 s6, 0xff98
	v_mad_i32_i24 v26, v0, s6, v60
	ds_write_b128 v60, v[29:32]
	ds_write_b128 v60, v[33:36] offset:16
	ds_write_b128 v60, v[37:40] offset:32
	;; [unrolled: 1-line block ×6, first 2 shown]
	s_waitcnt lgkmcnt(0)
	; wave barrier
	ds_read2st64_b64 v[6:9], v26 offset1:1
	ds_read2st64_b64 v[10:13], v26 offset0:2 offset1:3
	ds_read2st64_b64 v[14:17], v26 offset0:4 offset1:5
	;; [unrolled: 1-line block ×6, first 2 shown]
	v_mov_b32_e32 v31, s1
	v_add_co_u32_e32 v30, vcc, s0, v59
	v_addc_co_u32_e32 v31, vcc, 0, v31, vcc
	v_mov_b32_e32 v1, 0
	v_cmp_gt_u32_e32 vcc, s22, v0
	s_and_saveexec_b64 s[0:1], vcc
	s_cbranch_execz .LBB159_109
; %bb.108:
	s_waitcnt lgkmcnt(6)
	global_store_dwordx2 v[30:31], v[6:7], off
.LBB159_109:
	s_or_b64 exec, exec, s[0:1]
	v_or_b32_e32 v32, 64, v0
	v_cmp_gt_u32_e32 vcc, s22, v32
	s_and_saveexec_b64 s[0:1], vcc
	s_cbranch_execz .LBB159_111
; %bb.110:
	s_waitcnt lgkmcnt(6)
	global_store_dwordx2 v[30:31], v[8:9], off offset:512
.LBB159_111:
	s_or_b64 exec, exec, s[0:1]
	v_or_b32_e32 v32, 0x80, v0
	v_cmp_gt_u32_e32 vcc, s22, v32
	s_and_saveexec_b64 s[0:1], vcc
	s_cbranch_execz .LBB159_113
; %bb.112:
	s_waitcnt lgkmcnt(5)
	global_store_dwordx2 v[30:31], v[10:11], off offset:1024
.LBB159_113:
	;; [unrolled: 9-line block ×7, first 2 shown]
	s_or_b64 exec, exec, s[0:1]
	v_or_b32_e32 v32, 0x200, v0
	v_cmp_gt_u32_e32 vcc, s22, v32
	s_and_saveexec_b64 s[0:1], vcc
	s_cbranch_execz .LBB159_125
; %bb.124:
	v_add_co_u32_e32 v32, vcc, 0x1000, v30
	v_addc_co_u32_e32 v33, vcc, 0, v31, vcc
	s_waitcnt lgkmcnt(2)
	global_store_dwordx2 v[32:33], v[22:23], off
.LBB159_125:
	s_or_b64 exec, exec, s[0:1]
	v_or_b32_e32 v32, 0x240, v0
	v_cmp_gt_u32_e32 vcc, s22, v32
	s_and_saveexec_b64 s[0:1], vcc
	s_cbranch_execz .LBB159_127
; %bb.126:
	v_add_co_u32_e32 v32, vcc, 0x1000, v30
	v_addc_co_u32_e32 v33, vcc, 0, v31, vcc
	s_waitcnt lgkmcnt(2)
	global_store_dwordx2 v[32:33], v[24:25], off offset:512
.LBB159_127:
	s_or_b64 exec, exec, s[0:1]
	v_or_b32_e32 v32, 0x280, v0
	v_cmp_gt_u32_e32 vcc, s22, v32
	s_and_saveexec_b64 s[0:1], vcc
	s_cbranch_execz .LBB159_129
; %bb.128:
	v_add_co_u32_e32 v32, vcc, 0x1000, v30
	v_addc_co_u32_e32 v33, vcc, 0, v31, vcc
	s_waitcnt lgkmcnt(1)
	global_store_dwordx2 v[32:33], v[18:19], off offset:1024
.LBB159_129:
	;; [unrolled: 11-line block ×5, first 2 shown]
	s_or_b64 exec, exec, s[0:1]
	s_load_dword s0, s[4:5], 0x50
	s_waitcnt lgkmcnt(0)
	s_bfe_u32 s0, s0, 0x10008
	s_cmp_eq_u32 s0, 0
	s_cbranch_scc1 .LBB159_186
; %bb.136:
	s_add_u32 s0, s22, -1
	s_addc_u32 s1, s23, -1
	s_lshr_b64 s[4:5], s[0:1], 1
	s_lshr_b32 s7, s1, 1
	s_mul_hi_u32 s5, s4, 0x49249249
	s_mul_i32 s6, s4, 0x49249249
	s_mul_i32 s9, s7, 0x24924925
	s_mul_hi_u32 s4, s4, 0x24924925
	s_mul_hi_u32 s8, s7, 0x24924925
	s_add_u32 s4, s9, s4
	s_addc_u32 s8, s8, 0
	s_add_u32 s4, s6, s4
	s_addc_u32 s4, s5, 0
	;; [unrolled: 2-line block ×3, first 2 shown]
	s_mul_hi_u32 s6, s7, 0x49249249
	s_mul_i32 s7, s7, 0x49249249
	s_add_u32 s4, s7, s4
	s_addc_u32 s5, s6, s5
	s_lshr_b64 s[4:5], s[4:5], 1
	v_cmp_eq_u64_e32 vcc, s[4:5], v[0:1]
	s_and_saveexec_b64 s[4:5], vcc
	s_cbranch_execz .LBB159_186
; %bb.137:
	v_mul_hi_u32_u24_e32 v1, 14, v0
	v_mul_u32_u24_e32 v0, 14, v0
	v_mov_b32_e32 v30, s1
	v_sub_co_u32_e32 v0, vcc, s0, v0
	v_subb_co_u32_e32 v1, vcc, v30, v1, vcc
	v_cmp_lt_i64_e32 vcc, 6, v[0:1]
	s_and_saveexec_b64 s[0:1], vcc
	s_xor_b64 s[0:1], exec, s[0:1]
	s_cbranch_execz .LBB159_163
; %bb.138:
	v_cmp_lt_i64_e32 vcc, 9, v[0:1]
	s_and_saveexec_b64 s[4:5], vcc
	s_xor_b64 s[4:5], exec, s[4:5]
	s_cbranch_execz .LBB159_152
; %bb.139:
	;; [unrolled: 5-line block ×4, first 2 shown]
	v_mov_b32_e32 v0, 0
	global_store_dwordx2 v0, v[28:29], s[2:3]
                                        ; implicit-def: $vgpr26_vgpr27_vgpr28_vgpr29
.LBB159_142:
	s_andn2_saveexec_b64 s[8:9], s[8:9]
	s_cbranch_execz .LBB159_144
; %bb.143:
	v_mov_b32_e32 v0, 0
	global_store_dwordx2 v0, v[26:27], s[2:3]
.LBB159_144:
	s_or_b64 exec, exec, s[8:9]
                                        ; implicit-def: $vgpr18_vgpr19_vgpr20_vgpr21
                                        ; implicit-def: $vgpr0_vgpr1
.LBB159_145:
	s_andn2_saveexec_b64 s[6:7], s[6:7]
	s_cbranch_execz .LBB159_151
; %bb.146:
	v_cmp_lt_i64_e32 vcc, 10, v[0:1]
	s_and_saveexec_b64 s[8:9], vcc
	s_xor_b64 s[8:9], exec, s[8:9]
	s_cbranch_execz .LBB159_148
; %bb.147:
	v_mov_b32_e32 v0, 0
	global_store_dwordx2 v0, v[20:21], s[2:3]
                                        ; implicit-def: $vgpr18_vgpr19_vgpr20_vgpr21
.LBB159_148:
	s_andn2_saveexec_b64 s[8:9], s[8:9]
	s_cbranch_execz .LBB159_150
; %bb.149:
	v_mov_b32_e32 v0, 0
	global_store_dwordx2 v0, v[18:19], s[2:3]
.LBB159_150:
	s_or_b64 exec, exec, s[8:9]
.LBB159_151:
	s_or_b64 exec, exec, s[6:7]
                                        ; implicit-def: $vgpr2_vgpr3_vgpr4_vgpr5
                                        ; implicit-def: $vgpr0_vgpr1
                                        ; implicit-def: $vgpr22_vgpr23_vgpr24_vgpr25
.LBB159_152:
	s_andn2_saveexec_b64 s[4:5], s[4:5]
	s_cbranch_execz .LBB159_162
; %bb.153:
	v_cmp_lt_i64_e32 vcc, 7, v[0:1]
	s_and_saveexec_b64 s[6:7], vcc
	s_xor_b64 s[6:7], exec, s[6:7]
	s_cbranch_execz .LBB159_159
; %bb.154:
	v_cmp_lt_i64_e32 vcc, 8, v[0:1]
	s_and_saveexec_b64 s[8:9], vcc
	s_xor_b64 s[8:9], exec, s[8:9]
	s_cbranch_execz .LBB159_156
; %bb.155:
	v_mov_b32_e32 v0, 0
	global_store_dwordx2 v0, v[24:25], s[2:3]
                                        ; implicit-def: $vgpr22_vgpr23_vgpr24_vgpr25
.LBB159_156:
	s_andn2_saveexec_b64 s[8:9], s[8:9]
	s_cbranch_execz .LBB159_158
; %bb.157:
	v_mov_b32_e32 v0, 0
	global_store_dwordx2 v0, v[22:23], s[2:3]
.LBB159_158:
	s_or_b64 exec, exec, s[8:9]
                                        ; implicit-def: $vgpr2_vgpr3_vgpr4_vgpr5
.LBB159_159:
	s_andn2_saveexec_b64 s[6:7], s[6:7]
	s_cbranch_execz .LBB159_161
; %bb.160:
	v_mov_b32_e32 v0, 0
	global_store_dwordx2 v0, v[4:5], s[2:3]
.LBB159_161:
	s_or_b64 exec, exec, s[6:7]
.LBB159_162:
	s_or_b64 exec, exec, s[4:5]
                                        ; implicit-def: $vgpr0_vgpr1
                                        ; implicit-def: $vgpr14_vgpr15_vgpr16_vgpr17
                                        ; implicit-def: $vgpr6_vgpr7_vgpr8_vgpr9
                                        ; implicit-def: $vgpr10_vgpr11_vgpr12_vgpr13
                                        ; implicit-def: $vgpr2_vgpr3_vgpr4_vgpr5
.LBB159_163:
	s_andn2_saveexec_b64 s[0:1], s[0:1]
	s_cbranch_execz .LBB159_186
; %bb.164:
	v_cmp_lt_i64_e32 vcc, 3, v[0:1]
	s_and_saveexec_b64 s[0:1], vcc
	s_xor_b64 s[0:1], exec, s[0:1]
	s_cbranch_execz .LBB159_174
; %bb.165:
	v_cmp_lt_i64_e32 vcc, 4, v[0:1]
	s_and_saveexec_b64 s[4:5], vcc
	s_xor_b64 s[4:5], exec, s[4:5]
	;; [unrolled: 5-line block ×3, first 2 shown]
	s_cbranch_execz .LBB159_168
; %bb.167:
	v_mov_b32_e32 v0, 0
	global_store_dwordx2 v0, v[2:3], s[2:3]
                                        ; implicit-def: $vgpr14_vgpr15_vgpr16_vgpr17
.LBB159_168:
	s_andn2_saveexec_b64 s[6:7], s[6:7]
	s_cbranch_execz .LBB159_170
; %bb.169:
	v_mov_b32_e32 v0, 0
	global_store_dwordx2 v0, v[16:17], s[2:3]
.LBB159_170:
	s_or_b64 exec, exec, s[6:7]
                                        ; implicit-def: $vgpr14_vgpr15_vgpr16_vgpr17
.LBB159_171:
	s_andn2_saveexec_b64 s[4:5], s[4:5]
	s_cbranch_execz .LBB159_173
; %bb.172:
	v_mov_b32_e32 v0, 0
	global_store_dwordx2 v0, v[14:15], s[2:3]
.LBB159_173:
	s_or_b64 exec, exec, s[4:5]
                                        ; implicit-def: $vgpr0_vgpr1
                                        ; implicit-def: $vgpr6_vgpr7_vgpr8_vgpr9
                                        ; implicit-def: $vgpr10_vgpr11_vgpr12_vgpr13
.LBB159_174:
	s_andn2_saveexec_b64 s[0:1], s[0:1]
	s_cbranch_execz .LBB159_186
; %bb.175:
	v_cmp_lt_i64_e32 vcc, 1, v[0:1]
	s_and_saveexec_b64 s[0:1], vcc
	s_xor_b64 s[0:1], exec, s[0:1]
	s_cbranch_execz .LBB159_181
; %bb.176:
	v_cmp_lt_i64_e32 vcc, 2, v[0:1]
	s_and_saveexec_b64 s[4:5], vcc
	s_xor_b64 s[4:5], exec, s[4:5]
	s_cbranch_execz .LBB159_178
; %bb.177:
	v_mov_b32_e32 v0, 0
	global_store_dwordx2 v0, v[12:13], s[2:3]
                                        ; implicit-def: $vgpr10_vgpr11_vgpr12_vgpr13
.LBB159_178:
	s_andn2_saveexec_b64 s[4:5], s[4:5]
	s_cbranch_execz .LBB159_180
; %bb.179:
	v_mov_b32_e32 v0, 0
	global_store_dwordx2 v0, v[10:11], s[2:3]
.LBB159_180:
	s_or_b64 exec, exec, s[4:5]
                                        ; implicit-def: $vgpr6_vgpr7_vgpr8_vgpr9
                                        ; implicit-def: $vgpr0_vgpr1
.LBB159_181:
	s_andn2_saveexec_b64 s[0:1], s[0:1]
	s_cbranch_execz .LBB159_186
; %bb.182:
	v_cmp_ne_u64_e32 vcc, 1, v[0:1]
	s_and_saveexec_b64 s[0:1], vcc
	s_xor_b64 s[0:1], exec, s[0:1]
	s_cbranch_execz .LBB159_184
; %bb.183:
	v_mov_b32_e32 v0, 0
	global_store_dwordx2 v0, v[6:7], s[2:3]
                                        ; implicit-def: $vgpr6_vgpr7_vgpr8_vgpr9
.LBB159_184:
	s_andn2_saveexec_b64 s[0:1], s[0:1]
	s_cbranch_execz .LBB159_186
; %bb.185:
	v_mov_b32_e32 v0, 0
	global_store_dwordx2 v0, v[8:9], s[2:3]
.LBB159_186:
	s_endpgm
	.section	.rodata,"a",@progbits
	.p2align	6, 0x0
	.amdhsa_kernel _ZN7rocprim6detail20lookback_scan_kernelILNS0_25lookback_scan_determinismE0ELb1ENS0_19wrapped_scan_configINS_14default_configEyEEN6hipcub22TransformInputIteratorIyNS6_6CastOpIyEEPylEESA_NS6_3MinENS_12future_valueIySA_EEyNS0_19lookback_scan_stateIyLb0ELb1EEEEEvT2_T3_mT5_T4_T7_jPT6_SN_bb
		.amdhsa_group_segment_fixed_size 7168
		.amdhsa_private_segment_fixed_size 0
		.amdhsa_kernarg_size 84
		.amdhsa_user_sgpr_count 6
		.amdhsa_user_sgpr_private_segment_buffer 1
		.amdhsa_user_sgpr_dispatch_ptr 0
		.amdhsa_user_sgpr_queue_ptr 0
		.amdhsa_user_sgpr_kernarg_segment_ptr 1
		.amdhsa_user_sgpr_dispatch_id 0
		.amdhsa_user_sgpr_flat_scratch_init 0
		.amdhsa_user_sgpr_private_segment_size 0
		.amdhsa_uses_dynamic_stack 0
		.amdhsa_system_sgpr_private_segment_wavefront_offset 0
		.amdhsa_system_sgpr_workgroup_id_x 1
		.amdhsa_system_sgpr_workgroup_id_y 0
		.amdhsa_system_sgpr_workgroup_id_z 0
		.amdhsa_system_sgpr_workgroup_info 0
		.amdhsa_system_vgpr_workitem_id 0
		.amdhsa_next_free_vgpr 65
		.amdhsa_next_free_sgpr 98
		.amdhsa_reserve_vcc 1
		.amdhsa_reserve_flat_scratch 0
		.amdhsa_float_round_mode_32 0
		.amdhsa_float_round_mode_16_64 0
		.amdhsa_float_denorm_mode_32 3
		.amdhsa_float_denorm_mode_16_64 3
		.amdhsa_dx10_clamp 1
		.amdhsa_ieee_mode 1
		.amdhsa_fp16_overflow 0
		.amdhsa_exception_fp_ieee_invalid_op 0
		.amdhsa_exception_fp_denorm_src 0
		.amdhsa_exception_fp_ieee_div_zero 0
		.amdhsa_exception_fp_ieee_overflow 0
		.amdhsa_exception_fp_ieee_underflow 0
		.amdhsa_exception_fp_ieee_inexact 0
		.amdhsa_exception_int_div_zero 0
	.end_amdhsa_kernel
	.section	.text._ZN7rocprim6detail20lookback_scan_kernelILNS0_25lookback_scan_determinismE0ELb1ENS0_19wrapped_scan_configINS_14default_configEyEEN6hipcub22TransformInputIteratorIyNS6_6CastOpIyEEPylEESA_NS6_3MinENS_12future_valueIySA_EEyNS0_19lookback_scan_stateIyLb0ELb1EEEEEvT2_T3_mT5_T4_T7_jPT6_SN_bb,"axG",@progbits,_ZN7rocprim6detail20lookback_scan_kernelILNS0_25lookback_scan_determinismE0ELb1ENS0_19wrapped_scan_configINS_14default_configEyEEN6hipcub22TransformInputIteratorIyNS6_6CastOpIyEEPylEESA_NS6_3MinENS_12future_valueIySA_EEyNS0_19lookback_scan_stateIyLb0ELb1EEEEEvT2_T3_mT5_T4_T7_jPT6_SN_bb,comdat
.Lfunc_end159:
	.size	_ZN7rocprim6detail20lookback_scan_kernelILNS0_25lookback_scan_determinismE0ELb1ENS0_19wrapped_scan_configINS_14default_configEyEEN6hipcub22TransformInputIteratorIyNS6_6CastOpIyEEPylEESA_NS6_3MinENS_12future_valueIySA_EEyNS0_19lookback_scan_stateIyLb0ELb1EEEEEvT2_T3_mT5_T4_T7_jPT6_SN_bb, .Lfunc_end159-_ZN7rocprim6detail20lookback_scan_kernelILNS0_25lookback_scan_determinismE0ELb1ENS0_19wrapped_scan_configINS_14default_configEyEEN6hipcub22TransformInputIteratorIyNS6_6CastOpIyEEPylEESA_NS6_3MinENS_12future_valueIySA_EEyNS0_19lookback_scan_stateIyLb0ELb1EEEEEvT2_T3_mT5_T4_T7_jPT6_SN_bb
                                        ; -- End function
	.set _ZN7rocprim6detail20lookback_scan_kernelILNS0_25lookback_scan_determinismE0ELb1ENS0_19wrapped_scan_configINS_14default_configEyEEN6hipcub22TransformInputIteratorIyNS6_6CastOpIyEEPylEESA_NS6_3MinENS_12future_valueIySA_EEyNS0_19lookback_scan_stateIyLb0ELb1EEEEEvT2_T3_mT5_T4_T7_jPT6_SN_bb.num_vgpr, 62
	.set _ZN7rocprim6detail20lookback_scan_kernelILNS0_25lookback_scan_determinismE0ELb1ENS0_19wrapped_scan_configINS_14default_configEyEEN6hipcub22TransformInputIteratorIyNS6_6CastOpIyEEPylEESA_NS6_3MinENS_12future_valueIySA_EEyNS0_19lookback_scan_stateIyLb0ELb1EEEEEvT2_T3_mT5_T4_T7_jPT6_SN_bb.num_agpr, 0
	.set _ZN7rocprim6detail20lookback_scan_kernelILNS0_25lookback_scan_determinismE0ELb1ENS0_19wrapped_scan_configINS_14default_configEyEEN6hipcub22TransformInputIteratorIyNS6_6CastOpIyEEPylEESA_NS6_3MinENS_12future_valueIySA_EEyNS0_19lookback_scan_stateIyLb0ELb1EEEEEvT2_T3_mT5_T4_T7_jPT6_SN_bb.numbered_sgpr, 26
	.set _ZN7rocprim6detail20lookback_scan_kernelILNS0_25lookback_scan_determinismE0ELb1ENS0_19wrapped_scan_configINS_14default_configEyEEN6hipcub22TransformInputIteratorIyNS6_6CastOpIyEEPylEESA_NS6_3MinENS_12future_valueIySA_EEyNS0_19lookback_scan_stateIyLb0ELb1EEEEEvT2_T3_mT5_T4_T7_jPT6_SN_bb.num_named_barrier, 0
	.set _ZN7rocprim6detail20lookback_scan_kernelILNS0_25lookback_scan_determinismE0ELb1ENS0_19wrapped_scan_configINS_14default_configEyEEN6hipcub22TransformInputIteratorIyNS6_6CastOpIyEEPylEESA_NS6_3MinENS_12future_valueIySA_EEyNS0_19lookback_scan_stateIyLb0ELb1EEEEEvT2_T3_mT5_T4_T7_jPT6_SN_bb.private_seg_size, 0
	.set _ZN7rocprim6detail20lookback_scan_kernelILNS0_25lookback_scan_determinismE0ELb1ENS0_19wrapped_scan_configINS_14default_configEyEEN6hipcub22TransformInputIteratorIyNS6_6CastOpIyEEPylEESA_NS6_3MinENS_12future_valueIySA_EEyNS0_19lookback_scan_stateIyLb0ELb1EEEEEvT2_T3_mT5_T4_T7_jPT6_SN_bb.uses_vcc, 1
	.set _ZN7rocprim6detail20lookback_scan_kernelILNS0_25lookback_scan_determinismE0ELb1ENS0_19wrapped_scan_configINS_14default_configEyEEN6hipcub22TransformInputIteratorIyNS6_6CastOpIyEEPylEESA_NS6_3MinENS_12future_valueIySA_EEyNS0_19lookback_scan_stateIyLb0ELb1EEEEEvT2_T3_mT5_T4_T7_jPT6_SN_bb.uses_flat_scratch, 0
	.set _ZN7rocprim6detail20lookback_scan_kernelILNS0_25lookback_scan_determinismE0ELb1ENS0_19wrapped_scan_configINS_14default_configEyEEN6hipcub22TransformInputIteratorIyNS6_6CastOpIyEEPylEESA_NS6_3MinENS_12future_valueIySA_EEyNS0_19lookback_scan_stateIyLb0ELb1EEEEEvT2_T3_mT5_T4_T7_jPT6_SN_bb.has_dyn_sized_stack, 0
	.set _ZN7rocprim6detail20lookback_scan_kernelILNS0_25lookback_scan_determinismE0ELb1ENS0_19wrapped_scan_configINS_14default_configEyEEN6hipcub22TransformInputIteratorIyNS6_6CastOpIyEEPylEESA_NS6_3MinENS_12future_valueIySA_EEyNS0_19lookback_scan_stateIyLb0ELb1EEEEEvT2_T3_mT5_T4_T7_jPT6_SN_bb.has_recursion, 0
	.set _ZN7rocprim6detail20lookback_scan_kernelILNS0_25lookback_scan_determinismE0ELb1ENS0_19wrapped_scan_configINS_14default_configEyEEN6hipcub22TransformInputIteratorIyNS6_6CastOpIyEEPylEESA_NS6_3MinENS_12future_valueIySA_EEyNS0_19lookback_scan_stateIyLb0ELb1EEEEEvT2_T3_mT5_T4_T7_jPT6_SN_bb.has_indirect_call, 0
	.section	.AMDGPU.csdata,"",@progbits
; Kernel info:
; codeLenInByte = 5884
; TotalNumSgprs: 30
; NumVgprs: 62
; ScratchSize: 0
; MemoryBound: 0
; FloatMode: 240
; IeeeMode: 1
; LDSByteSize: 7168 bytes/workgroup (compile time only)
; SGPRBlocks: 12
; VGPRBlocks: 16
; NumSGPRsForWavesPerEU: 102
; NumVGPRsForWavesPerEU: 65
; Occupancy: 3
; WaveLimiterHint : 1
; COMPUTE_PGM_RSRC2:SCRATCH_EN: 0
; COMPUTE_PGM_RSRC2:USER_SGPR: 6
; COMPUTE_PGM_RSRC2:TRAP_HANDLER: 0
; COMPUTE_PGM_RSRC2:TGID_X_EN: 1
; COMPUTE_PGM_RSRC2:TGID_Y_EN: 0
; COMPUTE_PGM_RSRC2:TGID_Z_EN: 0
; COMPUTE_PGM_RSRC2:TIDIG_COMP_CNT: 0
	.section	.text._ZN7rocprim6detail18single_scan_kernelILb1ENS0_19wrapped_scan_configINS_14default_configEyEEN6hipcub22TransformInputIteratorIyNS5_6CastOpIyEEPylEES9_NS5_3MinENS_12future_valueIyS9_EEyEEvT1_mT4_T2_T3_,"axG",@progbits,_ZN7rocprim6detail18single_scan_kernelILb1ENS0_19wrapped_scan_configINS_14default_configEyEEN6hipcub22TransformInputIteratorIyNS5_6CastOpIyEEPylEES9_NS5_3MinENS_12future_valueIyS9_EEyEEvT1_mT4_T2_T3_,comdat
	.protected	_ZN7rocprim6detail18single_scan_kernelILb1ENS0_19wrapped_scan_configINS_14default_configEyEEN6hipcub22TransformInputIteratorIyNS5_6CastOpIyEEPylEES9_NS5_3MinENS_12future_valueIyS9_EEyEEvT1_mT4_T2_T3_ ; -- Begin function _ZN7rocprim6detail18single_scan_kernelILb1ENS0_19wrapped_scan_configINS_14default_configEyEEN6hipcub22TransformInputIteratorIyNS5_6CastOpIyEEPylEES9_NS5_3MinENS_12future_valueIyS9_EEyEEvT1_mT4_T2_T3_
	.globl	_ZN7rocprim6detail18single_scan_kernelILb1ENS0_19wrapped_scan_configINS_14default_configEyEEN6hipcub22TransformInputIteratorIyNS5_6CastOpIyEEPylEES9_NS5_3MinENS_12future_valueIyS9_EEyEEvT1_mT4_T2_T3_
	.p2align	8
	.type	_ZN7rocprim6detail18single_scan_kernelILb1ENS0_19wrapped_scan_configINS_14default_configEyEEN6hipcub22TransformInputIteratorIyNS5_6CastOpIyEEPylEES9_NS5_3MinENS_12future_valueIyS9_EEyEEvT1_mT4_T2_T3_,@function
_ZN7rocprim6detail18single_scan_kernelILb1ENS0_19wrapped_scan_configINS_14default_configEyEEN6hipcub22TransformInputIteratorIyNS5_6CastOpIyEEPylEES9_NS5_3MinENS_12future_valueIyS9_EEyEEvT1_mT4_T2_T3_: ; @_ZN7rocprim6detail18single_scan_kernelILb1ENS0_19wrapped_scan_configINS_14default_configEyEEN6hipcub22TransformInputIteratorIyNS5_6CastOpIyEEPylEES9_NS5_3MinENS_12future_valueIyS9_EEyEEvT1_mT4_T2_T3_
; %bb.0:
	s_load_dwordx2 s[0:1], s[4:5], 0x0
	s_load_dwordx4 s[36:39], s[4:5], 0x10
	v_lshlrev_b32_e32 v31, 3, v0
	s_waitcnt lgkmcnt(0)
	s_load_dwordx2 s[30:31], s[0:1], 0x0
	v_mov_b32_e32 v1, s1
	v_add_co_u32_e32 v3, vcc, s0, v31
	v_addc_co_u32_e32 v4, vcc, 0, v1, vcc
	s_waitcnt lgkmcnt(0)
	v_mov_b32_e32 v1, s30
	v_cmp_gt_u32_e64 s[0:1], s36, v0
	v_mov_b32_e32 v2, s31
	s_and_saveexec_b64 s[2:3], s[0:1]
	s_cbranch_execz .LBB160_2
; %bb.1:
	global_load_dwordx2 v[1:2], v[3:4], off
.LBB160_2:
	s_or_b64 exec, exec, s[2:3]
	v_or_b32_e32 v5, 64, v0
	v_cmp_gt_u32_e64 s[2:3], s36, v5
	v_mov_b32_e32 v5, s30
	v_mov_b32_e32 v6, s31
	s_and_saveexec_b64 s[6:7], s[2:3]
	s_cbranch_execz .LBB160_4
; %bb.3:
	global_load_dwordx2 v[5:6], v[3:4], off offset:512
.LBB160_4:
	s_or_b64 exec, exec, s[6:7]
	v_or_b32_e32 v7, 0x80, v0
	v_cmp_gt_u32_e64 s[28:29], s36, v7
	v_mov_b32_e32 v7, s30
	v_mov_b32_e32 v8, s31
	s_and_saveexec_b64 s[6:7], s[28:29]
	s_cbranch_execz .LBB160_6
; %bb.5:
	global_load_dwordx2 v[7:8], v[3:4], off offset:1024
.LBB160_6:
	;; [unrolled: 10-line block ×7, first 2 shown]
	s_or_b64 exec, exec, s[16:17]
	v_or_b32_e32 v19, 0x200, v0
	v_cmp_gt_u32_e64 s[16:17], s36, v19
	v_mov_b32_e32 v19, s30
	v_mov_b32_e32 v20, s31
	s_and_saveexec_b64 s[18:19], s[16:17]
	s_cbranch_execz .LBB160_18
; %bb.17:
	v_add_co_u32_e32 v19, vcc, 0x1000, v3
	v_addc_co_u32_e32 v20, vcc, 0, v4, vcc
	global_load_dwordx2 v[19:20], v[19:20], off
.LBB160_18:
	s_or_b64 exec, exec, s[18:19]
	v_or_b32_e32 v21, 0x240, v0
	v_cmp_gt_u32_e64 s[18:19], s36, v21
	v_mov_b32_e32 v21, s30
	v_mov_b32_e32 v22, s31
	s_and_saveexec_b64 s[20:21], s[18:19]
	s_cbranch_execz .LBB160_20
; %bb.19:
	v_add_co_u32_e32 v21, vcc, 0x1000, v3
	v_addc_co_u32_e32 v22, vcc, 0, v4, vcc
	global_load_dwordx2 v[21:22], v[21:22], off offset:512
.LBB160_20:
	s_or_b64 exec, exec, s[20:21]
	v_or_b32_e32 v23, 0x280, v0
	v_cmp_gt_u32_e64 s[20:21], s36, v23
	v_mov_b32_e32 v23, s30
	v_mov_b32_e32 v24, s31
	s_and_saveexec_b64 s[22:23], s[20:21]
	s_cbranch_execz .LBB160_22
; %bb.21:
	v_add_co_u32_e32 v23, vcc, 0x1000, v3
	v_addc_co_u32_e32 v24, vcc, 0, v4, vcc
	global_load_dwordx2 v[23:24], v[23:24], off offset:1024
.LBB160_22:
	;; [unrolled: 12-line block ×5, first 2 shown]
	s_or_b64 exec, exec, s[30:31]
	s_movk_i32 s33, 0x68
	s_load_dwordx2 s[30:31], s[38:39], 0x0
	s_waitcnt vmcnt(0)
	ds_write2st64_b64 v31, v[1:2], v[5:6] offset1:1
	ds_write2st64_b64 v31, v[7:8], v[9:10] offset0:2 offset1:3
	ds_write2st64_b64 v31, v[11:12], v[13:14] offset0:4 offset1:5
	;; [unrolled: 1-line block ×6, first 2 shown]
	v_mad_u32_u24 v9, v0, s33, v31
	s_waitcnt lgkmcnt(0)
	; wave barrier
	ds_read_b128 v[25:28], v9
	ds_read_b128 v[21:24], v9 offset:16
	ds_read_b128 v[17:20], v9 offset:32
	;; [unrolled: 1-line block ×6, first 2 shown]
	s_waitcnt lgkmcnt(6)
	v_cmp_lt_u64_e32 vcc, v[25:26], v[27:28]
	s_waitcnt lgkmcnt(0)
	v_cndmask_b32_e32 v30, v28, v26, vcc
	v_cndmask_b32_e32 v29, v27, v25, vcc
	v_cmp_lt_u64_e32 vcc, v[29:30], v[21:22]
	; wave barrier
	v_cndmask_b32_e32 v30, v22, v30, vcc
	v_cndmask_b32_e32 v29, v21, v29, vcc
	v_cmp_lt_u64_e32 vcc, v[29:30], v[23:24]
	v_cndmask_b32_e32 v30, v24, v30, vcc
	v_cndmask_b32_e32 v29, v23, v29, vcc
	v_cmp_lt_u64_e32 vcc, v[29:30], v[17:18]
	;; [unrolled: 3-line block ×11, first 2 shown]
	v_cndmask_b32_e32 v11, v11, v29, vcc
	v_mbcnt_lo_u32_b32 v29, -1, 0
	v_mbcnt_hi_u32_b32 v32, -1, v29
	v_cndmask_b32_e32 v12, v12, v30, vcc
	v_and_b32_e32 v33, 15, v32
	v_mov_b32_dpp v29, v11 row_shr:1 row_mask:0xf bank_mask:0xf
	v_mov_b32_dpp v34, v12 row_shr:1 row_mask:0xf bank_mask:0xf
	v_cmp_ne_u32_e32 vcc, 0, v33
	s_and_saveexec_b64 s[34:35], vcc
; %bb.29:
	v_mov_b32_e32 v30, v34
	v_cmp_lt_u64_e32 vcc, v[29:30], v[11:12]
	v_cndmask_b32_e32 v12, v12, v34, vcc
	v_cndmask_b32_e32 v11, v11, v29, vcc
; %bb.30:
	s_or_b64 exec, exec, s[34:35]
	s_nop 0
	v_mov_b32_dpp v29, v11 row_shr:2 row_mask:0xf bank_mask:0xf
	v_mov_b32_dpp v34, v12 row_shr:2 row_mask:0xf bank_mask:0xf
	v_cmp_lt_u32_e32 vcc, 1, v33
	s_and_saveexec_b64 s[34:35], vcc
; %bb.31:
	v_mov_b32_e32 v30, v34
	v_cmp_lt_u64_e32 vcc, v[29:30], v[11:12]
	v_cndmask_b32_e32 v12, v12, v34, vcc
	v_cndmask_b32_e32 v11, v11, v29, vcc
; %bb.32:
	s_or_b64 exec, exec, s[34:35]
	s_nop 0
	v_mov_b32_dpp v29, v11 row_shr:4 row_mask:0xf bank_mask:0xf
	v_mov_b32_dpp v34, v12 row_shr:4 row_mask:0xf bank_mask:0xf
	v_cmp_lt_u32_e32 vcc, 3, v33
	s_and_saveexec_b64 s[34:35], vcc
; %bb.33:
	v_mov_b32_e32 v30, v34
	v_cmp_lt_u64_e32 vcc, v[29:30], v[11:12]
	v_cndmask_b32_e32 v12, v12, v34, vcc
	v_cndmask_b32_e32 v11, v11, v29, vcc
; %bb.34:
	s_or_b64 exec, exec, s[34:35]
	s_load_dwordx2 s[34:35], s[4:5], 0x20
	v_mov_b32_dpp v29, v11 row_shr:8 row_mask:0xf bank_mask:0xf
	v_mov_b32_dpp v34, v12 row_shr:8 row_mask:0xf bank_mask:0xf
	v_cmp_lt_u32_e32 vcc, 7, v33
	s_and_saveexec_b64 s[4:5], vcc
; %bb.35:
	v_mov_b32_e32 v30, v34
	v_cmp_lt_u64_e32 vcc, v[29:30], v[11:12]
	v_cndmask_b32_e32 v12, v12, v34, vcc
	v_cndmask_b32_e32 v11, v11, v29, vcc
; %bb.36:
	s_or_b64 exec, exec, s[4:5]
	v_and_b32_e32 v30, 16, v32
	v_mov_b32_dpp v29, v11 row_bcast:15 row_mask:0xf bank_mask:0xf
	v_mov_b32_dpp v33, v12 row_bcast:15 row_mask:0xf bank_mask:0xf
	v_cmp_ne_u32_e32 vcc, 0, v30
	s_and_saveexec_b64 s[4:5], vcc
; %bb.37:
	v_mov_b32_e32 v30, v33
	v_cmp_lt_u64_e32 vcc, v[29:30], v[11:12]
	v_cndmask_b32_e32 v12, v12, v33, vcc
	v_cndmask_b32_e32 v11, v11, v29, vcc
; %bb.38:
	s_or_b64 exec, exec, s[4:5]
	s_nop 0
	v_mov_b32_dpp v33, v11 row_bcast:31 row_mask:0xf bank_mask:0xf
	v_mov_b32_dpp v34, v12 row_bcast:31 row_mask:0xf bank_mask:0xf
	v_cmp_lt_u64_e32 vcc, v[33:34], v[11:12]
	v_cmp_lt_u32_e64 s[4:5], 31, v32
	s_and_b64 vcc, s[4:5], vcc
	v_mul_u32_u24_e32 v29, 0x68, v0
	v_cndmask_b32_e32 v12, v12, v34, vcc
	v_cndmask_b32_e32 v11, v11, v33, vcc
	v_cmp_eq_u32_e32 vcc, 63, v0
	s_and_saveexec_b64 s[4:5], vcc
; %bb.39:
	v_mov_b32_e32 v30, 0
	ds_write_b64 v30, v[11:12]
; %bb.40:
	s_or_b64 exec, exec, s[4:5]
	v_cmp_lt_u64_e32 vcc, s[30:31], v[11:12]
	v_mov_b32_e32 v30, s31
	v_mov_b32_e32 v33, s30
	v_cndmask_b32_e32 v12, v12, v30, vcc
	v_cndmask_b32_e32 v11, v11, v33, vcc
	v_subrev_co_u32_e32 v34, vcc, 1, v32
	v_and_b32_e32 v35, 64, v32
	v_cmp_lt_i32_e64 s[4:5], v34, v35
	v_cndmask_b32_e64 v32, v34, v32, s[4:5]
	v_lshlrev_b32_e32 v32, 2, v32
	ds_bpermute_b32 v11, v32, v11
	ds_bpermute_b32 v12, v32, v12
	v_cmp_eq_u32_e64 s[4:5], 0, v0
	s_or_b64 vcc, s[4:5], vcc
	s_waitcnt lgkmcnt(0)
	v_cndmask_b32_e32 v32, v11, v33, vcc
	v_cndmask_b32_e32 v33, v12, v30, vcc
	v_cmp_lt_u64_e32 vcc, v[32:33], v[25:26]
	; wave barrier
	v_cndmask_b32_e32 v35, v26, v33, vcc
	v_cndmask_b32_e32 v34, v25, v32, vcc
	v_cmp_lt_u64_e32 vcc, v[34:35], v[27:28]
	v_cndmask_b32_e32 v26, v28, v35, vcc
	v_cndmask_b32_e32 v25, v27, v34, vcc
	v_cmp_lt_u64_e32 vcc, v[25:26], v[21:22]
	; wave barrier
	v_cndmask_b32_e32 v28, v22, v26, vcc
	v_cndmask_b32_e32 v27, v21, v25, vcc
	v_cmp_lt_u64_e32 vcc, v[27:28], v[23:24]
	v_cndmask_b32_e32 v22, v24, v28, vcc
	v_cndmask_b32_e32 v21, v23, v27, vcc
	v_cmp_lt_u64_e32 vcc, v[21:22], v[17:18]
	;; [unrolled: 3-line block ×10, first 2 shown]
	v_add_u32_e32 v8, v31, v29
	v_cndmask_b32_e32 v7, v10, v5, vcc
	v_cndmask_b32_e32 v6, v9, v4, vcc
	ds_write_b128 v8, v[32:35]
	ds_write_b128 v8, v[25:28] offset:16
	ds_write_b128 v8, v[21:24] offset:32
	;; [unrolled: 1-line block ×6, first 2 shown]
	s_waitcnt lgkmcnt(0)
	; wave barrier
	ds_read2st64_b64 v[20:23], v31 offset0:1 offset1:2
	ds_read2st64_b64 v[16:19], v31 offset0:3 offset1:4
	;; [unrolled: 1-line block ×6, first 2 shown]
	ds_read_b64 v[24:25], v31 offset:6656
	v_mov_b32_e32 v27, s35
	v_add_co_u32_e32 v26, vcc, s34, v31
	v_addc_co_u32_e32 v27, vcc, 0, v27, vcc
	s_and_saveexec_b64 s[4:5], s[0:1]
	s_cbranch_execnz .LBB160_55
; %bb.41:
	s_or_b64 exec, exec, s[4:5]
	s_and_saveexec_b64 s[0:1], s[2:3]
	s_cbranch_execnz .LBB160_56
.LBB160_42:
	s_or_b64 exec, exec, s[0:1]
	s_and_saveexec_b64 s[0:1], s[28:29]
	s_cbranch_execnz .LBB160_57
.LBB160_43:
	s_or_b64 exec, exec, s[0:1]
	s_and_saveexec_b64 s[0:1], s[6:7]
	s_cbranch_execnz .LBB160_58
.LBB160_44:
	s_or_b64 exec, exec, s[0:1]
	s_and_saveexec_b64 s[0:1], s[8:9]
	s_cbranch_execnz .LBB160_59
.LBB160_45:
	s_or_b64 exec, exec, s[0:1]
	s_and_saveexec_b64 s[0:1], s[10:11]
	s_cbranch_execnz .LBB160_60
.LBB160_46:
	s_or_b64 exec, exec, s[0:1]
	s_and_saveexec_b64 s[0:1], s[12:13]
	s_cbranch_execnz .LBB160_61
.LBB160_47:
	s_or_b64 exec, exec, s[0:1]
	s_and_saveexec_b64 s[0:1], s[14:15]
	s_cbranch_execnz .LBB160_62
.LBB160_48:
	s_or_b64 exec, exec, s[0:1]
	s_and_saveexec_b64 s[0:1], s[16:17]
	s_cbranch_execnz .LBB160_63
.LBB160_49:
	s_or_b64 exec, exec, s[0:1]
	s_and_saveexec_b64 s[0:1], s[18:19]
	s_cbranch_execnz .LBB160_64
.LBB160_50:
	s_or_b64 exec, exec, s[0:1]
	s_and_saveexec_b64 s[0:1], s[20:21]
	s_cbranch_execnz .LBB160_65
.LBB160_51:
	s_or_b64 exec, exec, s[0:1]
	s_and_saveexec_b64 s[0:1], s[22:23]
	s_cbranch_execnz .LBB160_66
.LBB160_52:
	s_or_b64 exec, exec, s[0:1]
	s_and_saveexec_b64 s[0:1], s[24:25]
	s_cbranch_execnz .LBB160_67
.LBB160_53:
	s_or_b64 exec, exec, s[0:1]
	s_and_saveexec_b64 s[0:1], s[26:27]
	s_cbranch_execnz .LBB160_68
.LBB160_54:
	s_endpgm
.LBB160_55:
	ds_read_b64 v[28:29], v31
	s_waitcnt lgkmcnt(0)
	global_store_dwordx2 v[26:27], v[28:29], off
	s_or_b64 exec, exec, s[4:5]
	s_and_saveexec_b64 s[0:1], s[2:3]
	s_cbranch_execz .LBB160_42
.LBB160_56:
	s_waitcnt lgkmcnt(6)
	global_store_dwordx2 v[26:27], v[20:21], off offset:512
	s_or_b64 exec, exec, s[0:1]
	s_and_saveexec_b64 s[0:1], s[28:29]
	s_cbranch_execz .LBB160_43
.LBB160_57:
	s_waitcnt lgkmcnt(6)
	global_store_dwordx2 v[26:27], v[22:23], off offset:1024
	s_or_b64 exec, exec, s[0:1]
	s_and_saveexec_b64 s[0:1], s[6:7]
	s_cbranch_execz .LBB160_44
.LBB160_58:
	s_waitcnt lgkmcnt(5)
	global_store_dwordx2 v[26:27], v[16:17], off offset:1536
	s_or_b64 exec, exec, s[0:1]
	s_and_saveexec_b64 s[0:1], s[8:9]
	s_cbranch_execz .LBB160_45
.LBB160_59:
	s_waitcnt lgkmcnt(5)
	global_store_dwordx2 v[26:27], v[18:19], off offset:2048
	s_or_b64 exec, exec, s[0:1]
	s_and_saveexec_b64 s[0:1], s[10:11]
	s_cbranch_execz .LBB160_46
.LBB160_60:
	s_waitcnt lgkmcnt(4)
	global_store_dwordx2 v[26:27], v[12:13], off offset:2560
	s_or_b64 exec, exec, s[0:1]
	s_and_saveexec_b64 s[0:1], s[12:13]
	s_cbranch_execz .LBB160_47
.LBB160_61:
	s_waitcnt lgkmcnt(4)
	global_store_dwordx2 v[26:27], v[14:15], off offset:3072
	s_or_b64 exec, exec, s[0:1]
	s_and_saveexec_b64 s[0:1], s[14:15]
	s_cbranch_execz .LBB160_48
.LBB160_62:
	s_waitcnt lgkmcnt(3)
	global_store_dwordx2 v[26:27], v[8:9], off offset:3584
	s_or_b64 exec, exec, s[0:1]
	s_and_saveexec_b64 s[0:1], s[16:17]
	s_cbranch_execz .LBB160_49
.LBB160_63:
	s_waitcnt lgkmcnt(3)
	v_add_co_u32_e32 v8, vcc, 0x1000, v26
	v_addc_co_u32_e32 v9, vcc, 0, v27, vcc
	global_store_dwordx2 v[8:9], v[10:11], off
	s_or_b64 exec, exec, s[0:1]
	s_and_saveexec_b64 s[0:1], s[18:19]
	s_cbranch_execz .LBB160_50
.LBB160_64:
	s_waitcnt lgkmcnt(3)
	v_add_co_u32_e32 v8, vcc, 0x1000, v26
	v_addc_co_u32_e32 v9, vcc, 0, v27, vcc
	s_waitcnt lgkmcnt(2)
	global_store_dwordx2 v[8:9], v[4:5], off offset:512
	s_or_b64 exec, exec, s[0:1]
	s_and_saveexec_b64 s[0:1], s[20:21]
	s_cbranch_execz .LBB160_51
.LBB160_65:
	s_waitcnt lgkmcnt(2)
	v_add_co_u32_e32 v4, vcc, 0x1000, v26
	v_addc_co_u32_e32 v5, vcc, 0, v27, vcc
	global_store_dwordx2 v[4:5], v[6:7], off offset:1024
	s_or_b64 exec, exec, s[0:1]
	s_and_saveexec_b64 s[0:1], s[22:23]
	s_cbranch_execz .LBB160_52
.LBB160_66:
	s_waitcnt lgkmcnt(2)
	v_add_co_u32_e32 v4, vcc, 0x1000, v26
	v_addc_co_u32_e32 v5, vcc, 0, v27, vcc
	s_waitcnt lgkmcnt(1)
	global_store_dwordx2 v[4:5], v[0:1], off offset:1536
	s_or_b64 exec, exec, s[0:1]
	s_and_saveexec_b64 s[0:1], s[24:25]
	s_cbranch_execz .LBB160_53
.LBB160_67:
	s_waitcnt lgkmcnt(1)
	v_add_co_u32_e32 v0, vcc, 0x1000, v26
	v_addc_co_u32_e32 v1, vcc, 0, v27, vcc
	global_store_dwordx2 v[0:1], v[2:3], off offset:2048
	s_or_b64 exec, exec, s[0:1]
	s_and_saveexec_b64 s[0:1], s[26:27]
	s_cbranch_execz .LBB160_54
.LBB160_68:
	s_waitcnt lgkmcnt(1)
	v_add_co_u32_e32 v0, vcc, 0x1000, v26
	v_addc_co_u32_e32 v1, vcc, 0, v27, vcc
	s_waitcnt lgkmcnt(0)
	global_store_dwordx2 v[0:1], v[24:25], off offset:2560
	s_endpgm
	.section	.rodata,"a",@progbits
	.p2align	6, 0x0
	.amdhsa_kernel _ZN7rocprim6detail18single_scan_kernelILb1ENS0_19wrapped_scan_configINS_14default_configEyEEN6hipcub22TransformInputIteratorIyNS5_6CastOpIyEEPylEES9_NS5_3MinENS_12future_valueIyS9_EEyEEvT1_mT4_T2_T3_
		.amdhsa_group_segment_fixed_size 7168
		.amdhsa_private_segment_fixed_size 0
		.amdhsa_kernarg_size 44
		.amdhsa_user_sgpr_count 6
		.amdhsa_user_sgpr_private_segment_buffer 1
		.amdhsa_user_sgpr_dispatch_ptr 0
		.amdhsa_user_sgpr_queue_ptr 0
		.amdhsa_user_sgpr_kernarg_segment_ptr 1
		.amdhsa_user_sgpr_dispatch_id 0
		.amdhsa_user_sgpr_flat_scratch_init 0
		.amdhsa_user_sgpr_private_segment_size 0
		.amdhsa_uses_dynamic_stack 0
		.amdhsa_system_sgpr_private_segment_wavefront_offset 0
		.amdhsa_system_sgpr_workgroup_id_x 1
		.amdhsa_system_sgpr_workgroup_id_y 0
		.amdhsa_system_sgpr_workgroup_id_z 0
		.amdhsa_system_sgpr_workgroup_info 0
		.amdhsa_system_vgpr_workitem_id 0
		.amdhsa_next_free_vgpr 65
		.amdhsa_next_free_sgpr 98
		.amdhsa_reserve_vcc 1
		.amdhsa_reserve_flat_scratch 0
		.amdhsa_float_round_mode_32 0
		.amdhsa_float_round_mode_16_64 0
		.amdhsa_float_denorm_mode_32 3
		.amdhsa_float_denorm_mode_16_64 3
		.amdhsa_dx10_clamp 1
		.amdhsa_ieee_mode 1
		.amdhsa_fp16_overflow 0
		.amdhsa_exception_fp_ieee_invalid_op 0
		.amdhsa_exception_fp_denorm_src 0
		.amdhsa_exception_fp_ieee_div_zero 0
		.amdhsa_exception_fp_ieee_overflow 0
		.amdhsa_exception_fp_ieee_underflow 0
		.amdhsa_exception_fp_ieee_inexact 0
		.amdhsa_exception_int_div_zero 0
	.end_amdhsa_kernel
	.section	.text._ZN7rocprim6detail18single_scan_kernelILb1ENS0_19wrapped_scan_configINS_14default_configEyEEN6hipcub22TransformInputIteratorIyNS5_6CastOpIyEEPylEES9_NS5_3MinENS_12future_valueIyS9_EEyEEvT1_mT4_T2_T3_,"axG",@progbits,_ZN7rocprim6detail18single_scan_kernelILb1ENS0_19wrapped_scan_configINS_14default_configEyEEN6hipcub22TransformInputIteratorIyNS5_6CastOpIyEEPylEES9_NS5_3MinENS_12future_valueIyS9_EEyEEvT1_mT4_T2_T3_,comdat
.Lfunc_end160:
	.size	_ZN7rocprim6detail18single_scan_kernelILb1ENS0_19wrapped_scan_configINS_14default_configEyEEN6hipcub22TransformInputIteratorIyNS5_6CastOpIyEEPylEES9_NS5_3MinENS_12future_valueIyS9_EEyEEvT1_mT4_T2_T3_, .Lfunc_end160-_ZN7rocprim6detail18single_scan_kernelILb1ENS0_19wrapped_scan_configINS_14default_configEyEEN6hipcub22TransformInputIteratorIyNS5_6CastOpIyEEPylEES9_NS5_3MinENS_12future_valueIyS9_EEyEEvT1_mT4_T2_T3_
                                        ; -- End function
	.set _ZN7rocprim6detail18single_scan_kernelILb1ENS0_19wrapped_scan_configINS_14default_configEyEEN6hipcub22TransformInputIteratorIyNS5_6CastOpIyEEPylEES9_NS5_3MinENS_12future_valueIyS9_EEyEEvT1_mT4_T2_T3_.num_vgpr, 36
	.set _ZN7rocprim6detail18single_scan_kernelILb1ENS0_19wrapped_scan_configINS_14default_configEyEEN6hipcub22TransformInputIteratorIyNS5_6CastOpIyEEPylEES9_NS5_3MinENS_12future_valueIyS9_EEyEEvT1_mT4_T2_T3_.num_agpr, 0
	.set _ZN7rocprim6detail18single_scan_kernelILb1ENS0_19wrapped_scan_configINS_14default_configEyEEN6hipcub22TransformInputIteratorIyNS5_6CastOpIyEEPylEES9_NS5_3MinENS_12future_valueIyS9_EEyEEvT1_mT4_T2_T3_.numbered_sgpr, 40
	.set _ZN7rocprim6detail18single_scan_kernelILb1ENS0_19wrapped_scan_configINS_14default_configEyEEN6hipcub22TransformInputIteratorIyNS5_6CastOpIyEEPylEES9_NS5_3MinENS_12future_valueIyS9_EEyEEvT1_mT4_T2_T3_.num_named_barrier, 0
	.set _ZN7rocprim6detail18single_scan_kernelILb1ENS0_19wrapped_scan_configINS_14default_configEyEEN6hipcub22TransformInputIteratorIyNS5_6CastOpIyEEPylEES9_NS5_3MinENS_12future_valueIyS9_EEyEEvT1_mT4_T2_T3_.private_seg_size, 0
	.set _ZN7rocprim6detail18single_scan_kernelILb1ENS0_19wrapped_scan_configINS_14default_configEyEEN6hipcub22TransformInputIteratorIyNS5_6CastOpIyEEPylEES9_NS5_3MinENS_12future_valueIyS9_EEyEEvT1_mT4_T2_T3_.uses_vcc, 1
	.set _ZN7rocprim6detail18single_scan_kernelILb1ENS0_19wrapped_scan_configINS_14default_configEyEEN6hipcub22TransformInputIteratorIyNS5_6CastOpIyEEPylEES9_NS5_3MinENS_12future_valueIyS9_EEyEEvT1_mT4_T2_T3_.uses_flat_scratch, 0
	.set _ZN7rocprim6detail18single_scan_kernelILb1ENS0_19wrapped_scan_configINS_14default_configEyEEN6hipcub22TransformInputIteratorIyNS5_6CastOpIyEEPylEES9_NS5_3MinENS_12future_valueIyS9_EEyEEvT1_mT4_T2_T3_.has_dyn_sized_stack, 0
	.set _ZN7rocprim6detail18single_scan_kernelILb1ENS0_19wrapped_scan_configINS_14default_configEyEEN6hipcub22TransformInputIteratorIyNS5_6CastOpIyEEPylEES9_NS5_3MinENS_12future_valueIyS9_EEyEEvT1_mT4_T2_T3_.has_recursion, 0
	.set _ZN7rocprim6detail18single_scan_kernelILb1ENS0_19wrapped_scan_configINS_14default_configEyEEN6hipcub22TransformInputIteratorIyNS5_6CastOpIyEEPylEES9_NS5_3MinENS_12future_valueIyS9_EEyEEvT1_mT4_T2_T3_.has_indirect_call, 0
	.section	.AMDGPU.csdata,"",@progbits
; Kernel info:
; codeLenInByte = 2328
; TotalNumSgprs: 44
; NumVgprs: 36
; ScratchSize: 0
; MemoryBound: 0
; FloatMode: 240
; IeeeMode: 1
; LDSByteSize: 7168 bytes/workgroup (compile time only)
; SGPRBlocks: 12
; VGPRBlocks: 16
; NumSGPRsForWavesPerEU: 102
; NumVGPRsForWavesPerEU: 65
; Occupancy: 3
; WaveLimiterHint : 0
; COMPUTE_PGM_RSRC2:SCRATCH_EN: 0
; COMPUTE_PGM_RSRC2:USER_SGPR: 6
; COMPUTE_PGM_RSRC2:TRAP_HANDLER: 0
; COMPUTE_PGM_RSRC2:TGID_X_EN: 1
; COMPUTE_PGM_RSRC2:TGID_Y_EN: 0
; COMPUTE_PGM_RSRC2:TGID_Z_EN: 0
; COMPUTE_PGM_RSRC2:TIDIG_COMP_CNT: 0
	.section	.text._ZL18fill_initial_valueIyEvPT_S0_,"axG",@progbits,_ZL18fill_initial_valueIyEvPT_S0_,comdat
	.globl	_ZL18fill_initial_valueIyEvPT_S0_ ; -- Begin function _ZL18fill_initial_valueIyEvPT_S0_
	.p2align	8
	.type	_ZL18fill_initial_valueIyEvPT_S0_,@function
_ZL18fill_initial_valueIyEvPT_S0_:      ; @_ZL18fill_initial_valueIyEvPT_S0_
; %bb.0:
	s_load_dwordx4 s[0:3], s[4:5], 0x0
	v_mov_b32_e32 v2, 0
	s_waitcnt lgkmcnt(0)
	v_mov_b32_e32 v0, s2
	v_mov_b32_e32 v1, s3
	global_store_dwordx2 v2, v[0:1], s[0:1]
	s_endpgm
	.section	.rodata,"a",@progbits
	.p2align	6, 0x0
	.amdhsa_kernel _ZL18fill_initial_valueIyEvPT_S0_
		.amdhsa_group_segment_fixed_size 0
		.amdhsa_private_segment_fixed_size 0
		.amdhsa_kernarg_size 16
		.amdhsa_user_sgpr_count 6
		.amdhsa_user_sgpr_private_segment_buffer 1
		.amdhsa_user_sgpr_dispatch_ptr 0
		.amdhsa_user_sgpr_queue_ptr 0
		.amdhsa_user_sgpr_kernarg_segment_ptr 1
		.amdhsa_user_sgpr_dispatch_id 0
		.amdhsa_user_sgpr_flat_scratch_init 0
		.amdhsa_user_sgpr_private_segment_size 0
		.amdhsa_uses_dynamic_stack 0
		.amdhsa_system_sgpr_private_segment_wavefront_offset 0
		.amdhsa_system_sgpr_workgroup_id_x 1
		.amdhsa_system_sgpr_workgroup_id_y 0
		.amdhsa_system_sgpr_workgroup_id_z 0
		.amdhsa_system_sgpr_workgroup_info 0
		.amdhsa_system_vgpr_workitem_id 0
		.amdhsa_next_free_vgpr 3
		.amdhsa_next_free_sgpr 6
		.amdhsa_reserve_vcc 0
		.amdhsa_reserve_flat_scratch 0
		.amdhsa_float_round_mode_32 0
		.amdhsa_float_round_mode_16_64 0
		.amdhsa_float_denorm_mode_32 3
		.amdhsa_float_denorm_mode_16_64 3
		.amdhsa_dx10_clamp 1
		.amdhsa_ieee_mode 1
		.amdhsa_fp16_overflow 0
		.amdhsa_exception_fp_ieee_invalid_op 0
		.amdhsa_exception_fp_denorm_src 0
		.amdhsa_exception_fp_ieee_div_zero 0
		.amdhsa_exception_fp_ieee_overflow 0
		.amdhsa_exception_fp_ieee_underflow 0
		.amdhsa_exception_fp_ieee_inexact 0
		.amdhsa_exception_int_div_zero 0
	.end_amdhsa_kernel
	.section	.text._ZL18fill_initial_valueIyEvPT_S0_,"axG",@progbits,_ZL18fill_initial_valueIyEvPT_S0_,comdat
.Lfunc_end161:
	.size	_ZL18fill_initial_valueIyEvPT_S0_, .Lfunc_end161-_ZL18fill_initial_valueIyEvPT_S0_
                                        ; -- End function
	.set _ZL18fill_initial_valueIyEvPT_S0_.num_vgpr, 3
	.set _ZL18fill_initial_valueIyEvPT_S0_.num_agpr, 0
	.set _ZL18fill_initial_valueIyEvPT_S0_.numbered_sgpr, 6
	.set _ZL18fill_initial_valueIyEvPT_S0_.num_named_barrier, 0
	.set _ZL18fill_initial_valueIyEvPT_S0_.private_seg_size, 0
	.set _ZL18fill_initial_valueIyEvPT_S0_.uses_vcc, 0
	.set _ZL18fill_initial_valueIyEvPT_S0_.uses_flat_scratch, 0
	.set _ZL18fill_initial_valueIyEvPT_S0_.has_dyn_sized_stack, 0
	.set _ZL18fill_initial_valueIyEvPT_S0_.has_recursion, 0
	.set _ZL18fill_initial_valueIyEvPT_S0_.has_indirect_call, 0
	.section	.AMDGPU.csdata,"",@progbits
; Kernel info:
; codeLenInByte = 36
; TotalNumSgprs: 10
; NumVgprs: 3
; ScratchSize: 0
; MemoryBound: 0
; FloatMode: 240
; IeeeMode: 1
; LDSByteSize: 0 bytes/workgroup (compile time only)
; SGPRBlocks: 1
; VGPRBlocks: 0
; NumSGPRsForWavesPerEU: 10
; NumVGPRsForWavesPerEU: 3
; Occupancy: 10
; WaveLimiterHint : 0
; COMPUTE_PGM_RSRC2:SCRATCH_EN: 0
; COMPUTE_PGM_RSRC2:USER_SGPR: 6
; COMPUTE_PGM_RSRC2:TRAP_HANDLER: 0
; COMPUTE_PGM_RSRC2:TGID_X_EN: 1
; COMPUTE_PGM_RSRC2:TGID_Y_EN: 0
; COMPUTE_PGM_RSRC2:TGID_Z_EN: 0
; COMPUTE_PGM_RSRC2:TIDIG_COMP_CNT: 0
	.section	.AMDGPU.gpr_maximums,"",@progbits
	.set amdgpu.max_num_vgpr, 0
	.set amdgpu.max_num_agpr, 0
	.set amdgpu.max_num_sgpr, 0
	.section	.AMDGPU.csdata,"",@progbits
	.type	__hip_cuid_290107d1f4156ec0,@object ; @__hip_cuid_290107d1f4156ec0
	.section	.bss,"aw",@nobits
	.globl	__hip_cuid_290107d1f4156ec0
__hip_cuid_290107d1f4156ec0:
	.byte	0                               ; 0x0
	.size	__hip_cuid_290107d1f4156ec0, 1

	.ident	"AMD clang version 22.0.0git (https://github.com/RadeonOpenCompute/llvm-project roc-7.2.4 26084 f58b06dce1f9c15707c5f808fd002e18c2accf7e)"
	.section	".note.GNU-stack","",@progbits
	.addrsig
	.addrsig_sym __hip_cuid_290107d1f4156ec0
	.amdgpu_metadata
---
amdhsa.kernels:
  - .args:
      - .address_space:  global
        .offset:         0
        .size:           8
        .value_kind:     global_buffer
      - .offset:         8
        .size:           4
        .value_kind:     by_value
      - .offset:         12
        .size:           4
        .value_kind:     by_value
      - .address_space:  global
        .offset:         16
        .size:           8
        .value_kind:     global_buffer
      - .offset:         24
        .size:           4
        .value_kind:     hidden_block_count_x
      - .offset:         28
        .size:           4
        .value_kind:     hidden_block_count_y
      - .offset:         32
        .size:           4
        .value_kind:     hidden_block_count_z
      - .offset:         36
        .size:           2
        .value_kind:     hidden_group_size_x
      - .offset:         38
        .size:           2
        .value_kind:     hidden_group_size_y
      - .offset:         40
        .size:           2
        .value_kind:     hidden_group_size_z
      - .offset:         42
        .size:           2
        .value_kind:     hidden_remainder_x
      - .offset:         44
        .size:           2
        .value_kind:     hidden_remainder_y
      - .offset:         46
        .size:           2
        .value_kind:     hidden_remainder_z
      - .offset:         64
        .size:           8
        .value_kind:     hidden_global_offset_x
      - .offset:         72
        .size:           8
        .value_kind:     hidden_global_offset_y
      - .offset:         80
        .size:           8
        .value_kind:     hidden_global_offset_z
      - .offset:         88
        .size:           2
        .value_kind:     hidden_grid_dims
    .group_segment_fixed_size: 0
    .kernarg_segment_align: 8
    .kernarg_segment_size: 280
    .language:       OpenCL C
    .language_version:
      - 2
      - 0
    .max_flat_workgroup_size: 256
    .name:           _ZN7rocprim6detail31init_lookback_scan_state_kernelINS0_19lookback_scan_stateIiLb1ELb1EEEEEvT_jjPNS4_10value_typeE
    .private_segment_fixed_size: 0
    .sgpr_count:     16
    .sgpr_spill_count: 0
    .symbol:         _ZN7rocprim6detail31init_lookback_scan_state_kernelINS0_19lookback_scan_stateIiLb1ELb1EEEEEvT_jjPNS4_10value_typeE.kd
    .uniform_work_group_size: 1
    .uses_dynamic_stack: false
    .vgpr_count:     6
    .vgpr_spill_count: 0
    .wavefront_size: 64
  - .args:
      - .address_space:  global
        .offset:         0
        .size:           8
        .value_kind:     global_buffer
      - .offset:         8
        .size:           4
        .value_kind:     by_value
      - .offset:         12
        .size:           4
        .value_kind:     by_value
      - .address_space:  global
        .offset:         16
        .size:           8
        .value_kind:     global_buffer
      - .offset:         24
        .size:           4
        .value_kind:     hidden_block_count_x
      - .offset:         28
        .size:           4
        .value_kind:     hidden_block_count_y
      - .offset:         32
        .size:           4
        .value_kind:     hidden_block_count_z
      - .offset:         36
        .size:           2
        .value_kind:     hidden_group_size_x
      - .offset:         38
        .size:           2
        .value_kind:     hidden_group_size_y
      - .offset:         40
        .size:           2
        .value_kind:     hidden_group_size_z
      - .offset:         42
        .size:           2
        .value_kind:     hidden_remainder_x
      - .offset:         44
        .size:           2
        .value_kind:     hidden_remainder_y
      - .offset:         46
        .size:           2
        .value_kind:     hidden_remainder_z
      - .offset:         64
        .size:           8
        .value_kind:     hidden_global_offset_x
      - .offset:         72
        .size:           8
        .value_kind:     hidden_global_offset_y
      - .offset:         80
        .size:           8
        .value_kind:     hidden_global_offset_z
      - .offset:         88
        .size:           2
        .value_kind:     hidden_grid_dims
    .group_segment_fixed_size: 0
    .kernarg_segment_align: 8
    .kernarg_segment_size: 280
    .language:       OpenCL C
    .language_version:
      - 2
      - 0
    .max_flat_workgroup_size: 256
    .name:           _ZN7rocprim6detail31init_lookback_scan_state_kernelINS0_19lookback_scan_stateIiLb0ELb1EEEEEvT_jjPNS4_10value_typeE
    .private_segment_fixed_size: 0
    .sgpr_count:     14
    .sgpr_spill_count: 0
    .symbol:         _ZN7rocprim6detail31init_lookback_scan_state_kernelINS0_19lookback_scan_stateIiLb0ELb1EEEEEvT_jjPNS4_10value_typeE.kd
    .uniform_work_group_size: 1
    .uses_dynamic_stack: false
    .vgpr_count:     6
    .vgpr_spill_count: 0
    .wavefront_size: 64
  - .args:
      - .offset:         0
        .size:           16
        .value_kind:     by_value
      - .address_space:  global
        .offset:         16
        .size:           8
        .value_kind:     global_buffer
      - .offset:         24
        .size:           8
        .value_kind:     by_value
      - .offset:         32
        .size:           4
        .value_kind:     by_value
      - .offset:         36
        .size:           1
        .value_kind:     by_value
      - .address_space:  global
        .offset:         40
        .size:           8
        .value_kind:     global_buffer
      - .offset:         48
        .size:           4
        .value_kind:     by_value
      - .address_space:  global
        .offset:         56
        .size:           8
        .value_kind:     global_buffer
      - .address_space:  global
        .offset:         64
        .size:           8
        .value_kind:     global_buffer
      - .offset:         72
        .size:           1
        .value_kind:     by_value
      - .offset:         73
        .size:           1
        .value_kind:     by_value
    .group_segment_fixed_size: 0
    .kernarg_segment_align: 8
    .kernarg_segment_size: 76
    .language:       OpenCL C
    .language_version:
      - 2
      - 0
    .max_flat_workgroup_size: 256
    .name:           _ZN7rocprim6detail20lookback_scan_kernelILNS0_25lookback_scan_determinismE0ELb0ENS0_19wrapped_scan_configINS_14default_configEiEEN6hipcub22TransformInputIteratorIiNS6_6CastOpIiEEPilEEPlNS6_3SumEiiNS0_19lookback_scan_stateIiLb1ELb1EEEEEvT2_T3_mT5_T4_T7_jPT6_SM_bb
    .private_segment_fixed_size: 0
    .sgpr_count:     4
    .sgpr_spill_count: 0
    .symbol:         _ZN7rocprim6detail20lookback_scan_kernelILNS0_25lookback_scan_determinismE0ELb0ENS0_19wrapped_scan_configINS_14default_configEiEEN6hipcub22TransformInputIteratorIiNS6_6CastOpIiEEPilEEPlNS6_3SumEiiNS0_19lookback_scan_stateIiLb1ELb1EEEEEvT2_T3_mT5_T4_T7_jPT6_SM_bb.kd
    .uniform_work_group_size: 1
    .uses_dynamic_stack: false
    .vgpr_count:     0
    .vgpr_spill_count: 0
    .wavefront_size: 64
  - .args:
      - .offset:         0
        .size:           16
        .value_kind:     by_value
      - .address_space:  global
        .offset:         16
        .size:           8
        .value_kind:     global_buffer
      - .offset:         24
        .size:           8
        .value_kind:     by_value
      - .offset:         32
        .size:           4
        .value_kind:     by_value
      - .offset:         36
        .size:           1
        .value_kind:     by_value
      - .address_space:  global
        .offset:         40
        .size:           8
        .value_kind:     global_buffer
      - .offset:         48
        .size:           4
        .value_kind:     by_value
      - .address_space:  global
        .offset:         56
        .size:           8
        .value_kind:     global_buffer
      - .address_space:  global
        .offset:         64
        .size:           8
        .value_kind:     global_buffer
      - .offset:         72
        .size:           1
        .value_kind:     by_value
      - .offset:         73
        .size:           1
        .value_kind:     by_value
    .group_segment_fixed_size: 15360
    .kernarg_segment_align: 8
    .kernarg_segment_size: 76
    .language:       OpenCL C
    .language_version:
      - 2
      - 0
    .max_flat_workgroup_size: 256
    .name:           _ZN7rocprim6detail20lookback_scan_kernelILNS0_25lookback_scan_determinismE0ELb0ENS0_19wrapped_scan_configINS_14default_configEiEEN6hipcub22TransformInputIteratorIiNS6_6CastOpIiEEPilEEPlNS6_3SumEiiNS0_19lookback_scan_stateIiLb0ELb1EEEEEvT2_T3_mT5_T4_T7_jPT6_SM_bb
    .private_segment_fixed_size: 0
    .sgpr_count:     35
    .sgpr_spill_count: 0
    .symbol:         _ZN7rocprim6detail20lookback_scan_kernelILNS0_25lookback_scan_determinismE0ELb0ENS0_19wrapped_scan_configINS_14default_configEiEEN6hipcub22TransformInputIteratorIiNS6_6CastOpIiEEPilEEPlNS6_3SumEiiNS0_19lookback_scan_stateIiLb0ELb1EEEEEvT2_T3_mT5_T4_T7_jPT6_SM_bb.kd
    .uniform_work_group_size: 1
    .uses_dynamic_stack: false
    .vgpr_count:     51
    .vgpr_spill_count: 0
    .wavefront_size: 64
  - .args:
      - .address_space:  global
        .offset:         0
        .size:           8
        .value_kind:     global_buffer
      - .offset:         8
        .size:           8
        .value_kind:     by_value
      - .address_space:  global
        .offset:         16
        .size:           8
        .value_kind:     global_buffer
      - .offset:         24
        .size:           1
        .value_kind:     by_value
      - .offset:         32
        .size:           4
        .value_kind:     hidden_block_count_x
      - .offset:         36
        .size:           4
        .value_kind:     hidden_block_count_y
      - .offset:         40
        .size:           4
        .value_kind:     hidden_block_count_z
      - .offset:         44
        .size:           2
        .value_kind:     hidden_group_size_x
      - .offset:         46
        .size:           2
        .value_kind:     hidden_group_size_y
      - .offset:         48
        .size:           2
        .value_kind:     hidden_group_size_z
      - .offset:         50
        .size:           2
        .value_kind:     hidden_remainder_x
      - .offset:         52
        .size:           2
        .value_kind:     hidden_remainder_y
      - .offset:         54
        .size:           2
        .value_kind:     hidden_remainder_z
      - .offset:         72
        .size:           8
        .value_kind:     hidden_global_offset_x
      - .offset:         80
        .size:           8
        .value_kind:     hidden_global_offset_y
      - .offset:         88
        .size:           8
        .value_kind:     hidden_global_offset_z
      - .offset:         96
        .size:           2
        .value_kind:     hidden_grid_dims
    .group_segment_fixed_size: 0
    .kernarg_segment_align: 8
    .kernarg_segment_size: 288
    .language:       OpenCL C
    .language_version:
      - 2
      - 0
    .max_flat_workgroup_size: 1024
    .name:           _ZN7rocprim6detail16transform_kernelINS0_24wrapped_transform_configINS_14default_configEiEEiPiS5_NS_8identityIiEEEEvT1_mT2_T3_
    .private_segment_fixed_size: 0
    .sgpr_count:     16
    .sgpr_spill_count: 0
    .symbol:         _ZN7rocprim6detail16transform_kernelINS0_24wrapped_transform_configINS_14default_configEiEEiPiS5_NS_8identityIiEEEEvT1_mT2_T3_.kd
    .uniform_work_group_size: 1
    .uses_dynamic_stack: false
    .vgpr_count:     8
    .vgpr_spill_count: 0
    .wavefront_size: 64
  - .args:
      - .offset:         0
        .size:           16
        .value_kind:     by_value
      - .offset:         16
        .size:           8
        .value_kind:     by_value
      - .offset:         24
        .size:           4
        .value_kind:     by_value
      - .address_space:  global
        .offset:         32
        .size:           8
        .value_kind:     global_buffer
      - .offset:         40
        .size:           1
        .value_kind:     by_value
    .group_segment_fixed_size: 15360
    .kernarg_segment_align: 8
    .kernarg_segment_size: 44
    .language:       OpenCL C
    .language_version:
      - 2
      - 0
    .max_flat_workgroup_size: 256
    .name:           _ZN7rocprim6detail18single_scan_kernelILb0ENS0_19wrapped_scan_configINS_14default_configEiEEN6hipcub22TransformInputIteratorIiNS5_6CastOpIiEEPilEEPlNS5_3SumEiiEEvT1_mT4_T2_T3_
    .private_segment_fixed_size: 0
    .sgpr_count:     40
    .sgpr_spill_count: 0
    .symbol:         _ZN7rocprim6detail18single_scan_kernelILb0ENS0_19wrapped_scan_configINS_14default_configEiEEN6hipcub22TransformInputIteratorIiNS5_6CastOpIiEEPilEEPlNS5_3SumEiiEEvT1_mT4_T2_T3_.kd
    .uniform_work_group_size: 1
    .uses_dynamic_stack: false
    .vgpr_count:     40
    .vgpr_spill_count: 0
    .wavefront_size: 64
  - .args:
      - .address_space:  global
        .offset:         0
        .size:           8
        .value_kind:     global_buffer
      - .offset:         8
        .size:           4
        .value_kind:     by_value
      - .offset:         12
        .size:           4
        .value_kind:     by_value
      - .address_space:  global
        .offset:         16
        .size:           8
        .value_kind:     global_buffer
      - .offset:         24
        .size:           4
        .value_kind:     hidden_block_count_x
      - .offset:         28
        .size:           4
        .value_kind:     hidden_block_count_y
      - .offset:         32
        .size:           4
        .value_kind:     hidden_block_count_z
      - .offset:         36
        .size:           2
        .value_kind:     hidden_group_size_x
      - .offset:         38
        .size:           2
        .value_kind:     hidden_group_size_y
      - .offset:         40
        .size:           2
        .value_kind:     hidden_group_size_z
      - .offset:         42
        .size:           2
        .value_kind:     hidden_remainder_x
      - .offset:         44
        .size:           2
        .value_kind:     hidden_remainder_y
      - .offset:         46
        .size:           2
        .value_kind:     hidden_remainder_z
      - .offset:         64
        .size:           8
        .value_kind:     hidden_global_offset_x
      - .offset:         72
        .size:           8
        .value_kind:     hidden_global_offset_y
      - .offset:         80
        .size:           8
        .value_kind:     hidden_global_offset_z
      - .offset:         88
        .size:           2
        .value_kind:     hidden_grid_dims
    .group_segment_fixed_size: 0
    .kernarg_segment_align: 8
    .kernarg_segment_size: 280
    .language:       OpenCL C
    .language_version:
      - 2
      - 0
    .max_flat_workgroup_size: 256
    .name:           _ZN7rocprim6detail31init_lookback_scan_state_kernelINS0_19lookback_scan_stateI6__halfLb1ELb1EEEEEvT_jjPNS5_10value_typeE
    .private_segment_fixed_size: 0
    .sgpr_count:     16
    .sgpr_spill_count: 0
    .symbol:         _ZN7rocprim6detail31init_lookback_scan_state_kernelINS0_19lookback_scan_stateI6__halfLb1ELb1EEEEEvT_jjPNS5_10value_typeE.kd
    .uniform_work_group_size: 1
    .uses_dynamic_stack: false
    .vgpr_count:     5
    .vgpr_spill_count: 0
    .wavefront_size: 64
  - .args:
      - .address_space:  global
        .offset:         0
        .size:           8
        .value_kind:     global_buffer
      - .offset:         8
        .size:           4
        .value_kind:     by_value
      - .offset:         12
        .size:           4
        .value_kind:     by_value
      - .address_space:  global
        .offset:         16
        .size:           8
        .value_kind:     global_buffer
      - .offset:         24
        .size:           4
        .value_kind:     hidden_block_count_x
      - .offset:         28
        .size:           4
        .value_kind:     hidden_block_count_y
      - .offset:         32
        .size:           4
        .value_kind:     hidden_block_count_z
      - .offset:         36
        .size:           2
        .value_kind:     hidden_group_size_x
      - .offset:         38
        .size:           2
        .value_kind:     hidden_group_size_y
      - .offset:         40
        .size:           2
        .value_kind:     hidden_group_size_z
      - .offset:         42
        .size:           2
        .value_kind:     hidden_remainder_x
      - .offset:         44
        .size:           2
        .value_kind:     hidden_remainder_y
      - .offset:         46
        .size:           2
        .value_kind:     hidden_remainder_z
      - .offset:         64
        .size:           8
        .value_kind:     hidden_global_offset_x
      - .offset:         72
        .size:           8
        .value_kind:     hidden_global_offset_y
      - .offset:         80
        .size:           8
        .value_kind:     hidden_global_offset_z
      - .offset:         88
        .size:           2
        .value_kind:     hidden_grid_dims
    .group_segment_fixed_size: 0
    .kernarg_segment_align: 8
    .kernarg_segment_size: 280
    .language:       OpenCL C
    .language_version:
      - 2
      - 0
    .max_flat_workgroup_size: 256
    .name:           _ZN7rocprim6detail31init_lookback_scan_state_kernelINS0_19lookback_scan_stateI6__halfLb0ELb1EEEEEvT_jjPNS5_10value_typeE
    .private_segment_fixed_size: 0
    .sgpr_count:     14
    .sgpr_spill_count: 0
    .symbol:         _ZN7rocprim6detail31init_lookback_scan_state_kernelINS0_19lookback_scan_stateI6__halfLb0ELb1EEEEEvT_jjPNS5_10value_typeE.kd
    .uniform_work_group_size: 1
    .uses_dynamic_stack: false
    .vgpr_count:     5
    .vgpr_spill_count: 0
    .wavefront_size: 64
  - .args:
      - .address_space:  global
        .offset:         0
        .size:           8
        .value_kind:     global_buffer
      - .address_space:  global
        .offset:         8
        .size:           8
        .value_kind:     global_buffer
      - .offset:         16
        .size:           8
        .value_kind:     by_value
      - .offset:         24
        .size:           2
        .value_kind:     by_value
      - .offset:         26
        .size:           1
        .value_kind:     by_value
      - .address_space:  global
        .offset:         32
        .size:           8
        .value_kind:     global_buffer
      - .offset:         40
        .size:           4
        .value_kind:     by_value
      - .address_space:  global
        .offset:         48
        .size:           8
        .value_kind:     global_buffer
      - .address_space:  global
        .offset:         56
        .size:           8
        .value_kind:     global_buffer
      - .offset:         64
        .size:           1
        .value_kind:     by_value
      - .offset:         65
        .size:           1
        .value_kind:     by_value
    .group_segment_fixed_size: 0
    .kernarg_segment_align: 8
    .kernarg_segment_size: 68
    .language:       OpenCL C
    .language_version:
      - 2
      - 0
    .max_flat_workgroup_size: 256
    .name:           _ZN7rocprim6detail20lookback_scan_kernelILNS0_25lookback_scan_determinismE0ELb0ENS0_19wrapped_scan_configINS_14default_configE6__halfEEPS5_S7_N6hipcub3MaxES5_S5_NS0_19lookback_scan_stateIS5_Lb1ELb1EEEEEvT2_T3_mT5_T4_T7_jPT6_SI_bb
    .private_segment_fixed_size: 0
    .sgpr_count:     4
    .sgpr_spill_count: 0
    .symbol:         _ZN7rocprim6detail20lookback_scan_kernelILNS0_25lookback_scan_determinismE0ELb0ENS0_19wrapped_scan_configINS_14default_configE6__halfEEPS5_S7_N6hipcub3MaxES5_S5_NS0_19lookback_scan_stateIS5_Lb1ELb1EEEEEvT2_T3_mT5_T4_T7_jPT6_SI_bb.kd
    .uniform_work_group_size: 1
    .uses_dynamic_stack: false
    .vgpr_count:     0
    .vgpr_spill_count: 0
    .wavefront_size: 64
  - .args:
      - .address_space:  global
        .offset:         0
        .size:           8
        .value_kind:     global_buffer
      - .address_space:  global
        .offset:         8
        .size:           8
        .value_kind:     global_buffer
      - .offset:         16
        .size:           8
        .value_kind:     by_value
      - .offset:         24
        .size:           2
        .value_kind:     by_value
      - .offset:         26
        .size:           1
        .value_kind:     by_value
      - .address_space:  global
        .offset:         32
        .size:           8
        .value_kind:     global_buffer
      - .offset:         40
        .size:           4
        .value_kind:     by_value
      - .address_space:  global
        .offset:         48
        .size:           8
        .value_kind:     global_buffer
      - .address_space:  global
        .offset:         56
        .size:           8
        .value_kind:     global_buffer
      - .offset:         64
        .size:           1
        .value_kind:     by_value
      - .offset:         65
        .size:           1
        .value_kind:     by_value
    .group_segment_fixed_size: 12288
    .kernarg_segment_align: 8
    .kernarg_segment_size: 68
    .language:       OpenCL C
    .language_version:
      - 2
      - 0
    .max_flat_workgroup_size: 256
    .name:           _ZN7rocprim6detail20lookback_scan_kernelILNS0_25lookback_scan_determinismE0ELb0ENS0_19wrapped_scan_configINS_14default_configE6__halfEEPS5_S7_N6hipcub3MaxES5_S5_NS0_19lookback_scan_stateIS5_Lb0ELb1EEEEEvT2_T3_mT5_T4_T7_jPT6_SI_bb
    .private_segment_fixed_size: 0
    .sgpr_count:     30
    .sgpr_spill_count: 0
    .symbol:         _ZN7rocprim6detail20lookback_scan_kernelILNS0_25lookback_scan_determinismE0ELb0ENS0_19wrapped_scan_configINS_14default_configE6__halfEEPS5_S7_N6hipcub3MaxES5_S5_NS0_19lookback_scan_stateIS5_Lb0ELb1EEEEEvT2_T3_mT5_T4_T7_jPT6_SI_bb.kd
    .uniform_work_group_size: 1
    .uses_dynamic_stack: false
    .vgpr_count:     57
    .vgpr_spill_count: 0
    .wavefront_size: 64
  - .args:
      - .address_space:  global
        .offset:         0
        .size:           8
        .value_kind:     global_buffer
      - .offset:         8
        .size:           8
        .value_kind:     by_value
      - .address_space:  global
        .offset:         16
        .size:           8
        .value_kind:     global_buffer
      - .offset:         24
        .size:           1
        .value_kind:     by_value
      - .offset:         32
        .size:           4
        .value_kind:     hidden_block_count_x
      - .offset:         36
        .size:           4
        .value_kind:     hidden_block_count_y
      - .offset:         40
        .size:           4
        .value_kind:     hidden_block_count_z
      - .offset:         44
        .size:           2
        .value_kind:     hidden_group_size_x
      - .offset:         46
        .size:           2
        .value_kind:     hidden_group_size_y
      - .offset:         48
        .size:           2
        .value_kind:     hidden_group_size_z
      - .offset:         50
        .size:           2
        .value_kind:     hidden_remainder_x
      - .offset:         52
        .size:           2
        .value_kind:     hidden_remainder_y
      - .offset:         54
        .size:           2
        .value_kind:     hidden_remainder_z
      - .offset:         72
        .size:           8
        .value_kind:     hidden_global_offset_x
      - .offset:         80
        .size:           8
        .value_kind:     hidden_global_offset_y
      - .offset:         88
        .size:           8
        .value_kind:     hidden_global_offset_z
      - .offset:         96
        .size:           2
        .value_kind:     hidden_grid_dims
    .group_segment_fixed_size: 0
    .kernarg_segment_align: 8
    .kernarg_segment_size: 288
    .language:       OpenCL C
    .language_version:
      - 2
      - 0
    .max_flat_workgroup_size: 512
    .name:           _ZN7rocprim6detail16transform_kernelINS0_24wrapped_transform_configINS_14default_configE6__halfEES4_PS4_S6_NS_8identityIS4_EEEEvT1_mT2_T3_
    .private_segment_fixed_size: 0
    .sgpr_count:     16
    .sgpr_spill_count: 0
    .symbol:         _ZN7rocprim6detail16transform_kernelINS0_24wrapped_transform_configINS_14default_configE6__halfEES4_PS4_S6_NS_8identityIS4_EEEEvT1_mT2_T3_.kd
    .uniform_work_group_size: 1
    .uses_dynamic_stack: false
    .vgpr_count:     8
    .vgpr_spill_count: 0
    .wavefront_size: 64
  - .args:
      - .address_space:  global
        .offset:         0
        .size:           8
        .value_kind:     global_buffer
      - .offset:         8
        .size:           8
        .value_kind:     by_value
      - .offset:         16
        .size:           2
        .value_kind:     by_value
      - .address_space:  global
        .offset:         24
        .size:           8
        .value_kind:     global_buffer
      - .offset:         32
        .size:           1
        .value_kind:     by_value
    .group_segment_fixed_size: 12288
    .kernarg_segment_align: 8
    .kernarg_segment_size: 36
    .language:       OpenCL C
    .language_version:
      - 2
      - 0
    .max_flat_workgroup_size: 256
    .name:           _ZN7rocprim6detail18single_scan_kernelILb0ENS0_19wrapped_scan_configINS_14default_configE6__halfEEPS4_S6_N6hipcub3MaxES4_S4_EEvT1_mT4_T2_T3_
    .private_segment_fixed_size: 0
    .sgpr_count:     60
    .sgpr_spill_count: 0
    .symbol:         _ZN7rocprim6detail18single_scan_kernelILb0ENS0_19wrapped_scan_configINS_14default_configE6__halfEEPS4_S6_N6hipcub3MaxES4_S4_EEvT1_mT4_T2_T3_.kd
    .uniform_work_group_size: 1
    .uses_dynamic_stack: false
    .vgpr_count:     32
    .vgpr_spill_count: 0
    .wavefront_size: 64
  - .args:
      - .address_space:  global
        .offset:         0
        .size:           8
        .value_kind:     global_buffer
      - .offset:         8
        .size:           4
        .value_kind:     by_value
      - .offset:         12
        .size:           4
        .value_kind:     by_value
      - .address_space:  global
        .offset:         16
        .size:           8
        .value_kind:     global_buffer
      - .offset:         24
        .size:           4
        .value_kind:     hidden_block_count_x
      - .offset:         28
        .size:           4
        .value_kind:     hidden_block_count_y
      - .offset:         32
        .size:           4
        .value_kind:     hidden_block_count_z
      - .offset:         36
        .size:           2
        .value_kind:     hidden_group_size_x
      - .offset:         38
        .size:           2
        .value_kind:     hidden_group_size_y
      - .offset:         40
        .size:           2
        .value_kind:     hidden_group_size_z
      - .offset:         42
        .size:           2
        .value_kind:     hidden_remainder_x
      - .offset:         44
        .size:           2
        .value_kind:     hidden_remainder_y
      - .offset:         46
        .size:           2
        .value_kind:     hidden_remainder_z
      - .offset:         64
        .size:           8
        .value_kind:     hidden_global_offset_x
      - .offset:         72
        .size:           8
        .value_kind:     hidden_global_offset_y
      - .offset:         80
        .size:           8
        .value_kind:     hidden_global_offset_z
      - .offset:         88
        .size:           2
        .value_kind:     hidden_grid_dims
    .group_segment_fixed_size: 0
    .kernarg_segment_align: 8
    .kernarg_segment_size: 280
    .language:       OpenCL C
    .language_version:
      - 2
      - 0
    .max_flat_workgroup_size: 256
    .name:           _ZN7rocprim6detail31init_lookback_scan_state_kernelINS0_19lookback_scan_stateI12hip_bfloat16Lb1ELb1EEEEEvT_jjPNS5_10value_typeE
    .private_segment_fixed_size: 0
    .sgpr_count:     16
    .sgpr_spill_count: 0
    .symbol:         _ZN7rocprim6detail31init_lookback_scan_state_kernelINS0_19lookback_scan_stateI12hip_bfloat16Lb1ELb1EEEEEvT_jjPNS5_10value_typeE.kd
    .uniform_work_group_size: 1
    .uses_dynamic_stack: false
    .vgpr_count:     5
    .vgpr_spill_count: 0
    .wavefront_size: 64
  - .args:
      - .address_space:  global
        .offset:         0
        .size:           8
        .value_kind:     global_buffer
      - .offset:         8
        .size:           4
        .value_kind:     by_value
      - .offset:         12
        .size:           4
        .value_kind:     by_value
      - .address_space:  global
        .offset:         16
        .size:           8
        .value_kind:     global_buffer
      - .offset:         24
        .size:           4
        .value_kind:     hidden_block_count_x
      - .offset:         28
        .size:           4
        .value_kind:     hidden_block_count_y
      - .offset:         32
        .size:           4
        .value_kind:     hidden_block_count_z
      - .offset:         36
        .size:           2
        .value_kind:     hidden_group_size_x
      - .offset:         38
        .size:           2
        .value_kind:     hidden_group_size_y
      - .offset:         40
        .size:           2
        .value_kind:     hidden_group_size_z
      - .offset:         42
        .size:           2
        .value_kind:     hidden_remainder_x
      - .offset:         44
        .size:           2
        .value_kind:     hidden_remainder_y
      - .offset:         46
        .size:           2
        .value_kind:     hidden_remainder_z
      - .offset:         64
        .size:           8
        .value_kind:     hidden_global_offset_x
      - .offset:         72
        .size:           8
        .value_kind:     hidden_global_offset_y
      - .offset:         80
        .size:           8
        .value_kind:     hidden_global_offset_z
      - .offset:         88
        .size:           2
        .value_kind:     hidden_grid_dims
    .group_segment_fixed_size: 0
    .kernarg_segment_align: 8
    .kernarg_segment_size: 280
    .language:       OpenCL C
    .language_version:
      - 2
      - 0
    .max_flat_workgroup_size: 256
    .name:           _ZN7rocprim6detail31init_lookback_scan_state_kernelINS0_19lookback_scan_stateI12hip_bfloat16Lb0ELb1EEEEEvT_jjPNS5_10value_typeE
    .private_segment_fixed_size: 0
    .sgpr_count:     14
    .sgpr_spill_count: 0
    .symbol:         _ZN7rocprim6detail31init_lookback_scan_state_kernelINS0_19lookback_scan_stateI12hip_bfloat16Lb0ELb1EEEEEvT_jjPNS5_10value_typeE.kd
    .uniform_work_group_size: 1
    .uses_dynamic_stack: false
    .vgpr_count:     5
    .vgpr_spill_count: 0
    .wavefront_size: 64
  - .args:
      - .address_space:  global
        .offset:         0
        .size:           8
        .value_kind:     global_buffer
      - .address_space:  global
        .offset:         8
        .size:           8
        .value_kind:     global_buffer
      - .offset:         16
        .size:           8
        .value_kind:     by_value
      - .offset:         24
        .size:           2
        .value_kind:     by_value
      - .offset:         26
        .size:           1
        .value_kind:     by_value
      - .address_space:  global
        .offset:         32
        .size:           8
        .value_kind:     global_buffer
      - .offset:         40
        .size:           4
        .value_kind:     by_value
      - .address_space:  global
        .offset:         48
        .size:           8
        .value_kind:     global_buffer
      - .address_space:  global
        .offset:         56
        .size:           8
        .value_kind:     global_buffer
      - .offset:         64
        .size:           1
        .value_kind:     by_value
      - .offset:         65
        .size:           1
        .value_kind:     by_value
    .group_segment_fixed_size: 0
    .kernarg_segment_align: 8
    .kernarg_segment_size: 68
    .language:       OpenCL C
    .language_version:
      - 2
      - 0
    .max_flat_workgroup_size: 256
    .name:           _ZN7rocprim6detail20lookback_scan_kernelILNS0_25lookback_scan_determinismE0ELb0ENS0_19wrapped_scan_configINS_14default_configE12hip_bfloat16EEPS5_S7_N6hipcub3MaxES5_S5_NS0_19lookback_scan_stateIS5_Lb1ELb1EEEEEvT2_T3_mT5_T4_T7_jPT6_SI_bb
    .private_segment_fixed_size: 0
    .sgpr_count:     4
    .sgpr_spill_count: 0
    .symbol:         _ZN7rocprim6detail20lookback_scan_kernelILNS0_25lookback_scan_determinismE0ELb0ENS0_19wrapped_scan_configINS_14default_configE12hip_bfloat16EEPS5_S7_N6hipcub3MaxES5_S5_NS0_19lookback_scan_stateIS5_Lb1ELb1EEEEEvT2_T3_mT5_T4_T7_jPT6_SI_bb.kd
    .uniform_work_group_size: 1
    .uses_dynamic_stack: false
    .vgpr_count:     0
    .vgpr_spill_count: 0
    .wavefront_size: 64
  - .args:
      - .address_space:  global
        .offset:         0
        .size:           8
        .value_kind:     global_buffer
      - .address_space:  global
        .offset:         8
        .size:           8
        .value_kind:     global_buffer
      - .offset:         16
        .size:           8
        .value_kind:     by_value
      - .offset:         24
        .size:           2
        .value_kind:     by_value
      - .offset:         26
        .size:           1
        .value_kind:     by_value
      - .address_space:  global
        .offset:         32
        .size:           8
        .value_kind:     global_buffer
      - .offset:         40
        .size:           4
        .value_kind:     by_value
      - .address_space:  global
        .offset:         48
        .size:           8
        .value_kind:     global_buffer
      - .address_space:  global
        .offset:         56
        .size:           8
        .value_kind:     global_buffer
      - .offset:         64
        .size:           1
        .value_kind:     by_value
      - .offset:         65
        .size:           1
        .value_kind:     by_value
    .group_segment_fixed_size: 12288
    .kernarg_segment_align: 8
    .kernarg_segment_size: 68
    .language:       OpenCL C
    .language_version:
      - 2
      - 0
    .max_flat_workgroup_size: 256
    .name:           _ZN7rocprim6detail20lookback_scan_kernelILNS0_25lookback_scan_determinismE0ELb0ENS0_19wrapped_scan_configINS_14default_configE12hip_bfloat16EEPS5_S7_N6hipcub3MaxES5_S5_NS0_19lookback_scan_stateIS5_Lb0ELb1EEEEEvT2_T3_mT5_T4_T7_jPT6_SI_bb
    .private_segment_fixed_size: 0
    .sgpr_count:     30
    .sgpr_spill_count: 0
    .symbol:         _ZN7rocprim6detail20lookback_scan_kernelILNS0_25lookback_scan_determinismE0ELb0ENS0_19wrapped_scan_configINS_14default_configE12hip_bfloat16EEPS5_S7_N6hipcub3MaxES5_S5_NS0_19lookback_scan_stateIS5_Lb0ELb1EEEEEvT2_T3_mT5_T4_T7_jPT6_SI_bb.kd
    .uniform_work_group_size: 1
    .uses_dynamic_stack: false
    .vgpr_count:     84
    .vgpr_spill_count: 0
    .wavefront_size: 64
  - .args:
      - .address_space:  global
        .offset:         0
        .size:           8
        .value_kind:     global_buffer
      - .offset:         8
        .size:           8
        .value_kind:     by_value
      - .address_space:  global
        .offset:         16
        .size:           8
        .value_kind:     global_buffer
      - .offset:         24
        .size:           1
        .value_kind:     by_value
      - .offset:         32
        .size:           4
        .value_kind:     hidden_block_count_x
      - .offset:         36
        .size:           4
        .value_kind:     hidden_block_count_y
      - .offset:         40
        .size:           4
        .value_kind:     hidden_block_count_z
      - .offset:         44
        .size:           2
        .value_kind:     hidden_group_size_x
      - .offset:         46
        .size:           2
        .value_kind:     hidden_group_size_y
      - .offset:         48
        .size:           2
        .value_kind:     hidden_group_size_z
      - .offset:         50
        .size:           2
        .value_kind:     hidden_remainder_x
      - .offset:         52
        .size:           2
        .value_kind:     hidden_remainder_y
      - .offset:         54
        .size:           2
        .value_kind:     hidden_remainder_z
      - .offset:         72
        .size:           8
        .value_kind:     hidden_global_offset_x
      - .offset:         80
        .size:           8
        .value_kind:     hidden_global_offset_y
      - .offset:         88
        .size:           8
        .value_kind:     hidden_global_offset_z
      - .offset:         96
        .size:           2
        .value_kind:     hidden_grid_dims
    .group_segment_fixed_size: 0
    .kernarg_segment_align: 8
    .kernarg_segment_size: 288
    .language:       OpenCL C
    .language_version:
      - 2
      - 0
    .max_flat_workgroup_size: 512
    .name:           _ZN7rocprim6detail16transform_kernelINS0_24wrapped_transform_configINS_14default_configE12hip_bfloat16EES4_PS4_S6_NS_8identityIS4_EEEEvT1_mT2_T3_
    .private_segment_fixed_size: 0
    .sgpr_count:     16
    .sgpr_spill_count: 0
    .symbol:         _ZN7rocprim6detail16transform_kernelINS0_24wrapped_transform_configINS_14default_configE12hip_bfloat16EES4_PS4_S6_NS_8identityIS4_EEEEvT1_mT2_T3_.kd
    .uniform_work_group_size: 1
    .uses_dynamic_stack: false
    .vgpr_count:     8
    .vgpr_spill_count: 0
    .wavefront_size: 64
  - .args:
      - .address_space:  global
        .offset:         0
        .size:           8
        .value_kind:     global_buffer
      - .offset:         8
        .size:           8
        .value_kind:     by_value
      - .offset:         16
        .size:           2
        .value_kind:     by_value
      - .address_space:  global
        .offset:         24
        .size:           8
        .value_kind:     global_buffer
      - .offset:         32
        .size:           1
        .value_kind:     by_value
    .group_segment_fixed_size: 12288
    .kernarg_segment_align: 8
    .kernarg_segment_size: 36
    .language:       OpenCL C
    .language_version:
      - 2
      - 0
    .max_flat_workgroup_size: 256
    .name:           _ZN7rocprim6detail18single_scan_kernelILb0ENS0_19wrapped_scan_configINS_14default_configE12hip_bfloat16EEPS4_S6_N6hipcub3MaxES4_S4_EEvT1_mT4_T2_T3_
    .private_segment_fixed_size: 0
    .sgpr_count:     60
    .sgpr_spill_count: 0
    .symbol:         _ZN7rocprim6detail18single_scan_kernelILb0ENS0_19wrapped_scan_configINS_14default_configE12hip_bfloat16EEPS4_S6_N6hipcub3MaxES4_S4_EEvT1_mT4_T2_T3_.kd
    .uniform_work_group_size: 1
    .uses_dynamic_stack: false
    .vgpr_count:     59
    .vgpr_spill_count: 0
    .wavefront_size: 64
  - .args:
      - .offset:         0
        .size:           16
        .value_kind:     by_value
      - .address_space:  global
        .offset:         16
        .size:           8
        .value_kind:     global_buffer
      - .offset:         24
        .size:           8
        .value_kind:     by_value
      - .offset:         32
        .size:           4
        .value_kind:     by_value
      - .offset:         36
        .size:           1
        .value_kind:     by_value
      - .address_space:  global
        .offset:         40
        .size:           8
        .value_kind:     global_buffer
      - .offset:         48
        .size:           4
        .value_kind:     by_value
      - .address_space:  global
        .offset:         56
        .size:           8
        .value_kind:     global_buffer
      - .address_space:  global
        .offset:         64
        .size:           8
        .value_kind:     global_buffer
      - .offset:         72
        .size:           1
        .value_kind:     by_value
      - .offset:         73
        .size:           1
        .value_kind:     by_value
    .group_segment_fixed_size: 0
    .kernarg_segment_align: 8
    .kernarg_segment_size: 76
    .language:       OpenCL C
    .language_version:
      - 2
      - 0
    .max_flat_workgroup_size: 256
    .name:           _ZN7rocprim6detail20lookback_scan_kernelILNS0_25lookback_scan_determinismE0ELb0ENS0_19wrapped_scan_configINS_14default_configEiEEN6hipcub22TransformInputIteratorIiNS6_6CastOpIiEEPilEEPdNS6_3SumEiiNS0_19lookback_scan_stateIiLb1ELb1EEEEEvT2_T3_mT5_T4_T7_jPT6_SM_bb
    .private_segment_fixed_size: 0
    .sgpr_count:     4
    .sgpr_spill_count: 0
    .symbol:         _ZN7rocprim6detail20lookback_scan_kernelILNS0_25lookback_scan_determinismE0ELb0ENS0_19wrapped_scan_configINS_14default_configEiEEN6hipcub22TransformInputIteratorIiNS6_6CastOpIiEEPilEEPdNS6_3SumEiiNS0_19lookback_scan_stateIiLb1ELb1EEEEEvT2_T3_mT5_T4_T7_jPT6_SM_bb.kd
    .uniform_work_group_size: 1
    .uses_dynamic_stack: false
    .vgpr_count:     0
    .vgpr_spill_count: 0
    .wavefront_size: 64
  - .args:
      - .offset:         0
        .size:           16
        .value_kind:     by_value
      - .address_space:  global
        .offset:         16
        .size:           8
        .value_kind:     global_buffer
      - .offset:         24
        .size:           8
        .value_kind:     by_value
      - .offset:         32
        .size:           4
        .value_kind:     by_value
      - .offset:         36
        .size:           1
        .value_kind:     by_value
      - .address_space:  global
        .offset:         40
        .size:           8
        .value_kind:     global_buffer
      - .offset:         48
        .size:           4
        .value_kind:     by_value
      - .address_space:  global
        .offset:         56
        .size:           8
        .value_kind:     global_buffer
      - .address_space:  global
        .offset:         64
        .size:           8
        .value_kind:     global_buffer
      - .offset:         72
        .size:           1
        .value_kind:     by_value
      - .offset:         73
        .size:           1
        .value_kind:     by_value
    .group_segment_fixed_size: 15360
    .kernarg_segment_align: 8
    .kernarg_segment_size: 76
    .language:       OpenCL C
    .language_version:
      - 2
      - 0
    .max_flat_workgroup_size: 256
    .name:           _ZN7rocprim6detail20lookback_scan_kernelILNS0_25lookback_scan_determinismE0ELb0ENS0_19wrapped_scan_configINS_14default_configEiEEN6hipcub22TransformInputIteratorIiNS6_6CastOpIiEEPilEEPdNS6_3SumEiiNS0_19lookback_scan_stateIiLb0ELb1EEEEEvT2_T3_mT5_T4_T7_jPT6_SM_bb
    .private_segment_fixed_size: 0
    .sgpr_count:     35
    .sgpr_spill_count: 0
    .symbol:         _ZN7rocprim6detail20lookback_scan_kernelILNS0_25lookback_scan_determinismE0ELb0ENS0_19wrapped_scan_configINS_14default_configEiEEN6hipcub22TransformInputIteratorIiNS6_6CastOpIiEEPilEEPdNS6_3SumEiiNS0_19lookback_scan_stateIiLb0ELb1EEEEEvT2_T3_mT5_T4_T7_jPT6_SM_bb.kd
    .uniform_work_group_size: 1
    .uses_dynamic_stack: false
    .vgpr_count:     44
    .vgpr_spill_count: 0
    .wavefront_size: 64
  - .args:
      - .offset:         0
        .size:           16
        .value_kind:     by_value
      - .offset:         16
        .size:           8
        .value_kind:     by_value
      - .offset:         24
        .size:           4
        .value_kind:     by_value
      - .address_space:  global
        .offset:         32
        .size:           8
        .value_kind:     global_buffer
      - .offset:         40
        .size:           1
        .value_kind:     by_value
    .group_segment_fixed_size: 15360
    .kernarg_segment_align: 8
    .kernarg_segment_size: 44
    .language:       OpenCL C
    .language_version:
      - 2
      - 0
    .max_flat_workgroup_size: 256
    .name:           _ZN7rocprim6detail18single_scan_kernelILb0ENS0_19wrapped_scan_configINS_14default_configEiEEN6hipcub22TransformInputIteratorIiNS5_6CastOpIiEEPilEEPdNS5_3SumEiiEEvT1_mT4_T2_T3_
    .private_segment_fixed_size: 0
    .sgpr_count:     40
    .sgpr_spill_count: 0
    .symbol:         _ZN7rocprim6detail18single_scan_kernelILb0ENS0_19wrapped_scan_configINS_14default_configEiEEN6hipcub22TransformInputIteratorIiNS5_6CastOpIiEEPilEEPdNS5_3SumEiiEEvT1_mT4_T2_T3_.kd
    .uniform_work_group_size: 1
    .uses_dynamic_stack: false
    .vgpr_count:     40
    .vgpr_spill_count: 0
    .wavefront_size: 64
  - .args:
      - .address_space:  global
        .offset:         0
        .size:           8
        .value_kind:     global_buffer
      - .offset:         8
        .size:           4
        .value_kind:     by_value
      - .offset:         12
        .size:           4
        .value_kind:     by_value
      - .address_space:  global
        .offset:         16
        .size:           8
        .value_kind:     global_buffer
      - .offset:         24
        .size:           4
        .value_kind:     hidden_block_count_x
      - .offset:         28
        .size:           4
        .value_kind:     hidden_block_count_y
      - .offset:         32
        .size:           4
        .value_kind:     hidden_block_count_z
      - .offset:         36
        .size:           2
        .value_kind:     hidden_group_size_x
      - .offset:         38
        .size:           2
        .value_kind:     hidden_group_size_y
      - .offset:         40
        .size:           2
        .value_kind:     hidden_group_size_z
      - .offset:         42
        .size:           2
        .value_kind:     hidden_remainder_x
      - .offset:         44
        .size:           2
        .value_kind:     hidden_remainder_y
      - .offset:         46
        .size:           2
        .value_kind:     hidden_remainder_z
      - .offset:         64
        .size:           8
        .value_kind:     hidden_global_offset_x
      - .offset:         72
        .size:           8
        .value_kind:     hidden_global_offset_y
      - .offset:         80
        .size:           8
        .value_kind:     hidden_global_offset_z
      - .offset:         88
        .size:           2
        .value_kind:     hidden_grid_dims
    .group_segment_fixed_size: 0
    .kernarg_segment_align: 8
    .kernarg_segment_size: 280
    .language:       OpenCL C
    .language_version:
      - 2
      - 0
    .max_flat_workgroup_size: 256
    .name:           _ZN7rocprim6detail31init_lookback_scan_state_kernelINS0_19lookback_scan_stateIsLb1ELb1EEEEEvT_jjPNS4_10value_typeE
    .private_segment_fixed_size: 0
    .sgpr_count:     16
    .sgpr_spill_count: 0
    .symbol:         _ZN7rocprim6detail31init_lookback_scan_state_kernelINS0_19lookback_scan_stateIsLb1ELb1EEEEEvT_jjPNS4_10value_typeE.kd
    .uniform_work_group_size: 1
    .uses_dynamic_stack: false
    .vgpr_count:     5
    .vgpr_spill_count: 0
    .wavefront_size: 64
  - .args:
      - .address_space:  global
        .offset:         0
        .size:           8
        .value_kind:     global_buffer
      - .offset:         8
        .size:           4
        .value_kind:     by_value
      - .offset:         12
        .size:           4
        .value_kind:     by_value
      - .address_space:  global
        .offset:         16
        .size:           8
        .value_kind:     global_buffer
      - .offset:         24
        .size:           4
        .value_kind:     hidden_block_count_x
      - .offset:         28
        .size:           4
        .value_kind:     hidden_block_count_y
      - .offset:         32
        .size:           4
        .value_kind:     hidden_block_count_z
      - .offset:         36
        .size:           2
        .value_kind:     hidden_group_size_x
      - .offset:         38
        .size:           2
        .value_kind:     hidden_group_size_y
      - .offset:         40
        .size:           2
        .value_kind:     hidden_group_size_z
      - .offset:         42
        .size:           2
        .value_kind:     hidden_remainder_x
      - .offset:         44
        .size:           2
        .value_kind:     hidden_remainder_y
      - .offset:         46
        .size:           2
        .value_kind:     hidden_remainder_z
      - .offset:         64
        .size:           8
        .value_kind:     hidden_global_offset_x
      - .offset:         72
        .size:           8
        .value_kind:     hidden_global_offset_y
      - .offset:         80
        .size:           8
        .value_kind:     hidden_global_offset_z
      - .offset:         88
        .size:           2
        .value_kind:     hidden_grid_dims
    .group_segment_fixed_size: 0
    .kernarg_segment_align: 8
    .kernarg_segment_size: 280
    .language:       OpenCL C
    .language_version:
      - 2
      - 0
    .max_flat_workgroup_size: 256
    .name:           _ZN7rocprim6detail31init_lookback_scan_state_kernelINS0_19lookback_scan_stateIsLb0ELb1EEEEEvT_jjPNS4_10value_typeE
    .private_segment_fixed_size: 0
    .sgpr_count:     14
    .sgpr_spill_count: 0
    .symbol:         _ZN7rocprim6detail31init_lookback_scan_state_kernelINS0_19lookback_scan_stateIsLb0ELb1EEEEEvT_jjPNS4_10value_typeE.kd
    .uniform_work_group_size: 1
    .uses_dynamic_stack: false
    .vgpr_count:     5
    .vgpr_spill_count: 0
    .wavefront_size: 64
  - .args:
      - .offset:         0
        .size:           16
        .value_kind:     by_value
      - .address_space:  global
        .offset:         16
        .size:           8
        .value_kind:     global_buffer
      - .offset:         24
        .size:           8
        .value_kind:     by_value
      - .offset:         32
        .size:           2
        .value_kind:     by_value
      - .offset:         34
        .size:           1
        .value_kind:     by_value
      - .address_space:  global
        .offset:         40
        .size:           8
        .value_kind:     global_buffer
      - .offset:         48
        .size:           4
        .value_kind:     by_value
      - .address_space:  global
        .offset:         56
        .size:           8
        .value_kind:     global_buffer
      - .address_space:  global
        .offset:         64
        .size:           8
        .value_kind:     global_buffer
      - .offset:         72
        .size:           1
        .value_kind:     by_value
      - .offset:         73
        .size:           1
        .value_kind:     by_value
    .group_segment_fixed_size: 0
    .kernarg_segment_align: 8
    .kernarg_segment_size: 76
    .language:       OpenCL C
    .language_version:
      - 2
      - 0
    .max_flat_workgroup_size: 256
    .name:           _ZN7rocprim6detail20lookback_scan_kernelILNS0_25lookback_scan_determinismE0ELb0ENS0_19wrapped_scan_configINS_14default_configEsEEN6hipcub22TransformInputIteratorIsNS6_6CastOpIsEEPslEEPfNS6_3MaxEssNS0_19lookback_scan_stateIsLb1ELb1EEEEEvT2_T3_mT5_T4_T7_jPT6_SM_bb
    .private_segment_fixed_size: 0
    .sgpr_count:     4
    .sgpr_spill_count: 0
    .symbol:         _ZN7rocprim6detail20lookback_scan_kernelILNS0_25lookback_scan_determinismE0ELb0ENS0_19wrapped_scan_configINS_14default_configEsEEN6hipcub22TransformInputIteratorIsNS6_6CastOpIsEEPslEEPfNS6_3MaxEssNS0_19lookback_scan_stateIsLb1ELb1EEEEEvT2_T3_mT5_T4_T7_jPT6_SM_bb.kd
    .uniform_work_group_size: 1
    .uses_dynamic_stack: false
    .vgpr_count:     0
    .vgpr_spill_count: 0
    .wavefront_size: 64
  - .args:
      - .offset:         0
        .size:           16
        .value_kind:     by_value
      - .address_space:  global
        .offset:         16
        .size:           8
        .value_kind:     global_buffer
      - .offset:         24
        .size:           8
        .value_kind:     by_value
      - .offset:         32
        .size:           2
        .value_kind:     by_value
      - .offset:         34
        .size:           1
        .value_kind:     by_value
      - .address_space:  global
        .offset:         40
        .size:           8
        .value_kind:     global_buffer
      - .offset:         48
        .size:           4
        .value_kind:     by_value
      - .address_space:  global
        .offset:         56
        .size:           8
        .value_kind:     global_buffer
      - .address_space:  global
        .offset:         64
        .size:           8
        .value_kind:     global_buffer
      - .offset:         72
        .size:           1
        .value_kind:     by_value
      - .offset:         73
        .size:           1
        .value_kind:     by_value
    .group_segment_fixed_size: 12288
    .kernarg_segment_align: 8
    .kernarg_segment_size: 76
    .language:       OpenCL C
    .language_version:
      - 2
      - 0
    .max_flat_workgroup_size: 256
    .name:           _ZN7rocprim6detail20lookback_scan_kernelILNS0_25lookback_scan_determinismE0ELb0ENS0_19wrapped_scan_configINS_14default_configEsEEN6hipcub22TransformInputIteratorIsNS6_6CastOpIsEEPslEEPfNS6_3MaxEssNS0_19lookback_scan_stateIsLb0ELb1EEEEEvT2_T3_mT5_T4_T7_jPT6_SM_bb
    .private_segment_fixed_size: 0
    .sgpr_count:     30
    .sgpr_spill_count: 0
    .symbol:         _ZN7rocprim6detail20lookback_scan_kernelILNS0_25lookback_scan_determinismE0ELb0ENS0_19wrapped_scan_configINS_14default_configEsEEN6hipcub22TransformInputIteratorIsNS6_6CastOpIsEEPslEEPfNS6_3MaxEssNS0_19lookback_scan_stateIsLb0ELb1EEEEEvT2_T3_mT5_T4_T7_jPT6_SM_bb.kd
    .uniform_work_group_size: 1
    .uses_dynamic_stack: false
    .vgpr_count:     53
    .vgpr_spill_count: 0
    .wavefront_size: 64
  - .args:
      - .address_space:  global
        .offset:         0
        .size:           8
        .value_kind:     global_buffer
      - .offset:         8
        .size:           8
        .value_kind:     by_value
      - .address_space:  global
        .offset:         16
        .size:           8
        .value_kind:     global_buffer
      - .offset:         24
        .size:           1
        .value_kind:     by_value
      - .offset:         32
        .size:           4
        .value_kind:     hidden_block_count_x
      - .offset:         36
        .size:           4
        .value_kind:     hidden_block_count_y
      - .offset:         40
        .size:           4
        .value_kind:     hidden_block_count_z
      - .offset:         44
        .size:           2
        .value_kind:     hidden_group_size_x
      - .offset:         46
        .size:           2
        .value_kind:     hidden_group_size_y
      - .offset:         48
        .size:           2
        .value_kind:     hidden_group_size_z
      - .offset:         50
        .size:           2
        .value_kind:     hidden_remainder_x
      - .offset:         52
        .size:           2
        .value_kind:     hidden_remainder_y
      - .offset:         54
        .size:           2
        .value_kind:     hidden_remainder_z
      - .offset:         72
        .size:           8
        .value_kind:     hidden_global_offset_x
      - .offset:         80
        .size:           8
        .value_kind:     hidden_global_offset_y
      - .offset:         88
        .size:           8
        .value_kind:     hidden_global_offset_z
      - .offset:         96
        .size:           2
        .value_kind:     hidden_grid_dims
    .group_segment_fixed_size: 0
    .kernarg_segment_align: 8
    .kernarg_segment_size: 288
    .language:       OpenCL C
    .language_version:
      - 2
      - 0
    .max_flat_workgroup_size: 512
    .name:           _ZN7rocprim6detail16transform_kernelINS0_24wrapped_transform_configINS_14default_configEsEEsPsS5_NS_8identityIsEEEEvT1_mT2_T3_
    .private_segment_fixed_size: 0
    .sgpr_count:     19
    .sgpr_spill_count: 0
    .symbol:         _ZN7rocprim6detail16transform_kernelINS0_24wrapped_transform_configINS_14default_configEsEEsPsS5_NS_8identityIsEEEEvT1_mT2_T3_.kd
    .uniform_work_group_size: 1
    .uses_dynamic_stack: false
    .vgpr_count:     8
    .vgpr_spill_count: 0
    .wavefront_size: 64
  - .args:
      - .offset:         0
        .size:           16
        .value_kind:     by_value
      - .offset:         16
        .size:           8
        .value_kind:     by_value
      - .offset:         24
        .size:           2
        .value_kind:     by_value
      - .address_space:  global
        .offset:         32
        .size:           8
        .value_kind:     global_buffer
      - .offset:         40
        .size:           1
        .value_kind:     by_value
    .group_segment_fixed_size: 12288
    .kernarg_segment_align: 8
    .kernarg_segment_size: 44
    .language:       OpenCL C
    .language_version:
      - 2
      - 0
    .max_flat_workgroup_size: 256
    .name:           _ZN7rocprim6detail18single_scan_kernelILb0ENS0_19wrapped_scan_configINS_14default_configEsEEN6hipcub22TransformInputIteratorIsNS5_6CastOpIsEEPslEEPfNS5_3MaxEssEEvT1_mT4_T2_T3_
    .private_segment_fixed_size: 0
    .sgpr_count:     58
    .sgpr_spill_count: 0
    .symbol:         _ZN7rocprim6detail18single_scan_kernelILb0ENS0_19wrapped_scan_configINS_14default_configEsEEN6hipcub22TransformInputIteratorIsNS5_6CastOpIsEEPslEEPfNS5_3MaxEssEEvT1_mT4_T2_T3_.kd
    .uniform_work_group_size: 1
    .uses_dynamic_stack: false
    .vgpr_count:     45
    .vgpr_spill_count: 0
    .wavefront_size: 64
  - .args:
      - .address_space:  global
        .offset:         0
        .size:           8
        .value_kind:     global_buffer
      - .offset:         8
        .size:           4
        .value_kind:     by_value
      - .offset:         12
        .size:           4
        .value_kind:     by_value
      - .address_space:  global
        .offset:         16
        .size:           8
        .value_kind:     global_buffer
      - .offset:         24
        .size:           4
        .value_kind:     hidden_block_count_x
      - .offset:         28
        .size:           4
        .value_kind:     hidden_block_count_y
      - .offset:         32
        .size:           4
        .value_kind:     hidden_block_count_z
      - .offset:         36
        .size:           2
        .value_kind:     hidden_group_size_x
      - .offset:         38
        .size:           2
        .value_kind:     hidden_group_size_y
      - .offset:         40
        .size:           2
        .value_kind:     hidden_group_size_z
      - .offset:         42
        .size:           2
        .value_kind:     hidden_remainder_x
      - .offset:         44
        .size:           2
        .value_kind:     hidden_remainder_y
      - .offset:         46
        .size:           2
        .value_kind:     hidden_remainder_z
      - .offset:         64
        .size:           8
        .value_kind:     hidden_global_offset_x
      - .offset:         72
        .size:           8
        .value_kind:     hidden_global_offset_y
      - .offset:         80
        .size:           8
        .value_kind:     hidden_global_offset_z
      - .offset:         88
        .size:           2
        .value_kind:     hidden_grid_dims
    .group_segment_fixed_size: 0
    .kernarg_segment_align: 8
    .kernarg_segment_size: 280
    .language:       OpenCL C
    .language_version:
      - 2
      - 0
    .max_flat_workgroup_size: 256
    .name:           _ZN7rocprim6detail31init_lookback_scan_state_kernelINS0_19lookback_scan_stateImLb1ELb1EEEEEvT_jjPNS4_10value_typeE
    .private_segment_fixed_size: 0
    .sgpr_count:     18
    .sgpr_spill_count: 0
    .symbol:         _ZN7rocprim6detail31init_lookback_scan_state_kernelINS0_19lookback_scan_stateImLb1ELb1EEEEEvT_jjPNS4_10value_typeE.kd
    .uniform_work_group_size: 1
    .uses_dynamic_stack: false
    .vgpr_count:     8
    .vgpr_spill_count: 0
    .wavefront_size: 64
  - .args:
      - .address_space:  global
        .offset:         0
        .size:           8
        .value_kind:     global_buffer
      - .offset:         8
        .size:           4
        .value_kind:     by_value
      - .offset:         12
        .size:           4
        .value_kind:     by_value
      - .address_space:  global
        .offset:         16
        .size:           8
        .value_kind:     global_buffer
      - .offset:         24
        .size:           4
        .value_kind:     hidden_block_count_x
      - .offset:         28
        .size:           4
        .value_kind:     hidden_block_count_y
      - .offset:         32
        .size:           4
        .value_kind:     hidden_block_count_z
      - .offset:         36
        .size:           2
        .value_kind:     hidden_group_size_x
      - .offset:         38
        .size:           2
        .value_kind:     hidden_group_size_y
      - .offset:         40
        .size:           2
        .value_kind:     hidden_group_size_z
      - .offset:         42
        .size:           2
        .value_kind:     hidden_remainder_x
      - .offset:         44
        .size:           2
        .value_kind:     hidden_remainder_y
      - .offset:         46
        .size:           2
        .value_kind:     hidden_remainder_z
      - .offset:         64
        .size:           8
        .value_kind:     hidden_global_offset_x
      - .offset:         72
        .size:           8
        .value_kind:     hidden_global_offset_y
      - .offset:         80
        .size:           8
        .value_kind:     hidden_global_offset_z
      - .offset:         88
        .size:           2
        .value_kind:     hidden_grid_dims
    .group_segment_fixed_size: 0
    .kernarg_segment_align: 8
    .kernarg_segment_size: 280
    .language:       OpenCL C
    .language_version:
      - 2
      - 0
    .max_flat_workgroup_size: 256
    .name:           _ZN7rocprim6detail31init_lookback_scan_state_kernelINS0_19lookback_scan_stateImLb0ELb1EEEEEvT_jjPNS4_10value_typeE
    .private_segment_fixed_size: 0
    .sgpr_count:     18
    .sgpr_spill_count: 0
    .symbol:         _ZN7rocprim6detail31init_lookback_scan_state_kernelINS0_19lookback_scan_stateImLb0ELb1EEEEEvT_jjPNS4_10value_typeE.kd
    .uniform_work_group_size: 1
    .uses_dynamic_stack: false
    .vgpr_count:     8
    .vgpr_spill_count: 0
    .wavefront_size: 64
  - .args:
      - .address_space:  global
        .offset:         0
        .size:           8
        .value_kind:     global_buffer
      - .address_space:  global
        .offset:         8
        .size:           8
        .value_kind:     global_buffer
      - .offset:         16
        .size:           8
        .value_kind:     by_value
      - .offset:         24
        .size:           8
        .value_kind:     by_value
      - .offset:         32
        .size:           1
        .value_kind:     by_value
      - .address_space:  global
        .offset:         40
        .size:           8
        .value_kind:     global_buffer
      - .offset:         48
        .size:           4
        .value_kind:     by_value
      - .address_space:  global
        .offset:         56
        .size:           8
        .value_kind:     global_buffer
      - .address_space:  global
        .offset:         64
        .size:           8
        .value_kind:     global_buffer
      - .offset:         72
        .size:           1
        .value_kind:     by_value
      - .offset:         73
        .size:           1
        .value_kind:     by_value
    .group_segment_fixed_size: 0
    .kernarg_segment_align: 8
    .kernarg_segment_size: 76
    .language:       OpenCL C
    .language_version:
      - 2
      - 0
    .max_flat_workgroup_size: 64
    .name:           _ZN7rocprim6detail20lookback_scan_kernelILNS0_25lookback_scan_determinismE0ELb0ENS0_19wrapped_scan_configINS_14default_configEmEEPmS6_N6hipcub3SumEmmNS0_19lookback_scan_stateImLb1ELb1EEEEEvT2_T3_mT5_T4_T7_jPT6_SH_bb
    .private_segment_fixed_size: 0
    .sgpr_count:     4
    .sgpr_spill_count: 0
    .symbol:         _ZN7rocprim6detail20lookback_scan_kernelILNS0_25lookback_scan_determinismE0ELb0ENS0_19wrapped_scan_configINS_14default_configEmEEPmS6_N6hipcub3SumEmmNS0_19lookback_scan_stateImLb1ELb1EEEEEvT2_T3_mT5_T4_T7_jPT6_SH_bb.kd
    .uniform_work_group_size: 1
    .uses_dynamic_stack: false
    .vgpr_count:     0
    .vgpr_spill_count: 0
    .wavefront_size: 64
  - .args:
      - .address_space:  global
        .offset:         0
        .size:           8
        .value_kind:     global_buffer
      - .address_space:  global
        .offset:         8
        .size:           8
        .value_kind:     global_buffer
      - .offset:         16
        .size:           8
        .value_kind:     by_value
      - .offset:         24
        .size:           8
        .value_kind:     by_value
      - .offset:         32
        .size:           1
        .value_kind:     by_value
      - .address_space:  global
        .offset:         40
        .size:           8
        .value_kind:     global_buffer
      - .offset:         48
        .size:           4
        .value_kind:     by_value
      - .address_space:  global
        .offset:         56
        .size:           8
        .value_kind:     global_buffer
      - .address_space:  global
        .offset:         64
        .size:           8
        .value_kind:     global_buffer
      - .offset:         72
        .size:           1
        .value_kind:     by_value
      - .offset:         73
        .size:           1
        .value_kind:     by_value
    .group_segment_fixed_size: 7168
    .kernarg_segment_align: 8
    .kernarg_segment_size: 76
    .language:       OpenCL C
    .language_version:
      - 2
      - 0
    .max_flat_workgroup_size: 64
    .name:           _ZN7rocprim6detail20lookback_scan_kernelILNS0_25lookback_scan_determinismE0ELb0ENS0_19wrapped_scan_configINS_14default_configEmEEPmS6_N6hipcub3SumEmmNS0_19lookback_scan_stateImLb0ELb1EEEEEvT2_T3_mT5_T4_T7_jPT6_SH_bb
    .private_segment_fixed_size: 0
    .sgpr_count:     26
    .sgpr_spill_count: 0
    .symbol:         _ZN7rocprim6detail20lookback_scan_kernelILNS0_25lookback_scan_determinismE0ELb0ENS0_19wrapped_scan_configINS_14default_configEmEEPmS6_N6hipcub3SumEmmNS0_19lookback_scan_stateImLb0ELb1EEEEEvT2_T3_mT5_T4_T7_jPT6_SH_bb.kd
    .uniform_work_group_size: 1
    .uses_dynamic_stack: false
    .vgpr_count:     62
    .vgpr_spill_count: 0
    .wavefront_size: 64
  - .args:
      - .address_space:  global
        .offset:         0
        .size:           8
        .value_kind:     global_buffer
      - .offset:         8
        .size:           8
        .value_kind:     by_value
      - .address_space:  global
        .offset:         16
        .size:           8
        .value_kind:     global_buffer
      - .offset:         24
        .size:           1
        .value_kind:     by_value
      - .offset:         32
        .size:           4
        .value_kind:     hidden_block_count_x
      - .offset:         36
        .size:           4
        .value_kind:     hidden_block_count_y
      - .offset:         40
        .size:           4
        .value_kind:     hidden_block_count_z
      - .offset:         44
        .size:           2
        .value_kind:     hidden_group_size_x
      - .offset:         46
        .size:           2
        .value_kind:     hidden_group_size_y
      - .offset:         48
        .size:           2
        .value_kind:     hidden_group_size_z
      - .offset:         50
        .size:           2
        .value_kind:     hidden_remainder_x
      - .offset:         52
        .size:           2
        .value_kind:     hidden_remainder_y
      - .offset:         54
        .size:           2
        .value_kind:     hidden_remainder_z
      - .offset:         72
        .size:           8
        .value_kind:     hidden_global_offset_x
      - .offset:         80
        .size:           8
        .value_kind:     hidden_global_offset_y
      - .offset:         88
        .size:           8
        .value_kind:     hidden_global_offset_z
      - .offset:         96
        .size:           2
        .value_kind:     hidden_grid_dims
    .group_segment_fixed_size: 0
    .kernarg_segment_align: 8
    .kernarg_segment_size: 288
    .language:       OpenCL C
    .language_version:
      - 2
      - 0
    .max_flat_workgroup_size: 512
    .name:           _ZN7rocprim6detail16transform_kernelINS0_24wrapped_transform_configINS_14default_configEmEEmPmS5_NS_8identityImEEEEvT1_mT2_T3_
    .private_segment_fixed_size: 0
    .sgpr_count:     14
    .sgpr_spill_count: 0
    .symbol:         _ZN7rocprim6detail16transform_kernelINS0_24wrapped_transform_configINS_14default_configEmEEmPmS5_NS_8identityImEEEEvT1_mT2_T3_.kd
    .uniform_work_group_size: 1
    .uses_dynamic_stack: false
    .vgpr_count:     3
    .vgpr_spill_count: 0
    .wavefront_size: 64
  - .args:
      - .address_space:  global
        .offset:         0
        .size:           8
        .value_kind:     global_buffer
      - .offset:         8
        .size:           8
        .value_kind:     by_value
      - .offset:         16
        .size:           8
        .value_kind:     by_value
      - .address_space:  global
        .offset:         24
        .size:           8
        .value_kind:     global_buffer
      - .offset:         32
        .size:           1
        .value_kind:     by_value
    .group_segment_fixed_size: 7168
    .kernarg_segment_align: 8
    .kernarg_segment_size: 36
    .language:       OpenCL C
    .language_version:
      - 2
      - 0
    .max_flat_workgroup_size: 64
    .name:           _ZN7rocprim6detail18single_scan_kernelILb0ENS0_19wrapped_scan_configINS_14default_configEmEEPmS5_N6hipcub3SumEmmEEvT1_mT4_T2_T3_
    .private_segment_fixed_size: 0
    .sgpr_count:     40
    .sgpr_spill_count: 0
    .symbol:         _ZN7rocprim6detail18single_scan_kernelILb0ENS0_19wrapped_scan_configINS_14default_configEmEEPmS5_N6hipcub3SumEmmEEvT1_mT4_T2_T3_.kd
    .uniform_work_group_size: 1
    .uses_dynamic_stack: false
    .vgpr_count:     38
    .vgpr_spill_count: 0
    .wavefront_size: 64
  - .args:
      - .address_space:  global
        .offset:         0
        .size:           8
        .value_kind:     global_buffer
      - .offset:         8
        .size:           4
        .value_kind:     by_value
      - .offset:         12
        .size:           4
        .value_kind:     by_value
      - .address_space:  global
        .offset:         16
        .size:           8
        .value_kind:     global_buffer
      - .offset:         24
        .size:           4
        .value_kind:     hidden_block_count_x
      - .offset:         28
        .size:           4
        .value_kind:     hidden_block_count_y
      - .offset:         32
        .size:           4
        .value_kind:     hidden_block_count_z
      - .offset:         36
        .size:           2
        .value_kind:     hidden_group_size_x
      - .offset:         38
        .size:           2
        .value_kind:     hidden_group_size_y
      - .offset:         40
        .size:           2
        .value_kind:     hidden_group_size_z
      - .offset:         42
        .size:           2
        .value_kind:     hidden_remainder_x
      - .offset:         44
        .size:           2
        .value_kind:     hidden_remainder_y
      - .offset:         46
        .size:           2
        .value_kind:     hidden_remainder_z
      - .offset:         64
        .size:           8
        .value_kind:     hidden_global_offset_x
      - .offset:         72
        .size:           8
        .value_kind:     hidden_global_offset_y
      - .offset:         80
        .size:           8
        .value_kind:     hidden_global_offset_z
      - .offset:         88
        .size:           2
        .value_kind:     hidden_grid_dims
    .group_segment_fixed_size: 0
    .kernarg_segment_align: 8
    .kernarg_segment_size: 280
    .language:       OpenCL C
    .language_version:
      - 2
      - 0
    .max_flat_workgroup_size: 256
    .name:           _ZN7rocprim6detail31init_lookback_scan_state_kernelINS0_19lookback_scan_stateIyLb1ELb1EEEEEvT_jjPNS4_10value_typeE
    .private_segment_fixed_size: 0
    .sgpr_count:     18
    .sgpr_spill_count: 0
    .symbol:         _ZN7rocprim6detail31init_lookback_scan_state_kernelINS0_19lookback_scan_stateIyLb1ELb1EEEEEvT_jjPNS4_10value_typeE.kd
    .uniform_work_group_size: 1
    .uses_dynamic_stack: false
    .vgpr_count:     8
    .vgpr_spill_count: 0
    .wavefront_size: 64
  - .args:
      - .address_space:  global
        .offset:         0
        .size:           8
        .value_kind:     global_buffer
      - .offset:         8
        .size:           4
        .value_kind:     by_value
      - .offset:         12
        .size:           4
        .value_kind:     by_value
      - .address_space:  global
        .offset:         16
        .size:           8
        .value_kind:     global_buffer
      - .offset:         24
        .size:           4
        .value_kind:     hidden_block_count_x
      - .offset:         28
        .size:           4
        .value_kind:     hidden_block_count_y
      - .offset:         32
        .size:           4
        .value_kind:     hidden_block_count_z
      - .offset:         36
        .size:           2
        .value_kind:     hidden_group_size_x
      - .offset:         38
        .size:           2
        .value_kind:     hidden_group_size_y
      - .offset:         40
        .size:           2
        .value_kind:     hidden_group_size_z
      - .offset:         42
        .size:           2
        .value_kind:     hidden_remainder_x
      - .offset:         44
        .size:           2
        .value_kind:     hidden_remainder_y
      - .offset:         46
        .size:           2
        .value_kind:     hidden_remainder_z
      - .offset:         64
        .size:           8
        .value_kind:     hidden_global_offset_x
      - .offset:         72
        .size:           8
        .value_kind:     hidden_global_offset_y
      - .offset:         80
        .size:           8
        .value_kind:     hidden_global_offset_z
      - .offset:         88
        .size:           2
        .value_kind:     hidden_grid_dims
    .group_segment_fixed_size: 0
    .kernarg_segment_align: 8
    .kernarg_segment_size: 280
    .language:       OpenCL C
    .language_version:
      - 2
      - 0
    .max_flat_workgroup_size: 256
    .name:           _ZN7rocprim6detail31init_lookback_scan_state_kernelINS0_19lookback_scan_stateIyLb0ELb1EEEEEvT_jjPNS4_10value_typeE
    .private_segment_fixed_size: 0
    .sgpr_count:     18
    .sgpr_spill_count: 0
    .symbol:         _ZN7rocprim6detail31init_lookback_scan_state_kernelINS0_19lookback_scan_stateIyLb0ELb1EEEEEvT_jjPNS4_10value_typeE.kd
    .uniform_work_group_size: 1
    .uses_dynamic_stack: false
    .vgpr_count:     8
    .vgpr_spill_count: 0
    .wavefront_size: 64
  - .args:
      - .address_space:  global
        .offset:         0
        .size:           8
        .value_kind:     global_buffer
      - .address_space:  global
        .offset:         8
        .size:           8
        .value_kind:     global_buffer
      - .offset:         16
        .size:           8
        .value_kind:     by_value
      - .offset:         24
        .size:           8
        .value_kind:     by_value
      - .offset:         32
        .size:           1
        .value_kind:     by_value
      - .address_space:  global
        .offset:         40
        .size:           8
        .value_kind:     global_buffer
      - .offset:         48
        .size:           4
        .value_kind:     by_value
      - .address_space:  global
        .offset:         56
        .size:           8
        .value_kind:     global_buffer
      - .address_space:  global
        .offset:         64
        .size:           8
        .value_kind:     global_buffer
      - .offset:         72
        .size:           1
        .value_kind:     by_value
      - .offset:         73
        .size:           1
        .value_kind:     by_value
    .group_segment_fixed_size: 0
    .kernarg_segment_align: 8
    .kernarg_segment_size: 76
    .language:       OpenCL C
    .language_version:
      - 2
      - 0
    .max_flat_workgroup_size: 64
    .name:           _ZN7rocprim6detail20lookback_scan_kernelILNS0_25lookback_scan_determinismE0ELb0ENS0_19wrapped_scan_configINS_14default_configEyEEPyS6_N6hipcub3MinEyyNS0_19lookback_scan_stateIyLb1ELb1EEEEEvT2_T3_mT5_T4_T7_jPT6_SH_bb
    .private_segment_fixed_size: 0
    .sgpr_count:     4
    .sgpr_spill_count: 0
    .symbol:         _ZN7rocprim6detail20lookback_scan_kernelILNS0_25lookback_scan_determinismE0ELb0ENS0_19wrapped_scan_configINS_14default_configEyEEPyS6_N6hipcub3MinEyyNS0_19lookback_scan_stateIyLb1ELb1EEEEEvT2_T3_mT5_T4_T7_jPT6_SH_bb.kd
    .uniform_work_group_size: 1
    .uses_dynamic_stack: false
    .vgpr_count:     0
    .vgpr_spill_count: 0
    .wavefront_size: 64
  - .args:
      - .address_space:  global
        .offset:         0
        .size:           8
        .value_kind:     global_buffer
      - .address_space:  global
        .offset:         8
        .size:           8
        .value_kind:     global_buffer
      - .offset:         16
        .size:           8
        .value_kind:     by_value
      - .offset:         24
        .size:           8
        .value_kind:     by_value
      - .offset:         32
        .size:           1
        .value_kind:     by_value
      - .address_space:  global
        .offset:         40
        .size:           8
        .value_kind:     global_buffer
      - .offset:         48
        .size:           4
        .value_kind:     by_value
      - .address_space:  global
        .offset:         56
        .size:           8
        .value_kind:     global_buffer
      - .address_space:  global
        .offset:         64
        .size:           8
        .value_kind:     global_buffer
      - .offset:         72
        .size:           1
        .value_kind:     by_value
      - .offset:         73
        .size:           1
        .value_kind:     by_value
    .group_segment_fixed_size: 7168
    .kernarg_segment_align: 8
    .kernarg_segment_size: 76
    .language:       OpenCL C
    .language_version:
      - 2
      - 0
    .max_flat_workgroup_size: 64
    .name:           _ZN7rocprim6detail20lookback_scan_kernelILNS0_25lookback_scan_determinismE0ELb0ENS0_19wrapped_scan_configINS_14default_configEyEEPyS6_N6hipcub3MinEyyNS0_19lookback_scan_stateIyLb0ELb1EEEEEvT2_T3_mT5_T4_T7_jPT6_SH_bb
    .private_segment_fixed_size: 0
    .sgpr_count:     26
    .sgpr_spill_count: 0
    .symbol:         _ZN7rocprim6detail20lookback_scan_kernelILNS0_25lookback_scan_determinismE0ELb0ENS0_19wrapped_scan_configINS_14default_configEyEEPyS6_N6hipcub3MinEyyNS0_19lookback_scan_stateIyLb0ELb1EEEEEvT2_T3_mT5_T4_T7_jPT6_SH_bb.kd
    .uniform_work_group_size: 1
    .uses_dynamic_stack: false
    .vgpr_count:     62
    .vgpr_spill_count: 0
    .wavefront_size: 64
  - .args:
      - .address_space:  global
        .offset:         0
        .size:           8
        .value_kind:     global_buffer
      - .offset:         8
        .size:           8
        .value_kind:     by_value
      - .address_space:  global
        .offset:         16
        .size:           8
        .value_kind:     global_buffer
      - .offset:         24
        .size:           1
        .value_kind:     by_value
      - .offset:         32
        .size:           4
        .value_kind:     hidden_block_count_x
      - .offset:         36
        .size:           4
        .value_kind:     hidden_block_count_y
      - .offset:         40
        .size:           4
        .value_kind:     hidden_block_count_z
      - .offset:         44
        .size:           2
        .value_kind:     hidden_group_size_x
      - .offset:         46
        .size:           2
        .value_kind:     hidden_group_size_y
      - .offset:         48
        .size:           2
        .value_kind:     hidden_group_size_z
      - .offset:         50
        .size:           2
        .value_kind:     hidden_remainder_x
      - .offset:         52
        .size:           2
        .value_kind:     hidden_remainder_y
      - .offset:         54
        .size:           2
        .value_kind:     hidden_remainder_z
      - .offset:         72
        .size:           8
        .value_kind:     hidden_global_offset_x
      - .offset:         80
        .size:           8
        .value_kind:     hidden_global_offset_y
      - .offset:         88
        .size:           8
        .value_kind:     hidden_global_offset_z
      - .offset:         96
        .size:           2
        .value_kind:     hidden_grid_dims
    .group_segment_fixed_size: 0
    .kernarg_segment_align: 8
    .kernarg_segment_size: 288
    .language:       OpenCL C
    .language_version:
      - 2
      - 0
    .max_flat_workgroup_size: 512
    .name:           _ZN7rocprim6detail16transform_kernelINS0_24wrapped_transform_configINS_14default_configEyEEyPyS5_NS_8identityIyEEEEvT1_mT2_T3_
    .private_segment_fixed_size: 0
    .sgpr_count:     14
    .sgpr_spill_count: 0
    .symbol:         _ZN7rocprim6detail16transform_kernelINS0_24wrapped_transform_configINS_14default_configEyEEyPyS5_NS_8identityIyEEEEvT1_mT2_T3_.kd
    .uniform_work_group_size: 1
    .uses_dynamic_stack: false
    .vgpr_count:     3
    .vgpr_spill_count: 0
    .wavefront_size: 64
  - .args:
      - .address_space:  global
        .offset:         0
        .size:           8
        .value_kind:     global_buffer
      - .offset:         8
        .size:           8
        .value_kind:     by_value
      - .offset:         16
        .size:           8
        .value_kind:     by_value
      - .address_space:  global
        .offset:         24
        .size:           8
        .value_kind:     global_buffer
      - .offset:         32
        .size:           1
        .value_kind:     by_value
    .group_segment_fixed_size: 7168
    .kernarg_segment_align: 8
    .kernarg_segment_size: 36
    .language:       OpenCL C
    .language_version:
      - 2
      - 0
    .max_flat_workgroup_size: 64
    .name:           _ZN7rocprim6detail18single_scan_kernelILb0ENS0_19wrapped_scan_configINS_14default_configEyEEPyS5_N6hipcub3MinEyyEEvT1_mT4_T2_T3_
    .private_segment_fixed_size: 0
    .sgpr_count:     40
    .sgpr_spill_count: 0
    .symbol:         _ZN7rocprim6detail18single_scan_kernelILb0ENS0_19wrapped_scan_configINS_14default_configEyEEPyS5_N6hipcub3MinEyyEEvT1_mT4_T2_T3_.kd
    .uniform_work_group_size: 1
    .uses_dynamic_stack: false
    .vgpr_count:     37
    .vgpr_spill_count: 0
    .wavefront_size: 64
  - .args:
      - .address_space:  global
        .offset:         0
        .size:           8
        .value_kind:     global_buffer
      - .offset:         8
        .size:           4
        .value_kind:     by_value
      - .offset:         12
        .size:           4
        .value_kind:     by_value
      - .address_space:  global
        .offset:         16
        .size:           8
        .value_kind:     global_buffer
      - .offset:         24
        .size:           4
        .value_kind:     hidden_block_count_x
      - .offset:         28
        .size:           4
        .value_kind:     hidden_block_count_y
      - .offset:         32
        .size:           4
        .value_kind:     hidden_block_count_z
      - .offset:         36
        .size:           2
        .value_kind:     hidden_group_size_x
      - .offset:         38
        .size:           2
        .value_kind:     hidden_group_size_y
      - .offset:         40
        .size:           2
        .value_kind:     hidden_group_size_z
      - .offset:         42
        .size:           2
        .value_kind:     hidden_remainder_x
      - .offset:         44
        .size:           2
        .value_kind:     hidden_remainder_y
      - .offset:         46
        .size:           2
        .value_kind:     hidden_remainder_z
      - .offset:         64
        .size:           8
        .value_kind:     hidden_global_offset_x
      - .offset:         72
        .size:           8
        .value_kind:     hidden_global_offset_y
      - .offset:         80
        .size:           8
        .value_kind:     hidden_global_offset_z
      - .offset:         88
        .size:           2
        .value_kind:     hidden_grid_dims
    .group_segment_fixed_size: 0
    .kernarg_segment_align: 8
    .kernarg_segment_size: 280
    .language:       OpenCL C
    .language_version:
      - 2
      - 0
    .max_flat_workgroup_size: 256
    .name:           _ZN7rocprim6detail31init_lookback_scan_state_kernelINS0_19lookback_scan_stateINS_5tupleIJibEEELb1ELb1EEEEEvT_jjPNS6_10value_typeE
    .private_segment_fixed_size: 0
    .sgpr_count:     18
    .sgpr_spill_count: 0
    .symbol:         _ZN7rocprim6detail31init_lookback_scan_state_kernelINS0_19lookback_scan_stateINS_5tupleIJibEEELb1ELb1EEEEEvT_jjPNS6_10value_typeE.kd
    .uniform_work_group_size: 1
    .uses_dynamic_stack: false
    .vgpr_count:     8
    .vgpr_spill_count: 0
    .wavefront_size: 64
  - .args:
      - .address_space:  global
        .offset:         0
        .size:           8
        .value_kind:     global_buffer
      - .offset:         8
        .size:           4
        .value_kind:     by_value
      - .offset:         12
        .size:           4
        .value_kind:     by_value
      - .address_space:  global
        .offset:         16
        .size:           8
        .value_kind:     global_buffer
      - .offset:         24
        .size:           4
        .value_kind:     hidden_block_count_x
      - .offset:         28
        .size:           4
        .value_kind:     hidden_block_count_y
      - .offset:         32
        .size:           4
        .value_kind:     hidden_block_count_z
      - .offset:         36
        .size:           2
        .value_kind:     hidden_group_size_x
      - .offset:         38
        .size:           2
        .value_kind:     hidden_group_size_y
      - .offset:         40
        .size:           2
        .value_kind:     hidden_group_size_z
      - .offset:         42
        .size:           2
        .value_kind:     hidden_remainder_x
      - .offset:         44
        .size:           2
        .value_kind:     hidden_remainder_y
      - .offset:         46
        .size:           2
        .value_kind:     hidden_remainder_z
      - .offset:         64
        .size:           8
        .value_kind:     hidden_global_offset_x
      - .offset:         72
        .size:           8
        .value_kind:     hidden_global_offset_y
      - .offset:         80
        .size:           8
        .value_kind:     hidden_global_offset_z
      - .offset:         88
        .size:           2
        .value_kind:     hidden_grid_dims
    .group_segment_fixed_size: 0
    .kernarg_segment_align: 8
    .kernarg_segment_size: 280
    .language:       OpenCL C
    .language_version:
      - 2
      - 0
    .max_flat_workgroup_size: 256
    .name:           _ZN7rocprim6detail31init_lookback_scan_state_kernelINS0_19lookback_scan_stateINS_5tupleIJibEEELb0ELb1EEEEEvT_jjPNS6_10value_typeE
    .private_segment_fixed_size: 0
    .sgpr_count:     18
    .sgpr_spill_count: 0
    .symbol:         _ZN7rocprim6detail31init_lookback_scan_state_kernelINS0_19lookback_scan_stateINS_5tupleIJibEEELb0ELb1EEEEEvT_jjPNS6_10value_typeE.kd
    .uniform_work_group_size: 1
    .uses_dynamic_stack: false
    .vgpr_count:     8
    .vgpr_spill_count: 0
    .wavefront_size: 64
  - .args:
      - .address_space:  global
        .offset:         0
        .size:           8
        .value_kind:     global_buffer
      - .offset:         8
        .size:           16
        .value_kind:     by_value
      - .address_space:  global
        .offset:         24
        .size:           8
        .value_kind:     global_buffer
      - .offset:         32
        .size:           4
        .value_kind:     by_value
      - .offset:         36
        .size:           1
        .value_kind:     by_value
      - .offset:         37
        .size:           1
        .value_kind:     by_value
      - .address_space:  global
        .offset:         40
        .size:           8
        .value_kind:     global_buffer
      - .offset:         48
        .size:           8
        .value_kind:     by_value
      - .offset:         56
        .size:           8
        .value_kind:     by_value
      - .offset:         64
        .size:           8
        .value_kind:     by_value
      - .address_space:  global
        .offset:         72
        .size:           8
        .value_kind:     global_buffer
    .group_segment_fixed_size: 0
    .kernarg_segment_align: 8
    .kernarg_segment_size: 80
    .language:       OpenCL C
    .language_version:
      - 2
      - 0
    .max_flat_workgroup_size: 256
    .name:           _ZN7rocprim6detail25device_scan_by_key_kernelILNS0_25lookback_scan_determinismE0ELb0ENS0_26wrapped_scan_by_key_configINS_14default_configEiiEEPiN6hipcub22TransformInputIteratorIiNS7_6CastOpIiEES6_lEEPliNS7_8EqualityENS7_3SumENS0_19lookback_scan_stateINS_5tupleIJibEEELb1ELb1EEEiEEvT2_T3_T4_T5_T6_T7_T8_mmmPKNSG_IJT9_bEEE
    .private_segment_fixed_size: 0
    .sgpr_count:     4
    .sgpr_spill_count: 0
    .symbol:         _ZN7rocprim6detail25device_scan_by_key_kernelILNS0_25lookback_scan_determinismE0ELb0ENS0_26wrapped_scan_by_key_configINS_14default_configEiiEEPiN6hipcub22TransformInputIteratorIiNS7_6CastOpIiEES6_lEEPliNS7_8EqualityENS7_3SumENS0_19lookback_scan_stateINS_5tupleIJibEEELb1ELb1EEEiEEvT2_T3_T4_T5_T6_T7_T8_mmmPKNSG_IJT9_bEEE.kd
    .uniform_work_group_size: 1
    .uses_dynamic_stack: false
    .vgpr_count:     0
    .vgpr_spill_count: 0
    .wavefront_size: 64
  - .args:
      - .address_space:  global
        .offset:         0
        .size:           8
        .value_kind:     global_buffer
      - .offset:         8
        .size:           16
        .value_kind:     by_value
      - .address_space:  global
        .offset:         24
        .size:           8
        .value_kind:     global_buffer
      - .offset:         32
        .size:           4
        .value_kind:     by_value
      - .offset:         36
        .size:           1
        .value_kind:     by_value
      - .offset:         37
        .size:           1
        .value_kind:     by_value
      - .address_space:  global
        .offset:         40
        .size:           8
        .value_kind:     global_buffer
      - .offset:         48
        .size:           8
        .value_kind:     by_value
      - .offset:         56
        .size:           8
        .value_kind:     by_value
      - .offset:         64
        .size:           8
        .value_kind:     by_value
      - .address_space:  global
        .offset:         72
        .size:           8
        .value_kind:     global_buffer
    .group_segment_fixed_size: 17408
    .kernarg_segment_align: 8
    .kernarg_segment_size: 80
    .language:       OpenCL C
    .language_version:
      - 2
      - 0
    .max_flat_workgroup_size: 256
    .name:           _ZN7rocprim6detail25device_scan_by_key_kernelILNS0_25lookback_scan_determinismE0ELb0ENS0_26wrapped_scan_by_key_configINS_14default_configEiiEEPiN6hipcub22TransformInputIteratorIiNS7_6CastOpIiEES6_lEEPliNS7_8EqualityENS7_3SumENS0_19lookback_scan_stateINS_5tupleIJibEEELb0ELb1EEEiEEvT2_T3_T4_T5_T6_T7_T8_mmmPKNSG_IJT9_bEEE
    .private_segment_fixed_size: 0
    .sgpr_count:     62
    .sgpr_spill_count: 0
    .symbol:         _ZN7rocprim6detail25device_scan_by_key_kernelILNS0_25lookback_scan_determinismE0ELb0ENS0_26wrapped_scan_by_key_configINS_14default_configEiiEEPiN6hipcub22TransformInputIteratorIiNS7_6CastOpIiEES6_lEEPliNS7_8EqualityENS7_3SumENS0_19lookback_scan_stateINS_5tupleIJibEEELb0ELb1EEEiEEvT2_T3_T4_T5_T6_T7_T8_mmmPKNSG_IJT9_bEEE.kd
    .uniform_work_group_size: 1
    .uses_dynamic_stack: false
    .vgpr_count:     73
    .vgpr_spill_count: 0
    .wavefront_size: 64
  - .args:
      - .address_space:  global
        .offset:         0
        .size:           8
        .value_kind:     global_buffer
      - .offset:         8
        .size:           4
        .value_kind:     by_value
      - .offset:         12
        .size:           4
        .value_kind:     by_value
      - .address_space:  global
        .offset:         16
        .size:           8
        .value_kind:     global_buffer
      - .offset:         24
        .size:           4
        .value_kind:     hidden_block_count_x
      - .offset:         28
        .size:           4
        .value_kind:     hidden_block_count_y
      - .offset:         32
        .size:           4
        .value_kind:     hidden_block_count_z
      - .offset:         36
        .size:           2
        .value_kind:     hidden_group_size_x
      - .offset:         38
        .size:           2
        .value_kind:     hidden_group_size_y
      - .offset:         40
        .size:           2
        .value_kind:     hidden_group_size_z
      - .offset:         42
        .size:           2
        .value_kind:     hidden_remainder_x
      - .offset:         44
        .size:           2
        .value_kind:     hidden_remainder_y
      - .offset:         46
        .size:           2
        .value_kind:     hidden_remainder_z
      - .offset:         64
        .size:           8
        .value_kind:     hidden_global_offset_x
      - .offset:         72
        .size:           8
        .value_kind:     hidden_global_offset_y
      - .offset:         80
        .size:           8
        .value_kind:     hidden_global_offset_z
      - .offset:         88
        .size:           2
        .value_kind:     hidden_grid_dims
    .group_segment_fixed_size: 0
    .kernarg_segment_align: 8
    .kernarg_segment_size: 280
    .language:       OpenCL C
    .language_version:
      - 2
      - 0
    .max_flat_workgroup_size: 256
    .name:           _ZN7rocprim6detail31init_lookback_scan_state_kernelINS0_19lookback_scan_stateINS_5tupleIJ6__halfbEEELb1ELb1EEEEEvT_jjPNS7_10value_typeE
    .private_segment_fixed_size: 0
    .sgpr_count:     16
    .sgpr_spill_count: 0
    .symbol:         _ZN7rocprim6detail31init_lookback_scan_state_kernelINS0_19lookback_scan_stateINS_5tupleIJ6__halfbEEELb1ELb1EEEEEvT_jjPNS7_10value_typeE.kd
    .uniform_work_group_size: 1
    .uses_dynamic_stack: false
    .vgpr_count:     6
    .vgpr_spill_count: 0
    .wavefront_size: 64
  - .args:
      - .address_space:  global
        .offset:         0
        .size:           8
        .value_kind:     global_buffer
      - .offset:         8
        .size:           4
        .value_kind:     by_value
      - .offset:         12
        .size:           4
        .value_kind:     by_value
      - .address_space:  global
        .offset:         16
        .size:           8
        .value_kind:     global_buffer
      - .offset:         24
        .size:           4
        .value_kind:     hidden_block_count_x
      - .offset:         28
        .size:           4
        .value_kind:     hidden_block_count_y
      - .offset:         32
        .size:           4
        .value_kind:     hidden_block_count_z
      - .offset:         36
        .size:           2
        .value_kind:     hidden_group_size_x
      - .offset:         38
        .size:           2
        .value_kind:     hidden_group_size_y
      - .offset:         40
        .size:           2
        .value_kind:     hidden_group_size_z
      - .offset:         42
        .size:           2
        .value_kind:     hidden_remainder_x
      - .offset:         44
        .size:           2
        .value_kind:     hidden_remainder_y
      - .offset:         46
        .size:           2
        .value_kind:     hidden_remainder_z
      - .offset:         64
        .size:           8
        .value_kind:     hidden_global_offset_x
      - .offset:         72
        .size:           8
        .value_kind:     hidden_global_offset_y
      - .offset:         80
        .size:           8
        .value_kind:     hidden_global_offset_z
      - .offset:         88
        .size:           2
        .value_kind:     hidden_grid_dims
    .group_segment_fixed_size: 0
    .kernarg_segment_align: 8
    .kernarg_segment_size: 280
    .language:       OpenCL C
    .language_version:
      - 2
      - 0
    .max_flat_workgroup_size: 256
    .name:           _ZN7rocprim6detail31init_lookback_scan_state_kernelINS0_19lookback_scan_stateINS_5tupleIJ6__halfbEEELb0ELb1EEEEEvT_jjPNS7_10value_typeE
    .private_segment_fixed_size: 0
    .sgpr_count:     14
    .sgpr_spill_count: 0
    .symbol:         _ZN7rocprim6detail31init_lookback_scan_state_kernelINS0_19lookback_scan_stateINS_5tupleIJ6__halfbEEELb0ELb1EEEEEvT_jjPNS7_10value_typeE.kd
    .uniform_work_group_size: 1
    .uses_dynamic_stack: false
    .vgpr_count:     6
    .vgpr_spill_count: 0
    .wavefront_size: 64
  - .args:
      - .address_space:  global
        .offset:         0
        .size:           8
        .value_kind:     global_buffer
      - .offset:         8
        .size:           16
        .value_kind:     by_value
      - .address_space:  global
        .offset:         24
        .size:           8
        .value_kind:     global_buffer
      - .offset:         32
        .size:           2
        .value_kind:     by_value
      - .offset:         34
        .size:           1
        .value_kind:     by_value
      - .offset:         35
        .size:           1
        .value_kind:     by_value
      - .address_space:  global
        .offset:         40
        .size:           8
        .value_kind:     global_buffer
      - .offset:         48
        .size:           8
        .value_kind:     by_value
      - .offset:         56
        .size:           8
        .value_kind:     by_value
      - .offset:         64
        .size:           8
        .value_kind:     by_value
      - .address_space:  global
        .offset:         72
        .size:           8
        .value_kind:     global_buffer
    .group_segment_fixed_size: 0
    .kernarg_segment_align: 8
    .kernarg_segment_size: 80
    .language:       OpenCL C
    .language_version:
      - 2
      - 0
    .max_flat_workgroup_size: 256
    .name:           _ZN7rocprim6detail25device_scan_by_key_kernelILNS0_25lookback_scan_determinismE0ELb0ENS0_26wrapped_scan_by_key_configINS_14default_configEi6__halfEEPiN6hipcub22TransformInputIteratorIS5_NS8_6CastOpIS5_EEPS5_lEESC_S5_NS8_8EqualityENS8_3SumENS0_19lookback_scan_stateINS_5tupleIJS5_bEEELb1ELb1EEES5_EEvT2_T3_T4_T5_T6_T7_T8_mmmPKNSH_IJT9_bEEE
    .private_segment_fixed_size: 0
    .sgpr_count:     4
    .sgpr_spill_count: 0
    .symbol:         _ZN7rocprim6detail25device_scan_by_key_kernelILNS0_25lookback_scan_determinismE0ELb0ENS0_26wrapped_scan_by_key_configINS_14default_configEi6__halfEEPiN6hipcub22TransformInputIteratorIS5_NS8_6CastOpIS5_EEPS5_lEESC_S5_NS8_8EqualityENS8_3SumENS0_19lookback_scan_stateINS_5tupleIJS5_bEEELb1ELb1EEES5_EEvT2_T3_T4_T5_T6_T7_T8_mmmPKNSH_IJT9_bEEE.kd
    .uniform_work_group_size: 1
    .uses_dynamic_stack: false
    .vgpr_count:     0
    .vgpr_spill_count: 0
    .wavefront_size: 64
  - .args:
      - .address_space:  global
        .offset:         0
        .size:           8
        .value_kind:     global_buffer
      - .offset:         8
        .size:           16
        .value_kind:     by_value
      - .address_space:  global
        .offset:         24
        .size:           8
        .value_kind:     global_buffer
      - .offset:         32
        .size:           2
        .value_kind:     by_value
      - .offset:         34
        .size:           1
        .value_kind:     by_value
      - .offset:         35
        .size:           1
        .value_kind:     by_value
      - .address_space:  global
        .offset:         40
        .size:           8
        .value_kind:     global_buffer
      - .offset:         48
        .size:           8
        .value_kind:     by_value
      - .offset:         56
        .size:           8
        .value_kind:     by_value
      - .offset:         64
        .size:           8
        .value_kind:     by_value
      - .address_space:  global
        .offset:         72
        .size:           8
        .value_kind:     global_buffer
    .group_segment_fixed_size: 16384
    .kernarg_segment_align: 8
    .kernarg_segment_size: 80
    .language:       OpenCL C
    .language_version:
      - 2
      - 0
    .max_flat_workgroup_size: 256
    .name:           _ZN7rocprim6detail25device_scan_by_key_kernelILNS0_25lookback_scan_determinismE0ELb0ENS0_26wrapped_scan_by_key_configINS_14default_configEi6__halfEEPiN6hipcub22TransformInputIteratorIS5_NS8_6CastOpIS5_EEPS5_lEESC_S5_NS8_8EqualityENS8_3SumENS0_19lookback_scan_stateINS_5tupleIJS5_bEEELb0ELb1EEES5_EEvT2_T3_T4_T5_T6_T7_T8_mmmPKNSH_IJT9_bEEE
    .private_segment_fixed_size: 0
    .sgpr_count:     60
    .sgpr_spill_count: 0
    .symbol:         _ZN7rocprim6detail25device_scan_by_key_kernelILNS0_25lookback_scan_determinismE0ELb0ENS0_26wrapped_scan_by_key_configINS_14default_configEi6__halfEEPiN6hipcub22TransformInputIteratorIS5_NS8_6CastOpIS5_EEPS5_lEESC_S5_NS8_8EqualityENS8_3SumENS0_19lookback_scan_stateINS_5tupleIJS5_bEEELb0ELb1EEES5_EEvT2_T3_T4_T5_T6_T7_T8_mmmPKNSH_IJT9_bEEE.kd
    .uniform_work_group_size: 1
    .uses_dynamic_stack: false
    .vgpr_count:     68
    .vgpr_spill_count: 0
    .wavefront_size: 64
  - .args:
      - .address_space:  global
        .offset:         0
        .size:           8
        .value_kind:     global_buffer
      - .offset:         8
        .size:           16
        .value_kind:     by_value
      - .address_space:  global
        .offset:         24
        .size:           8
        .value_kind:     global_buffer
      - .offset:         32
        .size:           2
        .value_kind:     by_value
      - .offset:         34
        .size:           1
        .value_kind:     by_value
      - .offset:         35
        .size:           1
        .value_kind:     by_value
      - .address_space:  global
        .offset:         40
        .size:           8
        .value_kind:     global_buffer
      - .offset:         48
        .size:           8
        .value_kind:     by_value
      - .offset:         56
        .size:           8
        .value_kind:     by_value
      - .offset:         64
        .size:           8
        .value_kind:     by_value
      - .address_space:  global
        .offset:         72
        .size:           8
        .value_kind:     global_buffer
    .group_segment_fixed_size: 0
    .kernarg_segment_align: 8
    .kernarg_segment_size: 80
    .language:       OpenCL C
    .language_version:
      - 2
      - 0
    .max_flat_workgroup_size: 256
    .name:           _ZN7rocprim6detail25device_scan_by_key_kernelILNS0_25lookback_scan_determinismE0ELb0ENS0_26wrapped_scan_by_key_configINS_14default_configEi6__halfEEPiN6hipcub22TransformInputIteratorIS5_NS8_6CastOpIS5_EEPS5_lEESC_S5_NS8_8EqualityENS8_3MaxENS0_19lookback_scan_stateINS_5tupleIJS5_bEEELb1ELb1EEES5_EEvT2_T3_T4_T5_T6_T7_T8_mmmPKNSH_IJT9_bEEE
    .private_segment_fixed_size: 0
    .sgpr_count:     4
    .sgpr_spill_count: 0
    .symbol:         _ZN7rocprim6detail25device_scan_by_key_kernelILNS0_25lookback_scan_determinismE0ELb0ENS0_26wrapped_scan_by_key_configINS_14default_configEi6__halfEEPiN6hipcub22TransformInputIteratorIS5_NS8_6CastOpIS5_EEPS5_lEESC_S5_NS8_8EqualityENS8_3MaxENS0_19lookback_scan_stateINS_5tupleIJS5_bEEELb1ELb1EEES5_EEvT2_T3_T4_T5_T6_T7_T8_mmmPKNSH_IJT9_bEEE.kd
    .uniform_work_group_size: 1
    .uses_dynamic_stack: false
    .vgpr_count:     0
    .vgpr_spill_count: 0
    .wavefront_size: 64
  - .args:
      - .address_space:  global
        .offset:         0
        .size:           8
        .value_kind:     global_buffer
      - .offset:         8
        .size:           16
        .value_kind:     by_value
      - .address_space:  global
        .offset:         24
        .size:           8
        .value_kind:     global_buffer
      - .offset:         32
        .size:           2
        .value_kind:     by_value
      - .offset:         34
        .size:           1
        .value_kind:     by_value
      - .offset:         35
        .size:           1
        .value_kind:     by_value
      - .address_space:  global
        .offset:         40
        .size:           8
        .value_kind:     global_buffer
      - .offset:         48
        .size:           8
        .value_kind:     by_value
      - .offset:         56
        .size:           8
        .value_kind:     by_value
      - .offset:         64
        .size:           8
        .value_kind:     by_value
      - .address_space:  global
        .offset:         72
        .size:           8
        .value_kind:     global_buffer
    .group_segment_fixed_size: 16384
    .kernarg_segment_align: 8
    .kernarg_segment_size: 80
    .language:       OpenCL C
    .language_version:
      - 2
      - 0
    .max_flat_workgroup_size: 256
    .name:           _ZN7rocprim6detail25device_scan_by_key_kernelILNS0_25lookback_scan_determinismE0ELb0ENS0_26wrapped_scan_by_key_configINS_14default_configEi6__halfEEPiN6hipcub22TransformInputIteratorIS5_NS8_6CastOpIS5_EEPS5_lEESC_S5_NS8_8EqualityENS8_3MaxENS0_19lookback_scan_stateINS_5tupleIJS5_bEEELb0ELb1EEES5_EEvT2_T3_T4_T5_T6_T7_T8_mmmPKNSH_IJT9_bEEE
    .private_segment_fixed_size: 0
    .sgpr_count:     60
    .sgpr_spill_count: 0
    .symbol:         _ZN7rocprim6detail25device_scan_by_key_kernelILNS0_25lookback_scan_determinismE0ELb0ENS0_26wrapped_scan_by_key_configINS_14default_configEi6__halfEEPiN6hipcub22TransformInputIteratorIS5_NS8_6CastOpIS5_EEPS5_lEESC_S5_NS8_8EqualityENS8_3MaxENS0_19lookback_scan_stateINS_5tupleIJS5_bEEELb0ELb1EEES5_EEvT2_T3_T4_T5_T6_T7_T8_mmmPKNSH_IJT9_bEEE.kd
    .uniform_work_group_size: 1
    .uses_dynamic_stack: false
    .vgpr_count:     68
    .vgpr_spill_count: 0
    .wavefront_size: 64
  - .args:
      - .address_space:  global
        .offset:         0
        .size:           8
        .value_kind:     global_buffer
      - .offset:         8
        .size:           4
        .value_kind:     by_value
      - .offset:         12
        .size:           4
        .value_kind:     by_value
      - .address_space:  global
        .offset:         16
        .size:           8
        .value_kind:     global_buffer
      - .offset:         24
        .size:           4
        .value_kind:     hidden_block_count_x
      - .offset:         28
        .size:           4
        .value_kind:     hidden_block_count_y
      - .offset:         32
        .size:           4
        .value_kind:     hidden_block_count_z
      - .offset:         36
        .size:           2
        .value_kind:     hidden_group_size_x
      - .offset:         38
        .size:           2
        .value_kind:     hidden_group_size_y
      - .offset:         40
        .size:           2
        .value_kind:     hidden_group_size_z
      - .offset:         42
        .size:           2
        .value_kind:     hidden_remainder_x
      - .offset:         44
        .size:           2
        .value_kind:     hidden_remainder_y
      - .offset:         46
        .size:           2
        .value_kind:     hidden_remainder_z
      - .offset:         64
        .size:           8
        .value_kind:     hidden_global_offset_x
      - .offset:         72
        .size:           8
        .value_kind:     hidden_global_offset_y
      - .offset:         80
        .size:           8
        .value_kind:     hidden_global_offset_z
      - .offset:         88
        .size:           2
        .value_kind:     hidden_grid_dims
    .group_segment_fixed_size: 0
    .kernarg_segment_align: 8
    .kernarg_segment_size: 280
    .language:       OpenCL C
    .language_version:
      - 2
      - 0
    .max_flat_workgroup_size: 256
    .name:           _ZN7rocprim6detail31init_lookback_scan_state_kernelINS0_19lookback_scan_stateINS_5tupleIJ12hip_bfloat16bEEELb1ELb1EEEEEvT_jjPNS7_10value_typeE
    .private_segment_fixed_size: 0
    .sgpr_count:     16
    .sgpr_spill_count: 0
    .symbol:         _ZN7rocprim6detail31init_lookback_scan_state_kernelINS0_19lookback_scan_stateINS_5tupleIJ12hip_bfloat16bEEELb1ELb1EEEEEvT_jjPNS7_10value_typeE.kd
    .uniform_work_group_size: 1
    .uses_dynamic_stack: false
    .vgpr_count:     6
    .vgpr_spill_count: 0
    .wavefront_size: 64
  - .args:
      - .address_space:  global
        .offset:         0
        .size:           8
        .value_kind:     global_buffer
      - .offset:         8
        .size:           4
        .value_kind:     by_value
      - .offset:         12
        .size:           4
        .value_kind:     by_value
      - .address_space:  global
        .offset:         16
        .size:           8
        .value_kind:     global_buffer
      - .offset:         24
        .size:           4
        .value_kind:     hidden_block_count_x
      - .offset:         28
        .size:           4
        .value_kind:     hidden_block_count_y
      - .offset:         32
        .size:           4
        .value_kind:     hidden_block_count_z
      - .offset:         36
        .size:           2
        .value_kind:     hidden_group_size_x
      - .offset:         38
        .size:           2
        .value_kind:     hidden_group_size_y
      - .offset:         40
        .size:           2
        .value_kind:     hidden_group_size_z
      - .offset:         42
        .size:           2
        .value_kind:     hidden_remainder_x
      - .offset:         44
        .size:           2
        .value_kind:     hidden_remainder_y
      - .offset:         46
        .size:           2
        .value_kind:     hidden_remainder_z
      - .offset:         64
        .size:           8
        .value_kind:     hidden_global_offset_x
      - .offset:         72
        .size:           8
        .value_kind:     hidden_global_offset_y
      - .offset:         80
        .size:           8
        .value_kind:     hidden_global_offset_z
      - .offset:         88
        .size:           2
        .value_kind:     hidden_grid_dims
    .group_segment_fixed_size: 0
    .kernarg_segment_align: 8
    .kernarg_segment_size: 280
    .language:       OpenCL C
    .language_version:
      - 2
      - 0
    .max_flat_workgroup_size: 256
    .name:           _ZN7rocprim6detail31init_lookback_scan_state_kernelINS0_19lookback_scan_stateINS_5tupleIJ12hip_bfloat16bEEELb0ELb1EEEEEvT_jjPNS7_10value_typeE
    .private_segment_fixed_size: 0
    .sgpr_count:     14
    .sgpr_spill_count: 0
    .symbol:         _ZN7rocprim6detail31init_lookback_scan_state_kernelINS0_19lookback_scan_stateINS_5tupleIJ12hip_bfloat16bEEELb0ELb1EEEEEvT_jjPNS7_10value_typeE.kd
    .uniform_work_group_size: 1
    .uses_dynamic_stack: false
    .vgpr_count:     6
    .vgpr_spill_count: 0
    .wavefront_size: 64
  - .args:
      - .address_space:  global
        .offset:         0
        .size:           8
        .value_kind:     global_buffer
      - .offset:         8
        .size:           16
        .value_kind:     by_value
      - .address_space:  global
        .offset:         24
        .size:           8
        .value_kind:     global_buffer
      - .offset:         32
        .size:           2
        .value_kind:     by_value
      - .offset:         34
        .size:           1
        .value_kind:     by_value
      - .offset:         35
        .size:           1
        .value_kind:     by_value
      - .address_space:  global
        .offset:         40
        .size:           8
        .value_kind:     global_buffer
      - .offset:         48
        .size:           8
        .value_kind:     by_value
      - .offset:         56
        .size:           8
        .value_kind:     by_value
      - .offset:         64
        .size:           8
        .value_kind:     by_value
      - .address_space:  global
        .offset:         72
        .size:           8
        .value_kind:     global_buffer
    .group_segment_fixed_size: 0
    .kernarg_segment_align: 8
    .kernarg_segment_size: 80
    .language:       OpenCL C
    .language_version:
      - 2
      - 0
    .max_flat_workgroup_size: 256
    .name:           _ZN7rocprim6detail25device_scan_by_key_kernelILNS0_25lookback_scan_determinismE0ELb0ENS0_26wrapped_scan_by_key_configINS_14default_configEi12hip_bfloat16EEPiN6hipcub22TransformInputIteratorIS5_NS8_6CastOpIS5_EEPS5_lEESC_S5_NS8_8EqualityENS8_3SumENS0_19lookback_scan_stateINS_5tupleIJS5_bEEELb1ELb1EEES5_EEvT2_T3_T4_T5_T6_T7_T8_mmmPKNSH_IJT9_bEEE
    .private_segment_fixed_size: 0
    .sgpr_count:     4
    .sgpr_spill_count: 0
    .symbol:         _ZN7rocprim6detail25device_scan_by_key_kernelILNS0_25lookback_scan_determinismE0ELb0ENS0_26wrapped_scan_by_key_configINS_14default_configEi12hip_bfloat16EEPiN6hipcub22TransformInputIteratorIS5_NS8_6CastOpIS5_EEPS5_lEESC_S5_NS8_8EqualityENS8_3SumENS0_19lookback_scan_stateINS_5tupleIJS5_bEEELb1ELb1EEES5_EEvT2_T3_T4_T5_T6_T7_T8_mmmPKNSH_IJT9_bEEE.kd
    .uniform_work_group_size: 1
    .uses_dynamic_stack: false
    .vgpr_count:     0
    .vgpr_spill_count: 0
    .wavefront_size: 64
  - .args:
      - .address_space:  global
        .offset:         0
        .size:           8
        .value_kind:     global_buffer
      - .offset:         8
        .size:           16
        .value_kind:     by_value
      - .address_space:  global
        .offset:         24
        .size:           8
        .value_kind:     global_buffer
      - .offset:         32
        .size:           2
        .value_kind:     by_value
      - .offset:         34
        .size:           1
        .value_kind:     by_value
      - .offset:         35
        .size:           1
        .value_kind:     by_value
      - .address_space:  global
        .offset:         40
        .size:           8
        .value_kind:     global_buffer
      - .offset:         48
        .size:           8
        .value_kind:     by_value
      - .offset:         56
        .size:           8
        .value_kind:     by_value
      - .offset:         64
        .size:           8
        .value_kind:     by_value
      - .address_space:  global
        .offset:         72
        .size:           8
        .value_kind:     global_buffer
    .group_segment_fixed_size: 16384
    .kernarg_segment_align: 8
    .kernarg_segment_size: 80
    .language:       OpenCL C
    .language_version:
      - 2
      - 0
    .max_flat_workgroup_size: 256
    .name:           _ZN7rocprim6detail25device_scan_by_key_kernelILNS0_25lookback_scan_determinismE0ELb0ENS0_26wrapped_scan_by_key_configINS_14default_configEi12hip_bfloat16EEPiN6hipcub22TransformInputIteratorIS5_NS8_6CastOpIS5_EEPS5_lEESC_S5_NS8_8EqualityENS8_3SumENS0_19lookback_scan_stateINS_5tupleIJS5_bEEELb0ELb1EEES5_EEvT2_T3_T4_T5_T6_T7_T8_mmmPKNSH_IJT9_bEEE
    .private_segment_fixed_size: 0
    .sgpr_count:     58
    .sgpr_spill_count: 0
    .symbol:         _ZN7rocprim6detail25device_scan_by_key_kernelILNS0_25lookback_scan_determinismE0ELb0ENS0_26wrapped_scan_by_key_configINS_14default_configEi12hip_bfloat16EEPiN6hipcub22TransformInputIteratorIS5_NS8_6CastOpIS5_EEPS5_lEESC_S5_NS8_8EqualityENS8_3SumENS0_19lookback_scan_stateINS_5tupleIJS5_bEEELb0ELb1EEES5_EEvT2_T3_T4_T5_T6_T7_T8_mmmPKNSH_IJT9_bEEE.kd
    .uniform_work_group_size: 1
    .uses_dynamic_stack: false
    .vgpr_count:     45
    .vgpr_spill_count: 0
    .wavefront_size: 64
  - .args:
      - .address_space:  global
        .offset:         0
        .size:           8
        .value_kind:     global_buffer
      - .offset:         8
        .size:           16
        .value_kind:     by_value
      - .address_space:  global
        .offset:         24
        .size:           8
        .value_kind:     global_buffer
      - .offset:         32
        .size:           2
        .value_kind:     by_value
      - .offset:         34
        .size:           1
        .value_kind:     by_value
      - .offset:         35
        .size:           1
        .value_kind:     by_value
      - .address_space:  global
        .offset:         40
        .size:           8
        .value_kind:     global_buffer
      - .offset:         48
        .size:           8
        .value_kind:     by_value
      - .offset:         56
        .size:           8
        .value_kind:     by_value
      - .offset:         64
        .size:           8
        .value_kind:     by_value
      - .address_space:  global
        .offset:         72
        .size:           8
        .value_kind:     global_buffer
    .group_segment_fixed_size: 0
    .kernarg_segment_align: 8
    .kernarg_segment_size: 80
    .language:       OpenCL C
    .language_version:
      - 2
      - 0
    .max_flat_workgroup_size: 256
    .name:           _ZN7rocprim6detail25device_scan_by_key_kernelILNS0_25lookback_scan_determinismE0ELb0ENS0_26wrapped_scan_by_key_configINS_14default_configEi12hip_bfloat16EEPiN6hipcub22TransformInputIteratorIS5_NS8_6CastOpIS5_EEPS5_lEESC_S5_NS8_8EqualityENS8_3MaxENS0_19lookback_scan_stateINS_5tupleIJS5_bEEELb1ELb1EEES5_EEvT2_T3_T4_T5_T6_T7_T8_mmmPKNSH_IJT9_bEEE
    .private_segment_fixed_size: 0
    .sgpr_count:     4
    .sgpr_spill_count: 0
    .symbol:         _ZN7rocprim6detail25device_scan_by_key_kernelILNS0_25lookback_scan_determinismE0ELb0ENS0_26wrapped_scan_by_key_configINS_14default_configEi12hip_bfloat16EEPiN6hipcub22TransformInputIteratorIS5_NS8_6CastOpIS5_EEPS5_lEESC_S5_NS8_8EqualityENS8_3MaxENS0_19lookback_scan_stateINS_5tupleIJS5_bEEELb1ELb1EEES5_EEvT2_T3_T4_T5_T6_T7_T8_mmmPKNSH_IJT9_bEEE.kd
    .uniform_work_group_size: 1
    .uses_dynamic_stack: false
    .vgpr_count:     0
    .vgpr_spill_count: 0
    .wavefront_size: 64
  - .args:
      - .address_space:  global
        .offset:         0
        .size:           8
        .value_kind:     global_buffer
      - .offset:         8
        .size:           16
        .value_kind:     by_value
      - .address_space:  global
        .offset:         24
        .size:           8
        .value_kind:     global_buffer
      - .offset:         32
        .size:           2
        .value_kind:     by_value
      - .offset:         34
        .size:           1
        .value_kind:     by_value
      - .offset:         35
        .size:           1
        .value_kind:     by_value
      - .address_space:  global
        .offset:         40
        .size:           8
        .value_kind:     global_buffer
      - .offset:         48
        .size:           8
        .value_kind:     by_value
      - .offset:         56
        .size:           8
        .value_kind:     by_value
      - .offset:         64
        .size:           8
        .value_kind:     by_value
      - .address_space:  global
        .offset:         72
        .size:           8
        .value_kind:     global_buffer
    .group_segment_fixed_size: 16384
    .kernarg_segment_align: 8
    .kernarg_segment_size: 80
    .language:       OpenCL C
    .language_version:
      - 2
      - 0
    .max_flat_workgroup_size: 256
    .name:           _ZN7rocprim6detail25device_scan_by_key_kernelILNS0_25lookback_scan_determinismE0ELb0ENS0_26wrapped_scan_by_key_configINS_14default_configEi12hip_bfloat16EEPiN6hipcub22TransformInputIteratorIS5_NS8_6CastOpIS5_EEPS5_lEESC_S5_NS8_8EqualityENS8_3MaxENS0_19lookback_scan_stateINS_5tupleIJS5_bEEELb0ELb1EEES5_EEvT2_T3_T4_T5_T6_T7_T8_mmmPKNSH_IJT9_bEEE
    .private_segment_fixed_size: 0
    .sgpr_count:     58
    .sgpr_spill_count: 0
    .symbol:         _ZN7rocprim6detail25device_scan_by_key_kernelILNS0_25lookback_scan_determinismE0ELb0ENS0_26wrapped_scan_by_key_configINS_14default_configEi12hip_bfloat16EEPiN6hipcub22TransformInputIteratorIS5_NS8_6CastOpIS5_EEPS5_lEESC_S5_NS8_8EqualityENS8_3MaxENS0_19lookback_scan_stateINS_5tupleIJS5_bEEELb0ELb1EEES5_EEvT2_T3_T4_T5_T6_T7_T8_mmmPKNSH_IJT9_bEEE.kd
    .uniform_work_group_size: 1
    .uses_dynamic_stack: false
    .vgpr_count:     61
    .vgpr_spill_count: 0
    .wavefront_size: 64
  - .args:
      - .address_space:  global
        .offset:         0
        .size:           8
        .value_kind:     global_buffer
      - .offset:         8
        .size:           16
        .value_kind:     by_value
      - .address_space:  global
        .offset:         24
        .size:           8
        .value_kind:     global_buffer
      - .offset:         32
        .size:           4
        .value_kind:     by_value
      - .offset:         36
        .size:           1
        .value_kind:     by_value
      - .offset:         37
        .size:           1
        .value_kind:     by_value
      - .address_space:  global
        .offset:         40
        .size:           8
        .value_kind:     global_buffer
      - .offset:         48
        .size:           8
        .value_kind:     by_value
      - .offset:         56
        .size:           8
        .value_kind:     by_value
      - .offset:         64
        .size:           8
        .value_kind:     by_value
      - .address_space:  global
        .offset:         72
        .size:           8
        .value_kind:     global_buffer
    .group_segment_fixed_size: 0
    .kernarg_segment_align: 8
    .kernarg_segment_size: 80
    .language:       OpenCL C
    .language_version:
      - 2
      - 0
    .max_flat_workgroup_size: 256
    .name:           _ZN7rocprim6detail25device_scan_by_key_kernelILNS0_25lookback_scan_determinismE0ELb0ENS0_26wrapped_scan_by_key_configINS_14default_configEiiEEPiN6hipcub22TransformInputIteratorIiNS7_6CastOpIiEES6_lEEPdiNS7_8EqualityENS7_3SumENS0_19lookback_scan_stateINS_5tupleIJibEEELb1ELb1EEEiEEvT2_T3_T4_T5_T6_T7_T8_mmmPKNSG_IJT9_bEEE
    .private_segment_fixed_size: 0
    .sgpr_count:     4
    .sgpr_spill_count: 0
    .symbol:         _ZN7rocprim6detail25device_scan_by_key_kernelILNS0_25lookback_scan_determinismE0ELb0ENS0_26wrapped_scan_by_key_configINS_14default_configEiiEEPiN6hipcub22TransformInputIteratorIiNS7_6CastOpIiEES6_lEEPdiNS7_8EqualityENS7_3SumENS0_19lookback_scan_stateINS_5tupleIJibEEELb1ELb1EEEiEEvT2_T3_T4_T5_T6_T7_T8_mmmPKNSG_IJT9_bEEE.kd
    .uniform_work_group_size: 1
    .uses_dynamic_stack: false
    .vgpr_count:     0
    .vgpr_spill_count: 0
    .wavefront_size: 64
  - .args:
      - .address_space:  global
        .offset:         0
        .size:           8
        .value_kind:     global_buffer
      - .offset:         8
        .size:           16
        .value_kind:     by_value
      - .address_space:  global
        .offset:         24
        .size:           8
        .value_kind:     global_buffer
      - .offset:         32
        .size:           4
        .value_kind:     by_value
      - .offset:         36
        .size:           1
        .value_kind:     by_value
      - .offset:         37
        .size:           1
        .value_kind:     by_value
      - .address_space:  global
        .offset:         40
        .size:           8
        .value_kind:     global_buffer
      - .offset:         48
        .size:           8
        .value_kind:     by_value
      - .offset:         56
        .size:           8
        .value_kind:     by_value
      - .offset:         64
        .size:           8
        .value_kind:     by_value
      - .address_space:  global
        .offset:         72
        .size:           8
        .value_kind:     global_buffer
    .group_segment_fixed_size: 17408
    .kernarg_segment_align: 8
    .kernarg_segment_size: 80
    .language:       OpenCL C
    .language_version:
      - 2
      - 0
    .max_flat_workgroup_size: 256
    .name:           _ZN7rocprim6detail25device_scan_by_key_kernelILNS0_25lookback_scan_determinismE0ELb0ENS0_26wrapped_scan_by_key_configINS_14default_configEiiEEPiN6hipcub22TransformInputIteratorIiNS7_6CastOpIiEES6_lEEPdiNS7_8EqualityENS7_3SumENS0_19lookback_scan_stateINS_5tupleIJibEEELb0ELb1EEEiEEvT2_T3_T4_T5_T6_T7_T8_mmmPKNSG_IJT9_bEEE
    .private_segment_fixed_size: 0
    .sgpr_count:     62
    .sgpr_spill_count: 0
    .symbol:         _ZN7rocprim6detail25device_scan_by_key_kernelILNS0_25lookback_scan_determinismE0ELb0ENS0_26wrapped_scan_by_key_configINS_14default_configEiiEEPiN6hipcub22TransformInputIteratorIiNS7_6CastOpIiEES6_lEEPdiNS7_8EqualityENS7_3SumENS0_19lookback_scan_stateINS_5tupleIJibEEELb0ELb1EEEiEEvT2_T3_T4_T5_T6_T7_T8_mmmPKNSG_IJT9_bEEE.kd
    .uniform_work_group_size: 1
    .uses_dynamic_stack: false
    .vgpr_count:     73
    .vgpr_spill_count: 0
    .wavefront_size: 64
  - .args:
      - .address_space:  global
        .offset:         0
        .size:           8
        .value_kind:     global_buffer
      - .offset:         8
        .size:           16
        .value_kind:     by_value
      - .address_space:  global
        .offset:         24
        .size:           8
        .value_kind:     global_buffer
      - .offset:         32
        .size:           2
        .value_kind:     by_value
      - .offset:         34
        .size:           1
        .value_kind:     by_value
      - .offset:         35
        .size:           1
        .value_kind:     by_value
      - .address_space:  global
        .offset:         40
        .size:           8
        .value_kind:     global_buffer
      - .offset:         48
        .size:           8
        .value_kind:     by_value
      - .offset:         56
        .size:           8
        .value_kind:     by_value
      - .offset:         64
        .size:           8
        .value_kind:     by_value
      - .address_space:  global
        .offset:         72
        .size:           8
        .value_kind:     global_buffer
    .group_segment_fixed_size: 0
    .kernarg_segment_align: 8
    .kernarg_segment_size: 80
    .language:       OpenCL C
    .language_version:
      - 2
      - 0
    .max_flat_workgroup_size: 256
    .name:           _ZN7rocprim6detail25device_scan_by_key_kernelILNS0_25lookback_scan_determinismE0ELb0ENS0_26wrapped_scan_by_key_configINS_14default_configEiiEEPiN6hipcub22TransformInputIteratorIsNS7_6CastOpIsEEPslEEPfsNS7_8EqualityENS7_3SumENS0_19lookback_scan_stateINS_5tupleIJibEEELb1ELb1EEEiEEvT2_T3_T4_T5_T6_T7_T8_mmmPKNSH_IJT9_bEEE
    .private_segment_fixed_size: 0
    .sgpr_count:     4
    .sgpr_spill_count: 0
    .symbol:         _ZN7rocprim6detail25device_scan_by_key_kernelILNS0_25lookback_scan_determinismE0ELb0ENS0_26wrapped_scan_by_key_configINS_14default_configEiiEEPiN6hipcub22TransformInputIteratorIsNS7_6CastOpIsEEPslEEPfsNS7_8EqualityENS7_3SumENS0_19lookback_scan_stateINS_5tupleIJibEEELb1ELb1EEEiEEvT2_T3_T4_T5_T6_T7_T8_mmmPKNSH_IJT9_bEEE.kd
    .uniform_work_group_size: 1
    .uses_dynamic_stack: false
    .vgpr_count:     0
    .vgpr_spill_count: 0
    .wavefront_size: 64
  - .args:
      - .address_space:  global
        .offset:         0
        .size:           8
        .value_kind:     global_buffer
      - .offset:         8
        .size:           16
        .value_kind:     by_value
      - .address_space:  global
        .offset:         24
        .size:           8
        .value_kind:     global_buffer
      - .offset:         32
        .size:           2
        .value_kind:     by_value
      - .offset:         34
        .size:           1
        .value_kind:     by_value
      - .offset:         35
        .size:           1
        .value_kind:     by_value
      - .address_space:  global
        .offset:         40
        .size:           8
        .value_kind:     global_buffer
      - .offset:         48
        .size:           8
        .value_kind:     by_value
      - .offset:         56
        .size:           8
        .value_kind:     by_value
      - .offset:         64
        .size:           8
        .value_kind:     by_value
      - .address_space:  global
        .offset:         72
        .size:           8
        .value_kind:     global_buffer
    .group_segment_fixed_size: 17408
    .kernarg_segment_align: 8
    .kernarg_segment_size: 80
    .language:       OpenCL C
    .language_version:
      - 2
      - 0
    .max_flat_workgroup_size: 256
    .name:           _ZN7rocprim6detail25device_scan_by_key_kernelILNS0_25lookback_scan_determinismE0ELb0ENS0_26wrapped_scan_by_key_configINS_14default_configEiiEEPiN6hipcub22TransformInputIteratorIsNS7_6CastOpIsEEPslEEPfsNS7_8EqualityENS7_3SumENS0_19lookback_scan_stateINS_5tupleIJibEEELb0ELb1EEEiEEvT2_T3_T4_T5_T6_T7_T8_mmmPKNSH_IJT9_bEEE
    .private_segment_fixed_size: 0
    .sgpr_count:     62
    .sgpr_spill_count: 0
    .symbol:         _ZN7rocprim6detail25device_scan_by_key_kernelILNS0_25lookback_scan_determinismE0ELb0ENS0_26wrapped_scan_by_key_configINS_14default_configEiiEEPiN6hipcub22TransformInputIteratorIsNS7_6CastOpIsEEPslEEPfsNS7_8EqualityENS7_3SumENS0_19lookback_scan_stateINS_5tupleIJibEEELb0ELb1EEEiEEvT2_T3_T4_T5_T6_T7_T8_mmmPKNSH_IJT9_bEEE.kd
    .uniform_work_group_size: 1
    .uses_dynamic_stack: false
    .vgpr_count:     73
    .vgpr_spill_count: 0
    .wavefront_size: 64
  - .args:
      - .address_space:  global
        .offset:         0
        .size:           8
        .value_kind:     global_buffer
      - .offset:         8
        .size:           4
        .value_kind:     by_value
      - .offset:         12
        .size:           4
        .value_kind:     by_value
      - .address_space:  global
        .offset:         16
        .size:           8
        .value_kind:     global_buffer
      - .offset:         24
        .size:           4
        .value_kind:     hidden_block_count_x
      - .offset:         28
        .size:           4
        .value_kind:     hidden_block_count_y
      - .offset:         32
        .size:           4
        .value_kind:     hidden_block_count_z
      - .offset:         36
        .size:           2
        .value_kind:     hidden_group_size_x
      - .offset:         38
        .size:           2
        .value_kind:     hidden_group_size_y
      - .offset:         40
        .size:           2
        .value_kind:     hidden_group_size_z
      - .offset:         42
        .size:           2
        .value_kind:     hidden_remainder_x
      - .offset:         44
        .size:           2
        .value_kind:     hidden_remainder_y
      - .offset:         46
        .size:           2
        .value_kind:     hidden_remainder_z
      - .offset:         64
        .size:           8
        .value_kind:     hidden_global_offset_x
      - .offset:         72
        .size:           8
        .value_kind:     hidden_global_offset_y
      - .offset:         80
        .size:           8
        .value_kind:     hidden_global_offset_z
      - .offset:         88
        .size:           2
        .value_kind:     hidden_grid_dims
    .group_segment_fixed_size: 0
    .kernarg_segment_align: 8
    .kernarg_segment_size: 280
    .language:       OpenCL C
    .language_version:
      - 2
      - 0
    .max_flat_workgroup_size: 256
    .name:           _ZN7rocprim6detail31init_lookback_scan_state_kernelINS0_19lookback_scan_stateINS_5tupleIJsbEEELb1ELb1EEEEEvT_jjPNS6_10value_typeE
    .private_segment_fixed_size: 0
    .sgpr_count:     16
    .sgpr_spill_count: 0
    .symbol:         _ZN7rocprim6detail31init_lookback_scan_state_kernelINS0_19lookback_scan_stateINS_5tupleIJsbEEELb1ELb1EEEEEvT_jjPNS6_10value_typeE.kd
    .uniform_work_group_size: 1
    .uses_dynamic_stack: false
    .vgpr_count:     6
    .vgpr_spill_count: 0
    .wavefront_size: 64
  - .args:
      - .address_space:  global
        .offset:         0
        .size:           8
        .value_kind:     global_buffer
      - .offset:         8
        .size:           4
        .value_kind:     by_value
      - .offset:         12
        .size:           4
        .value_kind:     by_value
      - .address_space:  global
        .offset:         16
        .size:           8
        .value_kind:     global_buffer
      - .offset:         24
        .size:           4
        .value_kind:     hidden_block_count_x
      - .offset:         28
        .size:           4
        .value_kind:     hidden_block_count_y
      - .offset:         32
        .size:           4
        .value_kind:     hidden_block_count_z
      - .offset:         36
        .size:           2
        .value_kind:     hidden_group_size_x
      - .offset:         38
        .size:           2
        .value_kind:     hidden_group_size_y
      - .offset:         40
        .size:           2
        .value_kind:     hidden_group_size_z
      - .offset:         42
        .size:           2
        .value_kind:     hidden_remainder_x
      - .offset:         44
        .size:           2
        .value_kind:     hidden_remainder_y
      - .offset:         46
        .size:           2
        .value_kind:     hidden_remainder_z
      - .offset:         64
        .size:           8
        .value_kind:     hidden_global_offset_x
      - .offset:         72
        .size:           8
        .value_kind:     hidden_global_offset_y
      - .offset:         80
        .size:           8
        .value_kind:     hidden_global_offset_z
      - .offset:         88
        .size:           2
        .value_kind:     hidden_grid_dims
    .group_segment_fixed_size: 0
    .kernarg_segment_align: 8
    .kernarg_segment_size: 280
    .language:       OpenCL C
    .language_version:
      - 2
      - 0
    .max_flat_workgroup_size: 256
    .name:           _ZN7rocprim6detail31init_lookback_scan_state_kernelINS0_19lookback_scan_stateINS_5tupleIJsbEEELb0ELb1EEEEEvT_jjPNS6_10value_typeE
    .private_segment_fixed_size: 0
    .sgpr_count:     14
    .sgpr_spill_count: 0
    .symbol:         _ZN7rocprim6detail31init_lookback_scan_state_kernelINS0_19lookback_scan_stateINS_5tupleIJsbEEELb0ELb1EEEEEvT_jjPNS6_10value_typeE.kd
    .uniform_work_group_size: 1
    .uses_dynamic_stack: false
    .vgpr_count:     6
    .vgpr_spill_count: 0
    .wavefront_size: 64
  - .args:
      - .address_space:  global
        .offset:         0
        .size:           8
        .value_kind:     global_buffer
      - .offset:         8
        .size:           16
        .value_kind:     by_value
      - .address_space:  global
        .offset:         24
        .size:           8
        .value_kind:     global_buffer
      - .offset:         32
        .size:           2
        .value_kind:     by_value
      - .offset:         34
        .size:           1
        .value_kind:     by_value
      - .offset:         35
        .size:           1
        .value_kind:     by_value
      - .address_space:  global
        .offset:         40
        .size:           8
        .value_kind:     global_buffer
      - .offset:         48
        .size:           8
        .value_kind:     by_value
      - .offset:         56
        .size:           8
        .value_kind:     by_value
      - .offset:         64
        .size:           8
        .value_kind:     by_value
      - .address_space:  global
        .offset:         72
        .size:           8
        .value_kind:     global_buffer
    .group_segment_fixed_size: 0
    .kernarg_segment_align: 8
    .kernarg_segment_size: 80
    .language:       OpenCL C
    .language_version:
      - 2
      - 0
    .max_flat_workgroup_size: 256
    .name:           _ZN7rocprim6detail25device_scan_by_key_kernelILNS0_25lookback_scan_determinismE0ELb0ENS0_26wrapped_scan_by_key_configINS_14default_configEisEEPiN6hipcub22TransformInputIteratorIsNS7_6CastOpIsEEPslEEPfsNS7_8EqualityENS7_3MaxENS0_19lookback_scan_stateINS_5tupleIJsbEEELb1ELb1EEEsEEvT2_T3_T4_T5_T6_T7_T8_mmmPKNSH_IJT9_bEEE
    .private_segment_fixed_size: 0
    .sgpr_count:     4
    .sgpr_spill_count: 0
    .symbol:         _ZN7rocprim6detail25device_scan_by_key_kernelILNS0_25lookback_scan_determinismE0ELb0ENS0_26wrapped_scan_by_key_configINS_14default_configEisEEPiN6hipcub22TransformInputIteratorIsNS7_6CastOpIsEEPslEEPfsNS7_8EqualityENS7_3MaxENS0_19lookback_scan_stateINS_5tupleIJsbEEELb1ELb1EEEsEEvT2_T3_T4_T5_T6_T7_T8_mmmPKNSH_IJT9_bEEE.kd
    .uniform_work_group_size: 1
    .uses_dynamic_stack: false
    .vgpr_count:     0
    .vgpr_spill_count: 0
    .wavefront_size: 64
  - .args:
      - .address_space:  global
        .offset:         0
        .size:           8
        .value_kind:     global_buffer
      - .offset:         8
        .size:           16
        .value_kind:     by_value
      - .address_space:  global
        .offset:         24
        .size:           8
        .value_kind:     global_buffer
      - .offset:         32
        .size:           2
        .value_kind:     by_value
      - .offset:         34
        .size:           1
        .value_kind:     by_value
      - .offset:         35
        .size:           1
        .value_kind:     by_value
      - .address_space:  global
        .offset:         40
        .size:           8
        .value_kind:     global_buffer
      - .offset:         48
        .size:           8
        .value_kind:     by_value
      - .offset:         56
        .size:           8
        .value_kind:     by_value
      - .offset:         64
        .size:           8
        .value_kind:     by_value
      - .address_space:  global
        .offset:         72
        .size:           8
        .value_kind:     global_buffer
    .group_segment_fixed_size: 16384
    .kernarg_segment_align: 8
    .kernarg_segment_size: 80
    .language:       OpenCL C
    .language_version:
      - 2
      - 0
    .max_flat_workgroup_size: 256
    .name:           _ZN7rocprim6detail25device_scan_by_key_kernelILNS0_25lookback_scan_determinismE0ELb0ENS0_26wrapped_scan_by_key_configINS_14default_configEisEEPiN6hipcub22TransformInputIteratorIsNS7_6CastOpIsEEPslEEPfsNS7_8EqualityENS7_3MaxENS0_19lookback_scan_stateINS_5tupleIJsbEEELb0ELb1EEEsEEvT2_T3_T4_T5_T6_T7_T8_mmmPKNSH_IJT9_bEEE
    .private_segment_fixed_size: 0
    .sgpr_count:     58
    .sgpr_spill_count: 0
    .symbol:         _ZN7rocprim6detail25device_scan_by_key_kernelILNS0_25lookback_scan_determinismE0ELb0ENS0_26wrapped_scan_by_key_configINS_14default_configEisEEPiN6hipcub22TransformInputIteratorIsNS7_6CastOpIsEEPslEEPfsNS7_8EqualityENS7_3MaxENS0_19lookback_scan_stateINS_5tupleIJsbEEELb0ELb1EEEsEEvT2_T3_T4_T5_T6_T7_T8_mmmPKNSH_IJT9_bEEE.kd
    .uniform_work_group_size: 1
    .uses_dynamic_stack: false
    .vgpr_count:     48
    .vgpr_spill_count: 0
    .wavefront_size: 64
  - .args:
      - .offset:         0
        .size:           24
        .value_kind:     by_value
      - .offset:         24
        .size:           4
        .value_kind:     by_value
      - .offset:         28
        .size:           4
        .value_kind:     by_value
      - .address_space:  global
        .offset:         32
        .size:           8
        .value_kind:     global_buffer
      - .offset:         40
        .size:           4
        .value_kind:     hidden_block_count_x
      - .offset:         44
        .size:           4
        .value_kind:     hidden_block_count_y
      - .offset:         48
        .size:           4
        .value_kind:     hidden_block_count_z
      - .offset:         52
        .size:           2
        .value_kind:     hidden_group_size_x
      - .offset:         54
        .size:           2
        .value_kind:     hidden_group_size_y
      - .offset:         56
        .size:           2
        .value_kind:     hidden_group_size_z
      - .offset:         58
        .size:           2
        .value_kind:     hidden_remainder_x
      - .offset:         60
        .size:           2
        .value_kind:     hidden_remainder_y
      - .offset:         62
        .size:           2
        .value_kind:     hidden_remainder_z
      - .offset:         80
        .size:           8
        .value_kind:     hidden_global_offset_x
      - .offset:         88
        .size:           8
        .value_kind:     hidden_global_offset_y
      - .offset:         96
        .size:           8
        .value_kind:     hidden_global_offset_z
      - .offset:         104
        .size:           2
        .value_kind:     hidden_grid_dims
    .group_segment_fixed_size: 0
    .kernarg_segment_align: 8
    .kernarg_segment_size: 296
    .language:       OpenCL C
    .language_version:
      - 2
      - 0
    .max_flat_workgroup_size: 256
    .name:           _ZN7rocprim6detail31init_lookback_scan_state_kernelINS0_19lookback_scan_stateINS_5tupleIJmbEEELb1ELb0EEEEEvT_jjPNS6_10value_typeE
    .private_segment_fixed_size: 0
    .sgpr_count:     22
    .sgpr_spill_count: 0
    .symbol:         _ZN7rocprim6detail31init_lookback_scan_state_kernelINS0_19lookback_scan_stateINS_5tupleIJmbEEELb1ELb0EEEEEvT_jjPNS6_10value_typeE.kd
    .uniform_work_group_size: 1
    .uses_dynamic_stack: false
    .vgpr_count:     5
    .vgpr_spill_count: 0
    .wavefront_size: 64
  - .args:
      - .offset:         0
        .size:           24
        .value_kind:     by_value
      - .offset:         24
        .size:           4
        .value_kind:     by_value
      - .offset:         28
        .size:           4
        .value_kind:     by_value
      - .address_space:  global
        .offset:         32
        .size:           8
        .value_kind:     global_buffer
      - .offset:         40
        .size:           4
        .value_kind:     hidden_block_count_x
      - .offset:         44
        .size:           4
        .value_kind:     hidden_block_count_y
      - .offset:         48
        .size:           4
        .value_kind:     hidden_block_count_z
      - .offset:         52
        .size:           2
        .value_kind:     hidden_group_size_x
      - .offset:         54
        .size:           2
        .value_kind:     hidden_group_size_y
      - .offset:         56
        .size:           2
        .value_kind:     hidden_group_size_z
      - .offset:         58
        .size:           2
        .value_kind:     hidden_remainder_x
      - .offset:         60
        .size:           2
        .value_kind:     hidden_remainder_y
      - .offset:         62
        .size:           2
        .value_kind:     hidden_remainder_z
      - .offset:         80
        .size:           8
        .value_kind:     hidden_global_offset_x
      - .offset:         88
        .size:           8
        .value_kind:     hidden_global_offset_y
      - .offset:         96
        .size:           8
        .value_kind:     hidden_global_offset_z
      - .offset:         104
        .size:           2
        .value_kind:     hidden_grid_dims
    .group_segment_fixed_size: 0
    .kernarg_segment_align: 8
    .kernarg_segment_size: 296
    .language:       OpenCL C
    .language_version:
      - 2
      - 0
    .max_flat_workgroup_size: 256
    .name:           _ZN7rocprim6detail31init_lookback_scan_state_kernelINS0_19lookback_scan_stateINS_5tupleIJmbEEELb0ELb0EEEEEvT_jjPNS6_10value_typeE
    .private_segment_fixed_size: 0
    .sgpr_count:     22
    .sgpr_spill_count: 0
    .symbol:         _ZN7rocprim6detail31init_lookback_scan_state_kernelINS0_19lookback_scan_stateINS_5tupleIJmbEEELb0ELb0EEEEEvT_jjPNS6_10value_typeE.kd
    .uniform_work_group_size: 1
    .uses_dynamic_stack: false
    .vgpr_count:     5
    .vgpr_spill_count: 0
    .wavefront_size: 64
  - .args:
      - .address_space:  global
        .offset:         0
        .size:           8
        .value_kind:     global_buffer
      - .offset:         8
        .size:           16
        .value_kind:     by_value
      - .address_space:  global
        .offset:         24
        .size:           8
        .value_kind:     global_buffer
      - .offset:         32
        .size:           8
        .value_kind:     by_value
      - .offset:         40
        .size:           1
        .value_kind:     by_value
      - .offset:         41
        .size:           1
        .value_kind:     by_value
      - .offset:         48
        .size:           24
        .value_kind:     by_value
      - .offset:         72
        .size:           8
        .value_kind:     by_value
      - .offset:         80
        .size:           8
        .value_kind:     by_value
      - .offset:         88
        .size:           8
        .value_kind:     by_value
      - .address_space:  global
        .offset:         96
        .size:           8
        .value_kind:     global_buffer
    .group_segment_fixed_size: 0
    .kernarg_segment_align: 8
    .kernarg_segment_size: 104
    .language:       OpenCL C
    .language_version:
      - 2
      - 0
    .max_flat_workgroup_size: 64
    .name:           _ZN7rocprim6detail25device_scan_by_key_kernelILNS0_25lookback_scan_determinismE0ELb0ENS0_26wrapped_scan_by_key_configINS_14default_configEimEEPiN6hipcub22TransformInputIteratorImNS7_6CastOpImEEPmlEESB_mNS7_8EqualityENS7_3SumENS0_19lookback_scan_stateINS_5tupleIJmbEEELb1ELb0EEEmEEvT2_T3_T4_T5_T6_T7_T8_mmmPKNSG_IJT9_bEEE
    .private_segment_fixed_size: 0
    .sgpr_count:     4
    .sgpr_spill_count: 0
    .symbol:         _ZN7rocprim6detail25device_scan_by_key_kernelILNS0_25lookback_scan_determinismE0ELb0ENS0_26wrapped_scan_by_key_configINS_14default_configEimEEPiN6hipcub22TransformInputIteratorImNS7_6CastOpImEEPmlEESB_mNS7_8EqualityENS7_3SumENS0_19lookback_scan_stateINS_5tupleIJmbEEELb1ELb0EEEmEEvT2_T3_T4_T5_T6_T7_T8_mmmPKNSG_IJT9_bEEE.kd
    .uniform_work_group_size: 1
    .uses_dynamic_stack: false
    .vgpr_count:     0
    .vgpr_spill_count: 0
    .wavefront_size: 64
  - .args:
      - .address_space:  global
        .offset:         0
        .size:           8
        .value_kind:     global_buffer
      - .offset:         8
        .size:           16
        .value_kind:     by_value
      - .address_space:  global
        .offset:         24
        .size:           8
        .value_kind:     global_buffer
      - .offset:         32
        .size:           8
        .value_kind:     by_value
      - .offset:         40
        .size:           1
        .value_kind:     by_value
      - .offset:         41
        .size:           1
        .value_kind:     by_value
      - .offset:         48
        .size:           24
        .value_kind:     by_value
      - .offset:         72
        .size:           8
        .value_kind:     by_value
      - .offset:         80
        .size:           8
        .value_kind:     by_value
      - .offset:         88
        .size:           8
        .value_kind:     by_value
      - .address_space:  global
        .offset:         96
        .size:           8
        .value_kind:     global_buffer
    .group_segment_fixed_size: 7680
    .kernarg_segment_align: 8
    .kernarg_segment_size: 104
    .language:       OpenCL C
    .language_version:
      - 2
      - 0
    .max_flat_workgroup_size: 64
    .name:           _ZN7rocprim6detail25device_scan_by_key_kernelILNS0_25lookback_scan_determinismE0ELb0ENS0_26wrapped_scan_by_key_configINS_14default_configEimEEPiN6hipcub22TransformInputIteratorImNS7_6CastOpImEEPmlEESB_mNS7_8EqualityENS7_3SumENS0_19lookback_scan_stateINS_5tupleIJmbEEELb0ELb0EEEmEEvT2_T3_T4_T5_T6_T7_T8_mmmPKNSG_IJT9_bEEE
    .private_segment_fixed_size: 0
    .sgpr_count:     82
    .sgpr_spill_count: 0
    .symbol:         _ZN7rocprim6detail25device_scan_by_key_kernelILNS0_25lookback_scan_determinismE0ELb0ENS0_26wrapped_scan_by_key_configINS_14default_configEimEEPiN6hipcub22TransformInputIteratorImNS7_6CastOpImEEPmlEESB_mNS7_8EqualityENS7_3SumENS0_19lookback_scan_stateINS_5tupleIJmbEEELb0ELb0EEEmEEvT2_T3_T4_T5_T6_T7_T8_mmmPKNSG_IJT9_bEEE.kd
    .uniform_work_group_size: 1
    .uses_dynamic_stack: false
    .vgpr_count:     103
    .vgpr_spill_count: 0
    .wavefront_size: 64
  - .args:
      - .offset:         0
        .size:           24
        .value_kind:     by_value
      - .offset:         24
        .size:           4
        .value_kind:     by_value
      - .offset:         28
        .size:           4
        .value_kind:     by_value
      - .address_space:  global
        .offset:         32
        .size:           8
        .value_kind:     global_buffer
      - .offset:         40
        .size:           4
        .value_kind:     hidden_block_count_x
      - .offset:         44
        .size:           4
        .value_kind:     hidden_block_count_y
      - .offset:         48
        .size:           4
        .value_kind:     hidden_block_count_z
      - .offset:         52
        .size:           2
        .value_kind:     hidden_group_size_x
      - .offset:         54
        .size:           2
        .value_kind:     hidden_group_size_y
      - .offset:         56
        .size:           2
        .value_kind:     hidden_group_size_z
      - .offset:         58
        .size:           2
        .value_kind:     hidden_remainder_x
      - .offset:         60
        .size:           2
        .value_kind:     hidden_remainder_y
      - .offset:         62
        .size:           2
        .value_kind:     hidden_remainder_z
      - .offset:         80
        .size:           8
        .value_kind:     hidden_global_offset_x
      - .offset:         88
        .size:           8
        .value_kind:     hidden_global_offset_y
      - .offset:         96
        .size:           8
        .value_kind:     hidden_global_offset_z
      - .offset:         104
        .size:           2
        .value_kind:     hidden_grid_dims
    .group_segment_fixed_size: 0
    .kernarg_segment_align: 8
    .kernarg_segment_size: 296
    .language:       OpenCL C
    .language_version:
      - 2
      - 0
    .max_flat_workgroup_size: 256
    .name:           _ZN7rocprim6detail31init_lookback_scan_state_kernelINS0_19lookback_scan_stateINS_5tupleIJybEEELb1ELb0EEEEEvT_jjPNS6_10value_typeE
    .private_segment_fixed_size: 0
    .sgpr_count:     22
    .sgpr_spill_count: 0
    .symbol:         _ZN7rocprim6detail31init_lookback_scan_state_kernelINS0_19lookback_scan_stateINS_5tupleIJybEEELb1ELb0EEEEEvT_jjPNS6_10value_typeE.kd
    .uniform_work_group_size: 1
    .uses_dynamic_stack: false
    .vgpr_count:     5
    .vgpr_spill_count: 0
    .wavefront_size: 64
  - .args:
      - .offset:         0
        .size:           24
        .value_kind:     by_value
      - .offset:         24
        .size:           4
        .value_kind:     by_value
      - .offset:         28
        .size:           4
        .value_kind:     by_value
      - .address_space:  global
        .offset:         32
        .size:           8
        .value_kind:     global_buffer
      - .offset:         40
        .size:           4
        .value_kind:     hidden_block_count_x
      - .offset:         44
        .size:           4
        .value_kind:     hidden_block_count_y
      - .offset:         48
        .size:           4
        .value_kind:     hidden_block_count_z
      - .offset:         52
        .size:           2
        .value_kind:     hidden_group_size_x
      - .offset:         54
        .size:           2
        .value_kind:     hidden_group_size_y
      - .offset:         56
        .size:           2
        .value_kind:     hidden_group_size_z
      - .offset:         58
        .size:           2
        .value_kind:     hidden_remainder_x
      - .offset:         60
        .size:           2
        .value_kind:     hidden_remainder_y
      - .offset:         62
        .size:           2
        .value_kind:     hidden_remainder_z
      - .offset:         80
        .size:           8
        .value_kind:     hidden_global_offset_x
      - .offset:         88
        .size:           8
        .value_kind:     hidden_global_offset_y
      - .offset:         96
        .size:           8
        .value_kind:     hidden_global_offset_z
      - .offset:         104
        .size:           2
        .value_kind:     hidden_grid_dims
    .group_segment_fixed_size: 0
    .kernarg_segment_align: 8
    .kernarg_segment_size: 296
    .language:       OpenCL C
    .language_version:
      - 2
      - 0
    .max_flat_workgroup_size: 256
    .name:           _ZN7rocprim6detail31init_lookback_scan_state_kernelINS0_19lookback_scan_stateINS_5tupleIJybEEELb0ELb0EEEEEvT_jjPNS6_10value_typeE
    .private_segment_fixed_size: 0
    .sgpr_count:     22
    .sgpr_spill_count: 0
    .symbol:         _ZN7rocprim6detail31init_lookback_scan_state_kernelINS0_19lookback_scan_stateINS_5tupleIJybEEELb0ELb0EEEEEvT_jjPNS6_10value_typeE.kd
    .uniform_work_group_size: 1
    .uses_dynamic_stack: false
    .vgpr_count:     5
    .vgpr_spill_count: 0
    .wavefront_size: 64
  - .args:
      - .address_space:  global
        .offset:         0
        .size:           8
        .value_kind:     global_buffer
      - .offset:         8
        .size:           16
        .value_kind:     by_value
      - .address_space:  global
        .offset:         24
        .size:           8
        .value_kind:     global_buffer
      - .offset:         32
        .size:           8
        .value_kind:     by_value
      - .offset:         40
        .size:           1
        .value_kind:     by_value
      - .offset:         41
        .size:           1
        .value_kind:     by_value
      - .offset:         48
        .size:           24
        .value_kind:     by_value
      - .offset:         72
        .size:           8
        .value_kind:     by_value
      - .offset:         80
        .size:           8
        .value_kind:     by_value
      - .offset:         88
        .size:           8
        .value_kind:     by_value
      - .address_space:  global
        .offset:         96
        .size:           8
        .value_kind:     global_buffer
    .group_segment_fixed_size: 0
    .kernarg_segment_align: 8
    .kernarg_segment_size: 104
    .language:       OpenCL C
    .language_version:
      - 2
      - 0
    .max_flat_workgroup_size: 64
    .name:           _ZN7rocprim6detail25device_scan_by_key_kernelILNS0_25lookback_scan_determinismE0ELb0ENS0_26wrapped_scan_by_key_configINS_14default_configEiyEEPiN6hipcub22TransformInputIteratorIyNS7_6CastOpIyEEPylEESB_yNS7_8EqualityENS7_3SumENS0_19lookback_scan_stateINS_5tupleIJybEEELb1ELb0EEEyEEvT2_T3_T4_T5_T6_T7_T8_mmmPKNSG_IJT9_bEEE
    .private_segment_fixed_size: 0
    .sgpr_count:     4
    .sgpr_spill_count: 0
    .symbol:         _ZN7rocprim6detail25device_scan_by_key_kernelILNS0_25lookback_scan_determinismE0ELb0ENS0_26wrapped_scan_by_key_configINS_14default_configEiyEEPiN6hipcub22TransformInputIteratorIyNS7_6CastOpIyEEPylEESB_yNS7_8EqualityENS7_3SumENS0_19lookback_scan_stateINS_5tupleIJybEEELb1ELb0EEEyEEvT2_T3_T4_T5_T6_T7_T8_mmmPKNSG_IJT9_bEEE.kd
    .uniform_work_group_size: 1
    .uses_dynamic_stack: false
    .vgpr_count:     0
    .vgpr_spill_count: 0
    .wavefront_size: 64
  - .args:
      - .address_space:  global
        .offset:         0
        .size:           8
        .value_kind:     global_buffer
      - .offset:         8
        .size:           16
        .value_kind:     by_value
      - .address_space:  global
        .offset:         24
        .size:           8
        .value_kind:     global_buffer
      - .offset:         32
        .size:           8
        .value_kind:     by_value
      - .offset:         40
        .size:           1
        .value_kind:     by_value
      - .offset:         41
        .size:           1
        .value_kind:     by_value
      - .offset:         48
        .size:           24
        .value_kind:     by_value
      - .offset:         72
        .size:           8
        .value_kind:     by_value
      - .offset:         80
        .size:           8
        .value_kind:     by_value
      - .offset:         88
        .size:           8
        .value_kind:     by_value
      - .address_space:  global
        .offset:         96
        .size:           8
        .value_kind:     global_buffer
    .group_segment_fixed_size: 7680
    .kernarg_segment_align: 8
    .kernarg_segment_size: 104
    .language:       OpenCL C
    .language_version:
      - 2
      - 0
    .max_flat_workgroup_size: 64
    .name:           _ZN7rocprim6detail25device_scan_by_key_kernelILNS0_25lookback_scan_determinismE0ELb0ENS0_26wrapped_scan_by_key_configINS_14default_configEiyEEPiN6hipcub22TransformInputIteratorIyNS7_6CastOpIyEEPylEESB_yNS7_8EqualityENS7_3SumENS0_19lookback_scan_stateINS_5tupleIJybEEELb0ELb0EEEyEEvT2_T3_T4_T5_T6_T7_T8_mmmPKNSG_IJT9_bEEE
    .private_segment_fixed_size: 0
    .sgpr_count:     82
    .sgpr_spill_count: 0
    .symbol:         _ZN7rocprim6detail25device_scan_by_key_kernelILNS0_25lookback_scan_determinismE0ELb0ENS0_26wrapped_scan_by_key_configINS_14default_configEiyEEPiN6hipcub22TransformInputIteratorIyNS7_6CastOpIyEEPylEESB_yNS7_8EqualityENS7_3SumENS0_19lookback_scan_stateINS_5tupleIJybEEELb0ELb0EEEyEEvT2_T3_T4_T5_T6_T7_T8_mmmPKNSG_IJT9_bEEE.kd
    .uniform_work_group_size: 1
    .uses_dynamic_stack: false
    .vgpr_count:     103
    .vgpr_spill_count: 0
    .wavefront_size: 64
  - .args:
      - .address_space:  global
        .offset:         0
        .size:           8
        .value_kind:     global_buffer
      - .offset:         8
        .size:           16
        .value_kind:     by_value
      - .address_space:  global
        .offset:         24
        .size:           8
        .value_kind:     global_buffer
      - .offset:         32
        .size:           8
        .value_kind:     by_value
      - .offset:         40
        .size:           1
        .value_kind:     by_value
      - .offset:         41
        .size:           1
        .value_kind:     by_value
      - .offset:         48
        .size:           24
        .value_kind:     by_value
      - .offset:         72
        .size:           8
        .value_kind:     by_value
      - .offset:         80
        .size:           8
        .value_kind:     by_value
      - .offset:         88
        .size:           8
        .value_kind:     by_value
      - .address_space:  global
        .offset:         96
        .size:           8
        .value_kind:     global_buffer
    .group_segment_fixed_size: 0
    .kernarg_segment_align: 8
    .kernarg_segment_size: 104
    .language:       OpenCL C
    .language_version:
      - 2
      - 0
    .max_flat_workgroup_size: 64
    .name:           _ZN7rocprim6detail25device_scan_by_key_kernelILNS0_25lookback_scan_determinismE0ELb0ENS0_26wrapped_scan_by_key_configINS_14default_configEiyEEPiN6hipcub22TransformInputIteratorIyNS7_6CastOpIyEEPylEESB_yNS7_8EqualityENS7_3MinENS0_19lookback_scan_stateINS_5tupleIJybEEELb1ELb0EEEyEEvT2_T3_T4_T5_T6_T7_T8_mmmPKNSG_IJT9_bEEE
    .private_segment_fixed_size: 0
    .sgpr_count:     4
    .sgpr_spill_count: 0
    .symbol:         _ZN7rocprim6detail25device_scan_by_key_kernelILNS0_25lookback_scan_determinismE0ELb0ENS0_26wrapped_scan_by_key_configINS_14default_configEiyEEPiN6hipcub22TransformInputIteratorIyNS7_6CastOpIyEEPylEESB_yNS7_8EqualityENS7_3MinENS0_19lookback_scan_stateINS_5tupleIJybEEELb1ELb0EEEyEEvT2_T3_T4_T5_T6_T7_T8_mmmPKNSG_IJT9_bEEE.kd
    .uniform_work_group_size: 1
    .uses_dynamic_stack: false
    .vgpr_count:     0
    .vgpr_spill_count: 0
    .wavefront_size: 64
  - .args:
      - .address_space:  global
        .offset:         0
        .size:           8
        .value_kind:     global_buffer
      - .offset:         8
        .size:           16
        .value_kind:     by_value
      - .address_space:  global
        .offset:         24
        .size:           8
        .value_kind:     global_buffer
      - .offset:         32
        .size:           8
        .value_kind:     by_value
      - .offset:         40
        .size:           1
        .value_kind:     by_value
      - .offset:         41
        .size:           1
        .value_kind:     by_value
      - .offset:         48
        .size:           24
        .value_kind:     by_value
      - .offset:         72
        .size:           8
        .value_kind:     by_value
      - .offset:         80
        .size:           8
        .value_kind:     by_value
      - .offset:         88
        .size:           8
        .value_kind:     by_value
      - .address_space:  global
        .offset:         96
        .size:           8
        .value_kind:     global_buffer
    .group_segment_fixed_size: 7680
    .kernarg_segment_align: 8
    .kernarg_segment_size: 104
    .language:       OpenCL C
    .language_version:
      - 2
      - 0
    .max_flat_workgroup_size: 64
    .name:           _ZN7rocprim6detail25device_scan_by_key_kernelILNS0_25lookback_scan_determinismE0ELb0ENS0_26wrapped_scan_by_key_configINS_14default_configEiyEEPiN6hipcub22TransformInputIteratorIyNS7_6CastOpIyEEPylEESB_yNS7_8EqualityENS7_3MinENS0_19lookback_scan_stateINS_5tupleIJybEEELb0ELb0EEEyEEvT2_T3_T4_T5_T6_T7_T8_mmmPKNSG_IJT9_bEEE
    .private_segment_fixed_size: 0
    .sgpr_count:     82
    .sgpr_spill_count: 0
    .symbol:         _ZN7rocprim6detail25device_scan_by_key_kernelILNS0_25lookback_scan_determinismE0ELb0ENS0_26wrapped_scan_by_key_configINS_14default_configEiyEEPiN6hipcub22TransformInputIteratorIyNS7_6CastOpIyEEPylEESB_yNS7_8EqualityENS7_3MinENS0_19lookback_scan_stateINS_5tupleIJybEEELb0ELb0EEEyEEvT2_T3_T4_T5_T6_T7_T8_mmmPKNSG_IJT9_bEEE.kd
    .uniform_work_group_size: 1
    .uses_dynamic_stack: false
    .vgpr_count:     103
    .vgpr_spill_count: 0
    .wavefront_size: 64
  - .args:
      - .offset:         0
        .size:           16
        .value_kind:     by_value
      - .address_space:  global
        .offset:         16
        .size:           8
        .value_kind:     global_buffer
      - .offset:         24
        .size:           8
        .value_kind:     by_value
      - .offset:         32
        .size:           4
        .value_kind:     by_value
      - .offset:         36
        .size:           1
        .value_kind:     by_value
      - .address_space:  global
        .offset:         40
        .size:           8
        .value_kind:     global_buffer
      - .offset:         48
        .size:           4
        .value_kind:     by_value
      - .address_space:  global
        .offset:         56
        .size:           8
        .value_kind:     global_buffer
      - .address_space:  global
        .offset:         64
        .size:           8
        .value_kind:     global_buffer
      - .offset:         72
        .size:           1
        .value_kind:     by_value
      - .offset:         73
        .size:           1
        .value_kind:     by_value
    .group_segment_fixed_size: 0
    .kernarg_segment_align: 8
    .kernarg_segment_size: 76
    .language:       OpenCL C
    .language_version:
      - 2
      - 0
    .max_flat_workgroup_size: 256
    .name:           _ZN7rocprim6detail20lookback_scan_kernelILNS0_25lookback_scan_determinismE0ELb1ENS0_19wrapped_scan_configINS_14default_configEiEEN6hipcub22TransformInputIteratorIiNS6_6CastOpIiEEPilEEPlNS6_3SumEiiNS0_19lookback_scan_stateIiLb1ELb1EEEEEvT2_T3_mT5_T4_T7_jPT6_SM_bb
    .private_segment_fixed_size: 0
    .sgpr_count:     4
    .sgpr_spill_count: 0
    .symbol:         _ZN7rocprim6detail20lookback_scan_kernelILNS0_25lookback_scan_determinismE0ELb1ENS0_19wrapped_scan_configINS_14default_configEiEEN6hipcub22TransformInputIteratorIiNS6_6CastOpIiEEPilEEPlNS6_3SumEiiNS0_19lookback_scan_stateIiLb1ELb1EEEEEvT2_T3_mT5_T4_T7_jPT6_SM_bb.kd
    .uniform_work_group_size: 1
    .uses_dynamic_stack: false
    .vgpr_count:     0
    .vgpr_spill_count: 0
    .wavefront_size: 64
  - .args:
      - .offset:         0
        .size:           16
        .value_kind:     by_value
      - .address_space:  global
        .offset:         16
        .size:           8
        .value_kind:     global_buffer
      - .offset:         24
        .size:           8
        .value_kind:     by_value
      - .offset:         32
        .size:           4
        .value_kind:     by_value
      - .offset:         36
        .size:           1
        .value_kind:     by_value
      - .address_space:  global
        .offset:         40
        .size:           8
        .value_kind:     global_buffer
      - .offset:         48
        .size:           4
        .value_kind:     by_value
      - .address_space:  global
        .offset:         56
        .size:           8
        .value_kind:     global_buffer
      - .address_space:  global
        .offset:         64
        .size:           8
        .value_kind:     global_buffer
      - .offset:         72
        .size:           1
        .value_kind:     by_value
      - .offset:         73
        .size:           1
        .value_kind:     by_value
    .group_segment_fixed_size: 15360
    .kernarg_segment_align: 8
    .kernarg_segment_size: 76
    .language:       OpenCL C
    .language_version:
      - 2
      - 0
    .max_flat_workgroup_size: 256
    .name:           _ZN7rocprim6detail20lookback_scan_kernelILNS0_25lookback_scan_determinismE0ELb1ENS0_19wrapped_scan_configINS_14default_configEiEEN6hipcub22TransformInputIteratorIiNS6_6CastOpIiEEPilEEPlNS6_3SumEiiNS0_19lookback_scan_stateIiLb0ELb1EEEEEvT2_T3_mT5_T4_T7_jPT6_SM_bb
    .private_segment_fixed_size: 0
    .sgpr_count:     38
    .sgpr_spill_count: 0
    .symbol:         _ZN7rocprim6detail20lookback_scan_kernelILNS0_25lookback_scan_determinismE0ELb1ENS0_19wrapped_scan_configINS_14default_configEiEEN6hipcub22TransformInputIteratorIiNS6_6CastOpIiEEPilEEPlNS6_3SumEiiNS0_19lookback_scan_stateIiLb0ELb1EEEEEvT2_T3_mT5_T4_T7_jPT6_SM_bb.kd
    .uniform_work_group_size: 1
    .uses_dynamic_stack: false
    .vgpr_count:     53
    .vgpr_spill_count: 0
    .wavefront_size: 64
  - .args:
      - .offset:         0
        .size:           16
        .value_kind:     by_value
      - .offset:         16
        .size:           8
        .value_kind:     by_value
      - .offset:         24
        .size:           4
        .value_kind:     by_value
      - .address_space:  global
        .offset:         32
        .size:           8
        .value_kind:     global_buffer
      - .offset:         40
        .size:           1
        .value_kind:     by_value
    .group_segment_fixed_size: 15360
    .kernarg_segment_align: 8
    .kernarg_segment_size: 44
    .language:       OpenCL C
    .language_version:
      - 2
      - 0
    .max_flat_workgroup_size: 256
    .name:           _ZN7rocprim6detail18single_scan_kernelILb1ENS0_19wrapped_scan_configINS_14default_configEiEEN6hipcub22TransformInputIteratorIiNS5_6CastOpIiEEPilEEPlNS5_3SumEiiEEvT1_mT4_T2_T3_
    .private_segment_fixed_size: 0
    .sgpr_count:     40
    .sgpr_spill_count: 0
    .symbol:         _ZN7rocprim6detail18single_scan_kernelILb1ENS0_19wrapped_scan_configINS_14default_configEiEEN6hipcub22TransformInputIteratorIiNS5_6CastOpIiEEPilEEPlNS5_3SumEiiEEvT1_mT4_T2_T3_.kd
    .uniform_work_group_size: 1
    .uses_dynamic_stack: false
    .vgpr_count:     26
    .vgpr_spill_count: 0
    .wavefront_size: 64
  - .args:
      - .address_space:  global
        .offset:         0
        .size:           8
        .value_kind:     global_buffer
      - .address_space:  global
        .offset:         8
        .size:           8
        .value_kind:     global_buffer
      - .offset:         16
        .size:           8
        .value_kind:     by_value
      - .offset:         24
        .size:           2
        .value_kind:     by_value
      - .offset:         26
        .size:           1
        .value_kind:     by_value
      - .address_space:  global
        .offset:         32
        .size:           8
        .value_kind:     global_buffer
      - .offset:         40
        .size:           4
        .value_kind:     by_value
      - .address_space:  global
        .offset:         48
        .size:           8
        .value_kind:     global_buffer
      - .address_space:  global
        .offset:         56
        .size:           8
        .value_kind:     global_buffer
      - .offset:         64
        .size:           1
        .value_kind:     by_value
      - .offset:         65
        .size:           1
        .value_kind:     by_value
    .group_segment_fixed_size: 0
    .kernarg_segment_align: 8
    .kernarg_segment_size: 68
    .language:       OpenCL C
    .language_version:
      - 2
      - 0
    .max_flat_workgroup_size: 256
    .name:           _ZN7rocprim6detail20lookback_scan_kernelILNS0_25lookback_scan_determinismE0ELb1ENS0_19wrapped_scan_configINS_14default_configE6__halfEEPS5_S7_N6hipcub3MaxES5_S5_NS0_19lookback_scan_stateIS5_Lb1ELb1EEEEEvT2_T3_mT5_T4_T7_jPT6_SI_bb
    .private_segment_fixed_size: 0
    .sgpr_count:     4
    .sgpr_spill_count: 0
    .symbol:         _ZN7rocprim6detail20lookback_scan_kernelILNS0_25lookback_scan_determinismE0ELb1ENS0_19wrapped_scan_configINS_14default_configE6__halfEEPS5_S7_N6hipcub3MaxES5_S5_NS0_19lookback_scan_stateIS5_Lb1ELb1EEEEEvT2_T3_mT5_T4_T7_jPT6_SI_bb.kd
    .uniform_work_group_size: 1
    .uses_dynamic_stack: false
    .vgpr_count:     0
    .vgpr_spill_count: 0
    .wavefront_size: 64
  - .args:
      - .address_space:  global
        .offset:         0
        .size:           8
        .value_kind:     global_buffer
      - .address_space:  global
        .offset:         8
        .size:           8
        .value_kind:     global_buffer
      - .offset:         16
        .size:           8
        .value_kind:     by_value
      - .offset:         24
        .size:           2
        .value_kind:     by_value
      - .offset:         26
        .size:           1
        .value_kind:     by_value
      - .address_space:  global
        .offset:         32
        .size:           8
        .value_kind:     global_buffer
      - .offset:         40
        .size:           4
        .value_kind:     by_value
      - .address_space:  global
        .offset:         48
        .size:           8
        .value_kind:     global_buffer
      - .address_space:  global
        .offset:         56
        .size:           8
        .value_kind:     global_buffer
      - .offset:         64
        .size:           1
        .value_kind:     by_value
      - .offset:         65
        .size:           1
        .value_kind:     by_value
    .group_segment_fixed_size: 12288
    .kernarg_segment_align: 8
    .kernarg_segment_size: 68
    .language:       OpenCL C
    .language_version:
      - 2
      - 0
    .max_flat_workgroup_size: 256
    .name:           _ZN7rocprim6detail20lookback_scan_kernelILNS0_25lookback_scan_determinismE0ELb1ENS0_19wrapped_scan_configINS_14default_configE6__halfEEPS5_S7_N6hipcub3MaxES5_S5_NS0_19lookback_scan_stateIS5_Lb0ELb1EEEEEvT2_T3_mT5_T4_T7_jPT6_SI_bb
    .private_segment_fixed_size: 0
    .sgpr_count:     30
    .sgpr_spill_count: 0
    .symbol:         _ZN7rocprim6detail20lookback_scan_kernelILNS0_25lookback_scan_determinismE0ELb1ENS0_19wrapped_scan_configINS_14default_configE6__halfEEPS5_S7_N6hipcub3MaxES5_S5_NS0_19lookback_scan_stateIS5_Lb0ELb1EEEEEvT2_T3_mT5_T4_T7_jPT6_SI_bb.kd
    .uniform_work_group_size: 1
    .uses_dynamic_stack: false
    .vgpr_count:     57
    .vgpr_spill_count: 0
    .wavefront_size: 64
  - .args:
      - .address_space:  global
        .offset:         0
        .size:           8
        .value_kind:     global_buffer
      - .offset:         8
        .size:           8
        .value_kind:     by_value
      - .offset:         16
        .size:           2
        .value_kind:     by_value
      - .address_space:  global
        .offset:         24
        .size:           8
        .value_kind:     global_buffer
      - .offset:         32
        .size:           1
        .value_kind:     by_value
    .group_segment_fixed_size: 12288
    .kernarg_segment_align: 8
    .kernarg_segment_size: 36
    .language:       OpenCL C
    .language_version:
      - 2
      - 0
    .max_flat_workgroup_size: 256
    .name:           _ZN7rocprim6detail18single_scan_kernelILb1ENS0_19wrapped_scan_configINS_14default_configE6__halfEEPS4_S6_N6hipcub3MaxES4_S4_EEvT1_mT4_T2_T3_
    .private_segment_fixed_size: 0
    .sgpr_count:     60
    .sgpr_spill_count: 0
    .symbol:         _ZN7rocprim6detail18single_scan_kernelILb1ENS0_19wrapped_scan_configINS_14default_configE6__halfEEPS4_S6_N6hipcub3MaxES4_S4_EEvT1_mT4_T2_T3_.kd
    .uniform_work_group_size: 1
    .uses_dynamic_stack: false
    .vgpr_count:     31
    .vgpr_spill_count: 0
    .wavefront_size: 64
  - .args:
      - .address_space:  global
        .offset:         0
        .size:           8
        .value_kind:     global_buffer
      - .address_space:  global
        .offset:         8
        .size:           8
        .value_kind:     global_buffer
      - .offset:         16
        .size:           8
        .value_kind:     by_value
      - .offset:         24
        .size:           2
        .value_kind:     by_value
      - .offset:         26
        .size:           1
        .value_kind:     by_value
      - .address_space:  global
        .offset:         32
        .size:           8
        .value_kind:     global_buffer
      - .offset:         40
        .size:           4
        .value_kind:     by_value
      - .address_space:  global
        .offset:         48
        .size:           8
        .value_kind:     global_buffer
      - .address_space:  global
        .offset:         56
        .size:           8
        .value_kind:     global_buffer
      - .offset:         64
        .size:           1
        .value_kind:     by_value
      - .offset:         65
        .size:           1
        .value_kind:     by_value
    .group_segment_fixed_size: 0
    .kernarg_segment_align: 8
    .kernarg_segment_size: 68
    .language:       OpenCL C
    .language_version:
      - 2
      - 0
    .max_flat_workgroup_size: 256
    .name:           _ZN7rocprim6detail20lookback_scan_kernelILNS0_25lookback_scan_determinismE0ELb1ENS0_19wrapped_scan_configINS_14default_configE12hip_bfloat16EEPS5_S7_N6hipcub3MaxES5_S5_NS0_19lookback_scan_stateIS5_Lb1ELb1EEEEEvT2_T3_mT5_T4_T7_jPT6_SI_bb
    .private_segment_fixed_size: 0
    .sgpr_count:     4
    .sgpr_spill_count: 0
    .symbol:         _ZN7rocprim6detail20lookback_scan_kernelILNS0_25lookback_scan_determinismE0ELb1ENS0_19wrapped_scan_configINS_14default_configE12hip_bfloat16EEPS5_S7_N6hipcub3MaxES5_S5_NS0_19lookback_scan_stateIS5_Lb1ELb1EEEEEvT2_T3_mT5_T4_T7_jPT6_SI_bb.kd
    .uniform_work_group_size: 1
    .uses_dynamic_stack: false
    .vgpr_count:     0
    .vgpr_spill_count: 0
    .wavefront_size: 64
  - .args:
      - .address_space:  global
        .offset:         0
        .size:           8
        .value_kind:     global_buffer
      - .address_space:  global
        .offset:         8
        .size:           8
        .value_kind:     global_buffer
      - .offset:         16
        .size:           8
        .value_kind:     by_value
      - .offset:         24
        .size:           2
        .value_kind:     by_value
      - .offset:         26
        .size:           1
        .value_kind:     by_value
      - .address_space:  global
        .offset:         32
        .size:           8
        .value_kind:     global_buffer
      - .offset:         40
        .size:           4
        .value_kind:     by_value
      - .address_space:  global
        .offset:         48
        .size:           8
        .value_kind:     global_buffer
      - .address_space:  global
        .offset:         56
        .size:           8
        .value_kind:     global_buffer
      - .offset:         64
        .size:           1
        .value_kind:     by_value
      - .offset:         65
        .size:           1
        .value_kind:     by_value
    .group_segment_fixed_size: 12288
    .kernarg_segment_align: 8
    .kernarg_segment_size: 68
    .language:       OpenCL C
    .language_version:
      - 2
      - 0
    .max_flat_workgroup_size: 256
    .name:           _ZN7rocprim6detail20lookback_scan_kernelILNS0_25lookback_scan_determinismE0ELb1ENS0_19wrapped_scan_configINS_14default_configE12hip_bfloat16EEPS5_S7_N6hipcub3MaxES5_S5_NS0_19lookback_scan_stateIS5_Lb0ELb1EEEEEvT2_T3_mT5_T4_T7_jPT6_SI_bb
    .private_segment_fixed_size: 0
    .sgpr_count:     30
    .sgpr_spill_count: 0
    .symbol:         _ZN7rocprim6detail20lookback_scan_kernelILNS0_25lookback_scan_determinismE0ELb1ENS0_19wrapped_scan_configINS_14default_configE12hip_bfloat16EEPS5_S7_N6hipcub3MaxES5_S5_NS0_19lookback_scan_stateIS5_Lb0ELb1EEEEEvT2_T3_mT5_T4_T7_jPT6_SI_bb.kd
    .uniform_work_group_size: 1
    .uses_dynamic_stack: false
    .vgpr_count:     84
    .vgpr_spill_count: 0
    .wavefront_size: 64
  - .args:
      - .address_space:  global
        .offset:         0
        .size:           8
        .value_kind:     global_buffer
      - .offset:         8
        .size:           8
        .value_kind:     by_value
      - .offset:         16
        .size:           2
        .value_kind:     by_value
      - .address_space:  global
        .offset:         24
        .size:           8
        .value_kind:     global_buffer
      - .offset:         32
        .size:           1
        .value_kind:     by_value
    .group_segment_fixed_size: 12288
    .kernarg_segment_align: 8
    .kernarg_segment_size: 36
    .language:       OpenCL C
    .language_version:
      - 2
      - 0
    .max_flat_workgroup_size: 256
    .name:           _ZN7rocprim6detail18single_scan_kernelILb1ENS0_19wrapped_scan_configINS_14default_configE12hip_bfloat16EEPS4_S6_N6hipcub3MaxES4_S4_EEvT1_mT4_T2_T3_
    .private_segment_fixed_size: 0
    .sgpr_count:     60
    .sgpr_spill_count: 0
    .symbol:         _ZN7rocprim6detail18single_scan_kernelILb1ENS0_19wrapped_scan_configINS_14default_configE12hip_bfloat16EEPS4_S6_N6hipcub3MaxES4_S4_EEvT1_mT4_T2_T3_.kd
    .uniform_work_group_size: 1
    .uses_dynamic_stack: false
    .vgpr_count:     57
    .vgpr_spill_count: 0
    .wavefront_size: 64
  - .args:
      - .offset:         0
        .size:           16
        .value_kind:     by_value
      - .address_space:  global
        .offset:         16
        .size:           8
        .value_kind:     global_buffer
      - .offset:         24
        .size:           8
        .value_kind:     by_value
      - .offset:         32
        .size:           4
        .value_kind:     by_value
      - .offset:         36
        .size:           1
        .value_kind:     by_value
      - .address_space:  global
        .offset:         40
        .size:           8
        .value_kind:     global_buffer
      - .offset:         48
        .size:           4
        .value_kind:     by_value
      - .address_space:  global
        .offset:         56
        .size:           8
        .value_kind:     global_buffer
      - .address_space:  global
        .offset:         64
        .size:           8
        .value_kind:     global_buffer
      - .offset:         72
        .size:           1
        .value_kind:     by_value
      - .offset:         73
        .size:           1
        .value_kind:     by_value
    .group_segment_fixed_size: 0
    .kernarg_segment_align: 8
    .kernarg_segment_size: 76
    .language:       OpenCL C
    .language_version:
      - 2
      - 0
    .max_flat_workgroup_size: 256
    .name:           _ZN7rocprim6detail20lookback_scan_kernelILNS0_25lookback_scan_determinismE0ELb1ENS0_19wrapped_scan_configINS_14default_configEiEEN6hipcub22TransformInputIteratorIiNS6_6CastOpIiEEPilEEPdNS6_3SumEiiNS0_19lookback_scan_stateIiLb1ELb1EEEEEvT2_T3_mT5_T4_T7_jPT6_SM_bb
    .private_segment_fixed_size: 0
    .sgpr_count:     4
    .sgpr_spill_count: 0
    .symbol:         _ZN7rocprim6detail20lookback_scan_kernelILNS0_25lookback_scan_determinismE0ELb1ENS0_19wrapped_scan_configINS_14default_configEiEEN6hipcub22TransformInputIteratorIiNS6_6CastOpIiEEPilEEPdNS6_3SumEiiNS0_19lookback_scan_stateIiLb1ELb1EEEEEvT2_T3_mT5_T4_T7_jPT6_SM_bb.kd
    .uniform_work_group_size: 1
    .uses_dynamic_stack: false
    .vgpr_count:     0
    .vgpr_spill_count: 0
    .wavefront_size: 64
  - .args:
      - .offset:         0
        .size:           16
        .value_kind:     by_value
      - .address_space:  global
        .offset:         16
        .size:           8
        .value_kind:     global_buffer
      - .offset:         24
        .size:           8
        .value_kind:     by_value
      - .offset:         32
        .size:           4
        .value_kind:     by_value
      - .offset:         36
        .size:           1
        .value_kind:     by_value
      - .address_space:  global
        .offset:         40
        .size:           8
        .value_kind:     global_buffer
      - .offset:         48
        .size:           4
        .value_kind:     by_value
      - .address_space:  global
        .offset:         56
        .size:           8
        .value_kind:     global_buffer
      - .address_space:  global
        .offset:         64
        .size:           8
        .value_kind:     global_buffer
      - .offset:         72
        .size:           1
        .value_kind:     by_value
      - .offset:         73
        .size:           1
        .value_kind:     by_value
    .group_segment_fixed_size: 15360
    .kernarg_segment_align: 8
    .kernarg_segment_size: 76
    .language:       OpenCL C
    .language_version:
      - 2
      - 0
    .max_flat_workgroup_size: 256
    .name:           _ZN7rocprim6detail20lookback_scan_kernelILNS0_25lookback_scan_determinismE0ELb1ENS0_19wrapped_scan_configINS_14default_configEiEEN6hipcub22TransformInputIteratorIiNS6_6CastOpIiEEPilEEPdNS6_3SumEiiNS0_19lookback_scan_stateIiLb0ELb1EEEEEvT2_T3_mT5_T4_T7_jPT6_SM_bb
    .private_segment_fixed_size: 0
    .sgpr_count:     38
    .sgpr_spill_count: 0
    .symbol:         _ZN7rocprim6detail20lookback_scan_kernelILNS0_25lookback_scan_determinismE0ELb1ENS0_19wrapped_scan_configINS_14default_configEiEEN6hipcub22TransformInputIteratorIiNS6_6CastOpIiEEPilEEPdNS6_3SumEiiNS0_19lookback_scan_stateIiLb0ELb1EEEEEvT2_T3_mT5_T4_T7_jPT6_SM_bb.kd
    .uniform_work_group_size: 1
    .uses_dynamic_stack: false
    .vgpr_count:     45
    .vgpr_spill_count: 0
    .wavefront_size: 64
  - .args:
      - .offset:         0
        .size:           16
        .value_kind:     by_value
      - .offset:         16
        .size:           8
        .value_kind:     by_value
      - .offset:         24
        .size:           4
        .value_kind:     by_value
      - .address_space:  global
        .offset:         32
        .size:           8
        .value_kind:     global_buffer
      - .offset:         40
        .size:           1
        .value_kind:     by_value
    .group_segment_fixed_size: 15360
    .kernarg_segment_align: 8
    .kernarg_segment_size: 44
    .language:       OpenCL C
    .language_version:
      - 2
      - 0
    .max_flat_workgroup_size: 256
    .name:           _ZN7rocprim6detail18single_scan_kernelILb1ENS0_19wrapped_scan_configINS_14default_configEiEEN6hipcub22TransformInputIteratorIiNS5_6CastOpIiEEPilEEPdNS5_3SumEiiEEvT1_mT4_T2_T3_
    .private_segment_fixed_size: 0
    .sgpr_count:     40
    .sgpr_spill_count: 0
    .symbol:         _ZN7rocprim6detail18single_scan_kernelILb1ENS0_19wrapped_scan_configINS_14default_configEiEEN6hipcub22TransformInputIteratorIiNS5_6CastOpIiEEPilEEPdNS5_3SumEiiEEvT1_mT4_T2_T3_.kd
    .uniform_work_group_size: 1
    .uses_dynamic_stack: false
    .vgpr_count:     26
    .vgpr_spill_count: 0
    .wavefront_size: 64
  - .args:
      - .offset:         0
        .size:           16
        .value_kind:     by_value
      - .address_space:  global
        .offset:         16
        .size:           8
        .value_kind:     global_buffer
      - .offset:         24
        .size:           8
        .value_kind:     by_value
      - .offset:         32
        .size:           2
        .value_kind:     by_value
      - .offset:         34
        .size:           1
        .value_kind:     by_value
      - .address_space:  global
        .offset:         40
        .size:           8
        .value_kind:     global_buffer
      - .offset:         48
        .size:           4
        .value_kind:     by_value
      - .address_space:  global
        .offset:         56
        .size:           8
        .value_kind:     global_buffer
      - .address_space:  global
        .offset:         64
        .size:           8
        .value_kind:     global_buffer
      - .offset:         72
        .size:           1
        .value_kind:     by_value
      - .offset:         73
        .size:           1
        .value_kind:     by_value
    .group_segment_fixed_size: 0
    .kernarg_segment_align: 8
    .kernarg_segment_size: 76
    .language:       OpenCL C
    .language_version:
      - 2
      - 0
    .max_flat_workgroup_size: 256
    .name:           _ZN7rocprim6detail20lookback_scan_kernelILNS0_25lookback_scan_determinismE0ELb1ENS0_19wrapped_scan_configINS_14default_configEsEEN6hipcub22TransformInputIteratorIsNS6_6CastOpIsEEPslEEPfNS6_3MaxEssNS0_19lookback_scan_stateIsLb1ELb1EEEEEvT2_T3_mT5_T4_T7_jPT6_SM_bb
    .private_segment_fixed_size: 0
    .sgpr_count:     4
    .sgpr_spill_count: 0
    .symbol:         _ZN7rocprim6detail20lookback_scan_kernelILNS0_25lookback_scan_determinismE0ELb1ENS0_19wrapped_scan_configINS_14default_configEsEEN6hipcub22TransformInputIteratorIsNS6_6CastOpIsEEPslEEPfNS6_3MaxEssNS0_19lookback_scan_stateIsLb1ELb1EEEEEvT2_T3_mT5_T4_T7_jPT6_SM_bb.kd
    .uniform_work_group_size: 1
    .uses_dynamic_stack: false
    .vgpr_count:     0
    .vgpr_spill_count: 0
    .wavefront_size: 64
  - .args:
      - .offset:         0
        .size:           16
        .value_kind:     by_value
      - .address_space:  global
        .offset:         16
        .size:           8
        .value_kind:     global_buffer
      - .offset:         24
        .size:           8
        .value_kind:     by_value
      - .offset:         32
        .size:           2
        .value_kind:     by_value
      - .offset:         34
        .size:           1
        .value_kind:     by_value
      - .address_space:  global
        .offset:         40
        .size:           8
        .value_kind:     global_buffer
      - .offset:         48
        .size:           4
        .value_kind:     by_value
      - .address_space:  global
        .offset:         56
        .size:           8
        .value_kind:     global_buffer
      - .address_space:  global
        .offset:         64
        .size:           8
        .value_kind:     global_buffer
      - .offset:         72
        .size:           1
        .value_kind:     by_value
      - .offset:         73
        .size:           1
        .value_kind:     by_value
    .group_segment_fixed_size: 12288
    .kernarg_segment_align: 8
    .kernarg_segment_size: 76
    .language:       OpenCL C
    .language_version:
      - 2
      - 0
    .max_flat_workgroup_size: 256
    .name:           _ZN7rocprim6detail20lookback_scan_kernelILNS0_25lookback_scan_determinismE0ELb1ENS0_19wrapped_scan_configINS_14default_configEsEEN6hipcub22TransformInputIteratorIsNS6_6CastOpIsEEPslEEPfNS6_3MaxEssNS0_19lookback_scan_stateIsLb0ELb1EEEEEvT2_T3_mT5_T4_T7_jPT6_SM_bb
    .private_segment_fixed_size: 0
    .sgpr_count:     32
    .sgpr_spill_count: 0
    .symbol:         _ZN7rocprim6detail20lookback_scan_kernelILNS0_25lookback_scan_determinismE0ELb1ENS0_19wrapped_scan_configINS_14default_configEsEEN6hipcub22TransformInputIteratorIsNS6_6CastOpIsEEPslEEPfNS6_3MaxEssNS0_19lookback_scan_stateIsLb0ELb1EEEEEvT2_T3_mT5_T4_T7_jPT6_SM_bb.kd
    .uniform_work_group_size: 1
    .uses_dynamic_stack: false
    .vgpr_count:     54
    .vgpr_spill_count: 0
    .wavefront_size: 64
  - .args:
      - .offset:         0
        .size:           16
        .value_kind:     by_value
      - .offset:         16
        .size:           8
        .value_kind:     by_value
      - .offset:         24
        .size:           2
        .value_kind:     by_value
      - .address_space:  global
        .offset:         32
        .size:           8
        .value_kind:     global_buffer
      - .offset:         40
        .size:           1
        .value_kind:     by_value
    .group_segment_fixed_size: 12288
    .kernarg_segment_align: 8
    .kernarg_segment_size: 44
    .language:       OpenCL C
    .language_version:
      - 2
      - 0
    .max_flat_workgroup_size: 256
    .name:           _ZN7rocprim6detail18single_scan_kernelILb1ENS0_19wrapped_scan_configINS_14default_configEsEEN6hipcub22TransformInputIteratorIsNS5_6CastOpIsEEPslEEPfNS5_3MaxEssEEvT1_mT4_T2_T3_
    .private_segment_fixed_size: 0
    .sgpr_count:     58
    .sgpr_spill_count: 0
    .symbol:         _ZN7rocprim6detail18single_scan_kernelILb1ENS0_19wrapped_scan_configINS_14default_configEsEEN6hipcub22TransformInputIteratorIsNS5_6CastOpIsEEPslEEPfNS5_3MaxEssEEvT1_mT4_T2_T3_.kd
    .uniform_work_group_size: 1
    .uses_dynamic_stack: false
    .vgpr_count:     33
    .vgpr_spill_count: 0
    .wavefront_size: 64
  - .args:
      - .address_space:  global
        .offset:         0
        .size:           8
        .value_kind:     global_buffer
      - .address_space:  global
        .offset:         8
        .size:           8
        .value_kind:     global_buffer
      - .offset:         16
        .size:           8
        .value_kind:     by_value
      - .offset:         24
        .size:           8
        .value_kind:     by_value
      - .offset:         32
        .size:           1
        .value_kind:     by_value
      - .address_space:  global
        .offset:         40
        .size:           8
        .value_kind:     global_buffer
      - .offset:         48
        .size:           4
        .value_kind:     by_value
      - .address_space:  global
        .offset:         56
        .size:           8
        .value_kind:     global_buffer
      - .address_space:  global
        .offset:         64
        .size:           8
        .value_kind:     global_buffer
      - .offset:         72
        .size:           1
        .value_kind:     by_value
      - .offset:         73
        .size:           1
        .value_kind:     by_value
    .group_segment_fixed_size: 0
    .kernarg_segment_align: 8
    .kernarg_segment_size: 76
    .language:       OpenCL C
    .language_version:
      - 2
      - 0
    .max_flat_workgroup_size: 64
    .name:           _ZN7rocprim6detail20lookback_scan_kernelILNS0_25lookback_scan_determinismE0ELb1ENS0_19wrapped_scan_configINS_14default_configEmEEPmS6_N6hipcub3SumEmmNS0_19lookback_scan_stateImLb1ELb1EEEEEvT2_T3_mT5_T4_T7_jPT6_SH_bb
    .private_segment_fixed_size: 0
    .sgpr_count:     4
    .sgpr_spill_count: 0
    .symbol:         _ZN7rocprim6detail20lookback_scan_kernelILNS0_25lookback_scan_determinismE0ELb1ENS0_19wrapped_scan_configINS_14default_configEmEEPmS6_N6hipcub3SumEmmNS0_19lookback_scan_stateImLb1ELb1EEEEEvT2_T3_mT5_T4_T7_jPT6_SH_bb.kd
    .uniform_work_group_size: 1
    .uses_dynamic_stack: false
    .vgpr_count:     0
    .vgpr_spill_count: 0
    .wavefront_size: 64
  - .args:
      - .address_space:  global
        .offset:         0
        .size:           8
        .value_kind:     global_buffer
      - .address_space:  global
        .offset:         8
        .size:           8
        .value_kind:     global_buffer
      - .offset:         16
        .size:           8
        .value_kind:     by_value
      - .offset:         24
        .size:           8
        .value_kind:     by_value
      - .offset:         32
        .size:           1
        .value_kind:     by_value
      - .address_space:  global
        .offset:         40
        .size:           8
        .value_kind:     global_buffer
      - .offset:         48
        .size:           4
        .value_kind:     by_value
      - .address_space:  global
        .offset:         56
        .size:           8
        .value_kind:     global_buffer
      - .address_space:  global
        .offset:         64
        .size:           8
        .value_kind:     global_buffer
      - .offset:         72
        .size:           1
        .value_kind:     by_value
      - .offset:         73
        .size:           1
        .value_kind:     by_value
    .group_segment_fixed_size: 7168
    .kernarg_segment_align: 8
    .kernarg_segment_size: 76
    .language:       OpenCL C
    .language_version:
      - 2
      - 0
    .max_flat_workgroup_size: 64
    .name:           _ZN7rocprim6detail20lookback_scan_kernelILNS0_25lookback_scan_determinismE0ELb1ENS0_19wrapped_scan_configINS_14default_configEmEEPmS6_N6hipcub3SumEmmNS0_19lookback_scan_stateImLb0ELb1EEEEEvT2_T3_mT5_T4_T7_jPT6_SH_bb
    .private_segment_fixed_size: 0
    .sgpr_count:     30
    .sgpr_spill_count: 0
    .symbol:         _ZN7rocprim6detail20lookback_scan_kernelILNS0_25lookback_scan_determinismE0ELb1ENS0_19wrapped_scan_configINS_14default_configEmEEPmS6_N6hipcub3SumEmmNS0_19lookback_scan_stateImLb0ELb1EEEEEvT2_T3_mT5_T4_T7_jPT6_SH_bb.kd
    .uniform_work_group_size: 1
    .uses_dynamic_stack: false
    .vgpr_count:     65
    .vgpr_spill_count: 0
    .wavefront_size: 64
  - .args:
      - .address_space:  global
        .offset:         0
        .size:           8
        .value_kind:     global_buffer
      - .offset:         8
        .size:           8
        .value_kind:     by_value
      - .offset:         16
        .size:           8
        .value_kind:     by_value
      - .address_space:  global
        .offset:         24
        .size:           8
        .value_kind:     global_buffer
      - .offset:         32
        .size:           1
        .value_kind:     by_value
    .group_segment_fixed_size: 7168
    .kernarg_segment_align: 8
    .kernarg_segment_size: 36
    .language:       OpenCL C
    .language_version:
      - 2
      - 0
    .max_flat_workgroup_size: 64
    .name:           _ZN7rocprim6detail18single_scan_kernelILb1ENS0_19wrapped_scan_configINS_14default_configEmEEPmS5_N6hipcub3SumEmmEEvT1_mT4_T2_T3_
    .private_segment_fixed_size: 0
    .sgpr_count:     48
    .sgpr_spill_count: 0
    .symbol:         _ZN7rocprim6detail18single_scan_kernelILb1ENS0_19wrapped_scan_configINS_14default_configEmEEPmS5_N6hipcub3SumEmmEEvT1_mT4_T2_T3_.kd
    .uniform_work_group_size: 1
    .uses_dynamic_stack: false
    .vgpr_count:     36
    .vgpr_spill_count: 0
    .wavefront_size: 64
  - .args:
      - .address_space:  global
        .offset:         0
        .size:           8
        .value_kind:     global_buffer
      - .address_space:  global
        .offset:         8
        .size:           8
        .value_kind:     global_buffer
      - .offset:         16
        .size:           8
        .value_kind:     by_value
      - .offset:         24
        .size:           8
        .value_kind:     by_value
      - .offset:         32
        .size:           1
        .value_kind:     by_value
      - .address_space:  global
        .offset:         40
        .size:           8
        .value_kind:     global_buffer
      - .offset:         48
        .size:           4
        .value_kind:     by_value
      - .address_space:  global
        .offset:         56
        .size:           8
        .value_kind:     global_buffer
      - .address_space:  global
        .offset:         64
        .size:           8
        .value_kind:     global_buffer
      - .offset:         72
        .size:           1
        .value_kind:     by_value
      - .offset:         73
        .size:           1
        .value_kind:     by_value
    .group_segment_fixed_size: 0
    .kernarg_segment_align: 8
    .kernarg_segment_size: 76
    .language:       OpenCL C
    .language_version:
      - 2
      - 0
    .max_flat_workgroup_size: 64
    .name:           _ZN7rocprim6detail20lookback_scan_kernelILNS0_25lookback_scan_determinismE0ELb1ENS0_19wrapped_scan_configINS_14default_configEyEEPyS6_N6hipcub3MinEyyNS0_19lookback_scan_stateIyLb1ELb1EEEEEvT2_T3_mT5_T4_T7_jPT6_SH_bb
    .private_segment_fixed_size: 0
    .sgpr_count:     4
    .sgpr_spill_count: 0
    .symbol:         _ZN7rocprim6detail20lookback_scan_kernelILNS0_25lookback_scan_determinismE0ELb1ENS0_19wrapped_scan_configINS_14default_configEyEEPyS6_N6hipcub3MinEyyNS0_19lookback_scan_stateIyLb1ELb1EEEEEvT2_T3_mT5_T4_T7_jPT6_SH_bb.kd
    .uniform_work_group_size: 1
    .uses_dynamic_stack: false
    .vgpr_count:     0
    .vgpr_spill_count: 0
    .wavefront_size: 64
  - .args:
      - .address_space:  global
        .offset:         0
        .size:           8
        .value_kind:     global_buffer
      - .address_space:  global
        .offset:         8
        .size:           8
        .value_kind:     global_buffer
      - .offset:         16
        .size:           8
        .value_kind:     by_value
      - .offset:         24
        .size:           8
        .value_kind:     by_value
      - .offset:         32
        .size:           1
        .value_kind:     by_value
      - .address_space:  global
        .offset:         40
        .size:           8
        .value_kind:     global_buffer
      - .offset:         48
        .size:           4
        .value_kind:     by_value
      - .address_space:  global
        .offset:         56
        .size:           8
        .value_kind:     global_buffer
      - .address_space:  global
        .offset:         64
        .size:           8
        .value_kind:     global_buffer
      - .offset:         72
        .size:           1
        .value_kind:     by_value
      - .offset:         73
        .size:           1
        .value_kind:     by_value
    .group_segment_fixed_size: 7168
    .kernarg_segment_align: 8
    .kernarg_segment_size: 76
    .language:       OpenCL C
    .language_version:
      - 2
      - 0
    .max_flat_workgroup_size: 64
    .name:           _ZN7rocprim6detail20lookback_scan_kernelILNS0_25lookback_scan_determinismE0ELb1ENS0_19wrapped_scan_configINS_14default_configEyEEPyS6_N6hipcub3MinEyyNS0_19lookback_scan_stateIyLb0ELb1EEEEEvT2_T3_mT5_T4_T7_jPT6_SH_bb
    .private_segment_fixed_size: 0
    .sgpr_count:     30
    .sgpr_spill_count: 0
    .symbol:         _ZN7rocprim6detail20lookback_scan_kernelILNS0_25lookback_scan_determinismE0ELb1ENS0_19wrapped_scan_configINS_14default_configEyEEPyS6_N6hipcub3MinEyyNS0_19lookback_scan_stateIyLb0ELb1EEEEEvT2_T3_mT5_T4_T7_jPT6_SH_bb.kd
    .uniform_work_group_size: 1
    .uses_dynamic_stack: false
    .vgpr_count:     62
    .vgpr_spill_count: 0
    .wavefront_size: 64
  - .args:
      - .address_space:  global
        .offset:         0
        .size:           8
        .value_kind:     global_buffer
      - .offset:         8
        .size:           8
        .value_kind:     by_value
      - .offset:         16
        .size:           8
        .value_kind:     by_value
      - .address_space:  global
        .offset:         24
        .size:           8
        .value_kind:     global_buffer
      - .offset:         32
        .size:           1
        .value_kind:     by_value
    .group_segment_fixed_size: 7168
    .kernarg_segment_align: 8
    .kernarg_segment_size: 36
    .language:       OpenCL C
    .language_version:
      - 2
      - 0
    .max_flat_workgroup_size: 64
    .name:           _ZN7rocprim6detail18single_scan_kernelILb1ENS0_19wrapped_scan_configINS_14default_configEyEEPyS5_N6hipcub3MinEyyEEvT1_mT4_T2_T3_
    .private_segment_fixed_size: 0
    .sgpr_count:     48
    .sgpr_spill_count: 0
    .symbol:         _ZN7rocprim6detail18single_scan_kernelILb1ENS0_19wrapped_scan_configINS_14default_configEyEEPyS5_N6hipcub3MinEyyEEvT1_mT4_T2_T3_.kd
    .uniform_work_group_size: 1
    .uses_dynamic_stack: false
    .vgpr_count:     36
    .vgpr_spill_count: 0
    .wavefront_size: 64
  - .args:
      - .address_space:  global
        .offset:         0
        .size:           8
        .value_kind:     global_buffer
      - .offset:         8
        .size:           16
        .value_kind:     by_value
      - .address_space:  global
        .offset:         24
        .size:           8
        .value_kind:     global_buffer
      - .offset:         32
        .size:           4
        .value_kind:     by_value
      - .offset:         36
        .size:           1
        .value_kind:     by_value
      - .offset:         37
        .size:           1
        .value_kind:     by_value
      - .address_space:  global
        .offset:         40
        .size:           8
        .value_kind:     global_buffer
      - .offset:         48
        .size:           8
        .value_kind:     by_value
      - .offset:         56
        .size:           8
        .value_kind:     by_value
      - .offset:         64
        .size:           8
        .value_kind:     by_value
      - .address_space:  global
        .offset:         72
        .size:           8
        .value_kind:     global_buffer
    .group_segment_fixed_size: 0
    .kernarg_segment_align: 8
    .kernarg_segment_size: 80
    .language:       OpenCL C
    .language_version:
      - 2
      - 0
    .max_flat_workgroup_size: 256
    .name:           _ZN7rocprim6detail25device_scan_by_key_kernelILNS0_25lookback_scan_determinismE0ELb1ENS0_26wrapped_scan_by_key_configINS_14default_configEiiEEPiN6hipcub22TransformInputIteratorIiNS7_6CastOpIiEES6_lEEPliNS7_8EqualityENS7_3SumENS0_19lookback_scan_stateINS_5tupleIJibEEELb1ELb1EEEiEEvT2_T3_T4_T5_T6_T7_T8_mmmPKNSG_IJT9_bEEE
    .private_segment_fixed_size: 0
    .sgpr_count:     4
    .sgpr_spill_count: 0
    .symbol:         _ZN7rocprim6detail25device_scan_by_key_kernelILNS0_25lookback_scan_determinismE0ELb1ENS0_26wrapped_scan_by_key_configINS_14default_configEiiEEPiN6hipcub22TransformInputIteratorIiNS7_6CastOpIiEES6_lEEPliNS7_8EqualityENS7_3SumENS0_19lookback_scan_stateINS_5tupleIJibEEELb1ELb1EEEiEEvT2_T3_T4_T5_T6_T7_T8_mmmPKNSG_IJT9_bEEE.kd
    .uniform_work_group_size: 1
    .uses_dynamic_stack: false
    .vgpr_count:     0
    .vgpr_spill_count: 0
    .wavefront_size: 64
  - .args:
      - .address_space:  global
        .offset:         0
        .size:           8
        .value_kind:     global_buffer
      - .offset:         8
        .size:           16
        .value_kind:     by_value
      - .address_space:  global
        .offset:         24
        .size:           8
        .value_kind:     global_buffer
      - .offset:         32
        .size:           4
        .value_kind:     by_value
      - .offset:         36
        .size:           1
        .value_kind:     by_value
      - .offset:         37
        .size:           1
        .value_kind:     by_value
      - .address_space:  global
        .offset:         40
        .size:           8
        .value_kind:     global_buffer
      - .offset:         48
        .size:           8
        .value_kind:     by_value
      - .offset:         56
        .size:           8
        .value_kind:     by_value
      - .offset:         64
        .size:           8
        .value_kind:     by_value
      - .address_space:  global
        .offset:         72
        .size:           8
        .value_kind:     global_buffer
    .group_segment_fixed_size: 17408
    .kernarg_segment_align: 8
    .kernarg_segment_size: 80
    .language:       OpenCL C
    .language_version:
      - 2
      - 0
    .max_flat_workgroup_size: 256
    .name:           _ZN7rocprim6detail25device_scan_by_key_kernelILNS0_25lookback_scan_determinismE0ELb1ENS0_26wrapped_scan_by_key_configINS_14default_configEiiEEPiN6hipcub22TransformInputIteratorIiNS7_6CastOpIiEES6_lEEPliNS7_8EqualityENS7_3SumENS0_19lookback_scan_stateINS_5tupleIJibEEELb0ELb1EEEiEEvT2_T3_T4_T5_T6_T7_T8_mmmPKNSG_IJT9_bEEE
    .private_segment_fixed_size: 0
    .sgpr_count:     61
    .sgpr_spill_count: 0
    .symbol:         _ZN7rocprim6detail25device_scan_by_key_kernelILNS0_25lookback_scan_determinismE0ELb1ENS0_26wrapped_scan_by_key_configINS_14default_configEiiEEPiN6hipcub22TransformInputIteratorIiNS7_6CastOpIiEES6_lEEPliNS7_8EqualityENS7_3SumENS0_19lookback_scan_stateINS_5tupleIJibEEELb0ELb1EEEiEEvT2_T3_T4_T5_T6_T7_T8_mmmPKNSG_IJT9_bEEE.kd
    .uniform_work_group_size: 1
    .uses_dynamic_stack: false
    .vgpr_count:     75
    .vgpr_spill_count: 0
    .wavefront_size: 64
  - .args:
      - .address_space:  global
        .offset:         0
        .size:           8
        .value_kind:     global_buffer
      - .offset:         8
        .size:           16
        .value_kind:     by_value
      - .address_space:  global
        .offset:         24
        .size:           8
        .value_kind:     global_buffer
      - .offset:         32
        .size:           2
        .value_kind:     by_value
      - .offset:         34
        .size:           1
        .value_kind:     by_value
      - .offset:         35
        .size:           1
        .value_kind:     by_value
      - .address_space:  global
        .offset:         40
        .size:           8
        .value_kind:     global_buffer
      - .offset:         48
        .size:           8
        .value_kind:     by_value
      - .offset:         56
        .size:           8
        .value_kind:     by_value
      - .offset:         64
        .size:           8
        .value_kind:     by_value
      - .address_space:  global
        .offset:         72
        .size:           8
        .value_kind:     global_buffer
    .group_segment_fixed_size: 0
    .kernarg_segment_align: 8
    .kernarg_segment_size: 80
    .language:       OpenCL C
    .language_version:
      - 2
      - 0
    .max_flat_workgroup_size: 256
    .name:           _ZN7rocprim6detail25device_scan_by_key_kernelILNS0_25lookback_scan_determinismE0ELb1ENS0_26wrapped_scan_by_key_configINS_14default_configEi6__halfEEPiN6hipcub22TransformInputIteratorIS5_NS8_6CastOpIS5_EEPS5_lEESC_S5_NS8_8EqualityENS8_3SumENS0_19lookback_scan_stateINS_5tupleIJS5_bEEELb1ELb1EEES5_EEvT2_T3_T4_T5_T6_T7_T8_mmmPKNSH_IJT9_bEEE
    .private_segment_fixed_size: 0
    .sgpr_count:     4
    .sgpr_spill_count: 0
    .symbol:         _ZN7rocprim6detail25device_scan_by_key_kernelILNS0_25lookback_scan_determinismE0ELb1ENS0_26wrapped_scan_by_key_configINS_14default_configEi6__halfEEPiN6hipcub22TransformInputIteratorIS5_NS8_6CastOpIS5_EEPS5_lEESC_S5_NS8_8EqualityENS8_3SumENS0_19lookback_scan_stateINS_5tupleIJS5_bEEELb1ELb1EEES5_EEvT2_T3_T4_T5_T6_T7_T8_mmmPKNSH_IJT9_bEEE.kd
    .uniform_work_group_size: 1
    .uses_dynamic_stack: false
    .vgpr_count:     0
    .vgpr_spill_count: 0
    .wavefront_size: 64
  - .args:
      - .address_space:  global
        .offset:         0
        .size:           8
        .value_kind:     global_buffer
      - .offset:         8
        .size:           16
        .value_kind:     by_value
      - .address_space:  global
        .offset:         24
        .size:           8
        .value_kind:     global_buffer
      - .offset:         32
        .size:           2
        .value_kind:     by_value
      - .offset:         34
        .size:           1
        .value_kind:     by_value
      - .offset:         35
        .size:           1
        .value_kind:     by_value
      - .address_space:  global
        .offset:         40
        .size:           8
        .value_kind:     global_buffer
      - .offset:         48
        .size:           8
        .value_kind:     by_value
      - .offset:         56
        .size:           8
        .value_kind:     by_value
      - .offset:         64
        .size:           8
        .value_kind:     by_value
      - .address_space:  global
        .offset:         72
        .size:           8
        .value_kind:     global_buffer
    .group_segment_fixed_size: 16384
    .kernarg_segment_align: 8
    .kernarg_segment_size: 80
    .language:       OpenCL C
    .language_version:
      - 2
      - 0
    .max_flat_workgroup_size: 256
    .name:           _ZN7rocprim6detail25device_scan_by_key_kernelILNS0_25lookback_scan_determinismE0ELb1ENS0_26wrapped_scan_by_key_configINS_14default_configEi6__halfEEPiN6hipcub22TransformInputIteratorIS5_NS8_6CastOpIS5_EEPS5_lEESC_S5_NS8_8EqualityENS8_3SumENS0_19lookback_scan_stateINS_5tupleIJS5_bEEELb0ELb1EEES5_EEvT2_T3_T4_T5_T6_T7_T8_mmmPKNSH_IJT9_bEEE
    .private_segment_fixed_size: 0
    .sgpr_count:     84
    .sgpr_spill_count: 0
    .symbol:         _ZN7rocprim6detail25device_scan_by_key_kernelILNS0_25lookback_scan_determinismE0ELb1ENS0_26wrapped_scan_by_key_configINS_14default_configEi6__halfEEPiN6hipcub22TransformInputIteratorIS5_NS8_6CastOpIS5_EEPS5_lEESC_S5_NS8_8EqualityENS8_3SumENS0_19lookback_scan_stateINS_5tupleIJS5_bEEELb0ELb1EEES5_EEvT2_T3_T4_T5_T6_T7_T8_mmmPKNSH_IJT9_bEEE.kd
    .uniform_work_group_size: 1
    .uses_dynamic_stack: false
    .vgpr_count:     72
    .vgpr_spill_count: 0
    .wavefront_size: 64
  - .args:
      - .address_space:  global
        .offset:         0
        .size:           8
        .value_kind:     global_buffer
      - .offset:         8
        .size:           16
        .value_kind:     by_value
      - .address_space:  global
        .offset:         24
        .size:           8
        .value_kind:     global_buffer
      - .offset:         32
        .size:           2
        .value_kind:     by_value
      - .offset:         34
        .size:           1
        .value_kind:     by_value
      - .offset:         35
        .size:           1
        .value_kind:     by_value
      - .address_space:  global
        .offset:         40
        .size:           8
        .value_kind:     global_buffer
      - .offset:         48
        .size:           8
        .value_kind:     by_value
      - .offset:         56
        .size:           8
        .value_kind:     by_value
      - .offset:         64
        .size:           8
        .value_kind:     by_value
      - .address_space:  global
        .offset:         72
        .size:           8
        .value_kind:     global_buffer
    .group_segment_fixed_size: 0
    .kernarg_segment_align: 8
    .kernarg_segment_size: 80
    .language:       OpenCL C
    .language_version:
      - 2
      - 0
    .max_flat_workgroup_size: 256
    .name:           _ZN7rocprim6detail25device_scan_by_key_kernelILNS0_25lookback_scan_determinismE0ELb1ENS0_26wrapped_scan_by_key_configINS_14default_configEi6__halfEEPiN6hipcub22TransformInputIteratorIS5_NS8_6CastOpIS5_EEPS5_lEESC_S5_NS8_8EqualityENS8_3MaxENS0_19lookback_scan_stateINS_5tupleIJS5_bEEELb1ELb1EEES5_EEvT2_T3_T4_T5_T6_T7_T8_mmmPKNSH_IJT9_bEEE
    .private_segment_fixed_size: 0
    .sgpr_count:     4
    .sgpr_spill_count: 0
    .symbol:         _ZN7rocprim6detail25device_scan_by_key_kernelILNS0_25lookback_scan_determinismE0ELb1ENS0_26wrapped_scan_by_key_configINS_14default_configEi6__halfEEPiN6hipcub22TransformInputIteratorIS5_NS8_6CastOpIS5_EEPS5_lEESC_S5_NS8_8EqualityENS8_3MaxENS0_19lookback_scan_stateINS_5tupleIJS5_bEEELb1ELb1EEES5_EEvT2_T3_T4_T5_T6_T7_T8_mmmPKNSH_IJT9_bEEE.kd
    .uniform_work_group_size: 1
    .uses_dynamic_stack: false
    .vgpr_count:     0
    .vgpr_spill_count: 0
    .wavefront_size: 64
  - .args:
      - .address_space:  global
        .offset:         0
        .size:           8
        .value_kind:     global_buffer
      - .offset:         8
        .size:           16
        .value_kind:     by_value
      - .address_space:  global
        .offset:         24
        .size:           8
        .value_kind:     global_buffer
      - .offset:         32
        .size:           2
        .value_kind:     by_value
      - .offset:         34
        .size:           1
        .value_kind:     by_value
      - .offset:         35
        .size:           1
        .value_kind:     by_value
      - .address_space:  global
        .offset:         40
        .size:           8
        .value_kind:     global_buffer
      - .offset:         48
        .size:           8
        .value_kind:     by_value
      - .offset:         56
        .size:           8
        .value_kind:     by_value
      - .offset:         64
        .size:           8
        .value_kind:     by_value
      - .address_space:  global
        .offset:         72
        .size:           8
        .value_kind:     global_buffer
    .group_segment_fixed_size: 16384
    .kernarg_segment_align: 8
    .kernarg_segment_size: 80
    .language:       OpenCL C
    .language_version:
      - 2
      - 0
    .max_flat_workgroup_size: 256
    .name:           _ZN7rocprim6detail25device_scan_by_key_kernelILNS0_25lookback_scan_determinismE0ELb1ENS0_26wrapped_scan_by_key_configINS_14default_configEi6__halfEEPiN6hipcub22TransformInputIteratorIS5_NS8_6CastOpIS5_EEPS5_lEESC_S5_NS8_8EqualityENS8_3MaxENS0_19lookback_scan_stateINS_5tupleIJS5_bEEELb0ELb1EEES5_EEvT2_T3_T4_T5_T6_T7_T8_mmmPKNSH_IJT9_bEEE
    .private_segment_fixed_size: 0
    .sgpr_count:     84
    .sgpr_spill_count: 0
    .symbol:         _ZN7rocprim6detail25device_scan_by_key_kernelILNS0_25lookback_scan_determinismE0ELb1ENS0_26wrapped_scan_by_key_configINS_14default_configEi6__halfEEPiN6hipcub22TransformInputIteratorIS5_NS8_6CastOpIS5_EEPS5_lEESC_S5_NS8_8EqualityENS8_3MaxENS0_19lookback_scan_stateINS_5tupleIJS5_bEEELb0ELb1EEES5_EEvT2_T3_T4_T5_T6_T7_T8_mmmPKNSH_IJT9_bEEE.kd
    .uniform_work_group_size: 1
    .uses_dynamic_stack: false
    .vgpr_count:     72
    .vgpr_spill_count: 0
    .wavefront_size: 64
  - .args:
      - .address_space:  global
        .offset:         0
        .size:           8
        .value_kind:     global_buffer
      - .offset:         8
        .size:           16
        .value_kind:     by_value
      - .address_space:  global
        .offset:         24
        .size:           8
        .value_kind:     global_buffer
      - .offset:         32
        .size:           2
        .value_kind:     by_value
      - .offset:         34
        .size:           1
        .value_kind:     by_value
      - .offset:         35
        .size:           1
        .value_kind:     by_value
      - .address_space:  global
        .offset:         40
        .size:           8
        .value_kind:     global_buffer
      - .offset:         48
        .size:           8
        .value_kind:     by_value
      - .offset:         56
        .size:           8
        .value_kind:     by_value
      - .offset:         64
        .size:           8
        .value_kind:     by_value
      - .address_space:  global
        .offset:         72
        .size:           8
        .value_kind:     global_buffer
    .group_segment_fixed_size: 0
    .kernarg_segment_align: 8
    .kernarg_segment_size: 80
    .language:       OpenCL C
    .language_version:
      - 2
      - 0
    .max_flat_workgroup_size: 256
    .name:           _ZN7rocprim6detail25device_scan_by_key_kernelILNS0_25lookback_scan_determinismE0ELb1ENS0_26wrapped_scan_by_key_configINS_14default_configEi12hip_bfloat16EEPiN6hipcub22TransformInputIteratorIS5_NS8_6CastOpIS5_EEPS5_lEESC_S5_NS8_8EqualityENS8_3SumENS0_19lookback_scan_stateINS_5tupleIJS5_bEEELb1ELb1EEES5_EEvT2_T3_T4_T5_T6_T7_T8_mmmPKNSH_IJT9_bEEE
    .private_segment_fixed_size: 0
    .sgpr_count:     4
    .sgpr_spill_count: 0
    .symbol:         _ZN7rocprim6detail25device_scan_by_key_kernelILNS0_25lookback_scan_determinismE0ELb1ENS0_26wrapped_scan_by_key_configINS_14default_configEi12hip_bfloat16EEPiN6hipcub22TransformInputIteratorIS5_NS8_6CastOpIS5_EEPS5_lEESC_S5_NS8_8EqualityENS8_3SumENS0_19lookback_scan_stateINS_5tupleIJS5_bEEELb1ELb1EEES5_EEvT2_T3_T4_T5_T6_T7_T8_mmmPKNSH_IJT9_bEEE.kd
    .uniform_work_group_size: 1
    .uses_dynamic_stack: false
    .vgpr_count:     0
    .vgpr_spill_count: 0
    .wavefront_size: 64
  - .args:
      - .address_space:  global
        .offset:         0
        .size:           8
        .value_kind:     global_buffer
      - .offset:         8
        .size:           16
        .value_kind:     by_value
      - .address_space:  global
        .offset:         24
        .size:           8
        .value_kind:     global_buffer
      - .offset:         32
        .size:           2
        .value_kind:     by_value
      - .offset:         34
        .size:           1
        .value_kind:     by_value
      - .offset:         35
        .size:           1
        .value_kind:     by_value
      - .address_space:  global
        .offset:         40
        .size:           8
        .value_kind:     global_buffer
      - .offset:         48
        .size:           8
        .value_kind:     by_value
      - .offset:         56
        .size:           8
        .value_kind:     by_value
      - .offset:         64
        .size:           8
        .value_kind:     by_value
      - .address_space:  global
        .offset:         72
        .size:           8
        .value_kind:     global_buffer
    .group_segment_fixed_size: 16384
    .kernarg_segment_align: 8
    .kernarg_segment_size: 80
    .language:       OpenCL C
    .language_version:
      - 2
      - 0
    .max_flat_workgroup_size: 256
    .name:           _ZN7rocprim6detail25device_scan_by_key_kernelILNS0_25lookback_scan_determinismE0ELb1ENS0_26wrapped_scan_by_key_configINS_14default_configEi12hip_bfloat16EEPiN6hipcub22TransformInputIteratorIS5_NS8_6CastOpIS5_EEPS5_lEESC_S5_NS8_8EqualityENS8_3SumENS0_19lookback_scan_stateINS_5tupleIJS5_bEEELb0ELb1EEES5_EEvT2_T3_T4_T5_T6_T7_T8_mmmPKNSH_IJT9_bEEE
    .private_segment_fixed_size: 0
    .sgpr_count:     59
    .sgpr_spill_count: 0
    .symbol:         _ZN7rocprim6detail25device_scan_by_key_kernelILNS0_25lookback_scan_determinismE0ELb1ENS0_26wrapped_scan_by_key_configINS_14default_configEi12hip_bfloat16EEPiN6hipcub22TransformInputIteratorIS5_NS8_6CastOpIS5_EEPS5_lEESC_S5_NS8_8EqualityENS8_3SumENS0_19lookback_scan_stateINS_5tupleIJS5_bEEELb0ELb1EEES5_EEvT2_T3_T4_T5_T6_T7_T8_mmmPKNSH_IJT9_bEEE.kd
    .uniform_work_group_size: 1
    .uses_dynamic_stack: false
    .vgpr_count:     47
    .vgpr_spill_count: 0
    .wavefront_size: 64
  - .args:
      - .address_space:  global
        .offset:         0
        .size:           8
        .value_kind:     global_buffer
      - .offset:         8
        .size:           16
        .value_kind:     by_value
      - .address_space:  global
        .offset:         24
        .size:           8
        .value_kind:     global_buffer
      - .offset:         32
        .size:           2
        .value_kind:     by_value
      - .offset:         34
        .size:           1
        .value_kind:     by_value
      - .offset:         35
        .size:           1
        .value_kind:     by_value
      - .address_space:  global
        .offset:         40
        .size:           8
        .value_kind:     global_buffer
      - .offset:         48
        .size:           8
        .value_kind:     by_value
      - .offset:         56
        .size:           8
        .value_kind:     by_value
      - .offset:         64
        .size:           8
        .value_kind:     by_value
      - .address_space:  global
        .offset:         72
        .size:           8
        .value_kind:     global_buffer
    .group_segment_fixed_size: 0
    .kernarg_segment_align: 8
    .kernarg_segment_size: 80
    .language:       OpenCL C
    .language_version:
      - 2
      - 0
    .max_flat_workgroup_size: 256
    .name:           _ZN7rocprim6detail25device_scan_by_key_kernelILNS0_25lookback_scan_determinismE0ELb1ENS0_26wrapped_scan_by_key_configINS_14default_configEi12hip_bfloat16EEPiN6hipcub22TransformInputIteratorIS5_NS8_6CastOpIS5_EEPS5_lEESC_S5_NS8_8EqualityENS8_3MaxENS0_19lookback_scan_stateINS_5tupleIJS5_bEEELb1ELb1EEES5_EEvT2_T3_T4_T5_T6_T7_T8_mmmPKNSH_IJT9_bEEE
    .private_segment_fixed_size: 0
    .sgpr_count:     4
    .sgpr_spill_count: 0
    .symbol:         _ZN7rocprim6detail25device_scan_by_key_kernelILNS0_25lookback_scan_determinismE0ELb1ENS0_26wrapped_scan_by_key_configINS_14default_configEi12hip_bfloat16EEPiN6hipcub22TransformInputIteratorIS5_NS8_6CastOpIS5_EEPS5_lEESC_S5_NS8_8EqualityENS8_3MaxENS0_19lookback_scan_stateINS_5tupleIJS5_bEEELb1ELb1EEES5_EEvT2_T3_T4_T5_T6_T7_T8_mmmPKNSH_IJT9_bEEE.kd
    .uniform_work_group_size: 1
    .uses_dynamic_stack: false
    .vgpr_count:     0
    .vgpr_spill_count: 0
    .wavefront_size: 64
  - .args:
      - .address_space:  global
        .offset:         0
        .size:           8
        .value_kind:     global_buffer
      - .offset:         8
        .size:           16
        .value_kind:     by_value
      - .address_space:  global
        .offset:         24
        .size:           8
        .value_kind:     global_buffer
      - .offset:         32
        .size:           2
        .value_kind:     by_value
      - .offset:         34
        .size:           1
        .value_kind:     by_value
      - .offset:         35
        .size:           1
        .value_kind:     by_value
      - .address_space:  global
        .offset:         40
        .size:           8
        .value_kind:     global_buffer
      - .offset:         48
        .size:           8
        .value_kind:     by_value
      - .offset:         56
        .size:           8
        .value_kind:     by_value
      - .offset:         64
        .size:           8
        .value_kind:     by_value
      - .address_space:  global
        .offset:         72
        .size:           8
        .value_kind:     global_buffer
    .group_segment_fixed_size: 16384
    .kernarg_segment_align: 8
    .kernarg_segment_size: 80
    .language:       OpenCL C
    .language_version:
      - 2
      - 0
    .max_flat_workgroup_size: 256
    .name:           _ZN7rocprim6detail25device_scan_by_key_kernelILNS0_25lookback_scan_determinismE0ELb1ENS0_26wrapped_scan_by_key_configINS_14default_configEi12hip_bfloat16EEPiN6hipcub22TransformInputIteratorIS5_NS8_6CastOpIS5_EEPS5_lEESC_S5_NS8_8EqualityENS8_3MaxENS0_19lookback_scan_stateINS_5tupleIJS5_bEEELb0ELb1EEES5_EEvT2_T3_T4_T5_T6_T7_T8_mmmPKNSH_IJT9_bEEE
    .private_segment_fixed_size: 0
    .sgpr_count:     59
    .sgpr_spill_count: 0
    .symbol:         _ZN7rocprim6detail25device_scan_by_key_kernelILNS0_25lookback_scan_determinismE0ELb1ENS0_26wrapped_scan_by_key_configINS_14default_configEi12hip_bfloat16EEPiN6hipcub22TransformInputIteratorIS5_NS8_6CastOpIS5_EEPS5_lEESC_S5_NS8_8EqualityENS8_3MaxENS0_19lookback_scan_stateINS_5tupleIJS5_bEEELb0ELb1EEES5_EEvT2_T3_T4_T5_T6_T7_T8_mmmPKNSH_IJT9_bEEE.kd
    .uniform_work_group_size: 1
    .uses_dynamic_stack: false
    .vgpr_count:     63
    .vgpr_spill_count: 0
    .wavefront_size: 64
  - .args:
      - .address_space:  global
        .offset:         0
        .size:           8
        .value_kind:     global_buffer
      - .offset:         8
        .size:           16
        .value_kind:     by_value
      - .address_space:  global
        .offset:         24
        .size:           8
        .value_kind:     global_buffer
      - .offset:         32
        .size:           4
        .value_kind:     by_value
      - .offset:         36
        .size:           1
        .value_kind:     by_value
      - .offset:         37
        .size:           1
        .value_kind:     by_value
      - .address_space:  global
        .offset:         40
        .size:           8
        .value_kind:     global_buffer
      - .offset:         48
        .size:           8
        .value_kind:     by_value
      - .offset:         56
        .size:           8
        .value_kind:     by_value
      - .offset:         64
        .size:           8
        .value_kind:     by_value
      - .address_space:  global
        .offset:         72
        .size:           8
        .value_kind:     global_buffer
    .group_segment_fixed_size: 0
    .kernarg_segment_align: 8
    .kernarg_segment_size: 80
    .language:       OpenCL C
    .language_version:
      - 2
      - 0
    .max_flat_workgroup_size: 256
    .name:           _ZN7rocprim6detail25device_scan_by_key_kernelILNS0_25lookback_scan_determinismE0ELb1ENS0_26wrapped_scan_by_key_configINS_14default_configEiiEEPiN6hipcub22TransformInputIteratorIiNS7_6CastOpIiEES6_lEEPdiNS7_8EqualityENS7_3SumENS0_19lookback_scan_stateINS_5tupleIJibEEELb1ELb1EEEiEEvT2_T3_T4_T5_T6_T7_T8_mmmPKNSG_IJT9_bEEE
    .private_segment_fixed_size: 0
    .sgpr_count:     4
    .sgpr_spill_count: 0
    .symbol:         _ZN7rocprim6detail25device_scan_by_key_kernelILNS0_25lookback_scan_determinismE0ELb1ENS0_26wrapped_scan_by_key_configINS_14default_configEiiEEPiN6hipcub22TransformInputIteratorIiNS7_6CastOpIiEES6_lEEPdiNS7_8EqualityENS7_3SumENS0_19lookback_scan_stateINS_5tupleIJibEEELb1ELb1EEEiEEvT2_T3_T4_T5_T6_T7_T8_mmmPKNSG_IJT9_bEEE.kd
    .uniform_work_group_size: 1
    .uses_dynamic_stack: false
    .vgpr_count:     0
    .vgpr_spill_count: 0
    .wavefront_size: 64
  - .args:
      - .address_space:  global
        .offset:         0
        .size:           8
        .value_kind:     global_buffer
      - .offset:         8
        .size:           16
        .value_kind:     by_value
      - .address_space:  global
        .offset:         24
        .size:           8
        .value_kind:     global_buffer
      - .offset:         32
        .size:           4
        .value_kind:     by_value
      - .offset:         36
        .size:           1
        .value_kind:     by_value
      - .offset:         37
        .size:           1
        .value_kind:     by_value
      - .address_space:  global
        .offset:         40
        .size:           8
        .value_kind:     global_buffer
      - .offset:         48
        .size:           8
        .value_kind:     by_value
      - .offset:         56
        .size:           8
        .value_kind:     by_value
      - .offset:         64
        .size:           8
        .value_kind:     by_value
      - .address_space:  global
        .offset:         72
        .size:           8
        .value_kind:     global_buffer
    .group_segment_fixed_size: 17408
    .kernarg_segment_align: 8
    .kernarg_segment_size: 80
    .language:       OpenCL C
    .language_version:
      - 2
      - 0
    .max_flat_workgroup_size: 256
    .name:           _ZN7rocprim6detail25device_scan_by_key_kernelILNS0_25lookback_scan_determinismE0ELb1ENS0_26wrapped_scan_by_key_configINS_14default_configEiiEEPiN6hipcub22TransformInputIteratorIiNS7_6CastOpIiEES6_lEEPdiNS7_8EqualityENS7_3SumENS0_19lookback_scan_stateINS_5tupleIJibEEELb0ELb1EEEiEEvT2_T3_T4_T5_T6_T7_T8_mmmPKNSG_IJT9_bEEE
    .private_segment_fixed_size: 0
    .sgpr_count:     61
    .sgpr_spill_count: 0
    .symbol:         _ZN7rocprim6detail25device_scan_by_key_kernelILNS0_25lookback_scan_determinismE0ELb1ENS0_26wrapped_scan_by_key_configINS_14default_configEiiEEPiN6hipcub22TransformInputIteratorIiNS7_6CastOpIiEES6_lEEPdiNS7_8EqualityENS7_3SumENS0_19lookback_scan_stateINS_5tupleIJibEEELb0ELb1EEEiEEvT2_T3_T4_T5_T6_T7_T8_mmmPKNSG_IJT9_bEEE.kd
    .uniform_work_group_size: 1
    .uses_dynamic_stack: false
    .vgpr_count:     75
    .vgpr_spill_count: 0
    .wavefront_size: 64
  - .args:
      - .address_space:  global
        .offset:         0
        .size:           8
        .value_kind:     global_buffer
      - .offset:         8
        .size:           16
        .value_kind:     by_value
      - .address_space:  global
        .offset:         24
        .size:           8
        .value_kind:     global_buffer
      - .offset:         32
        .size:           2
        .value_kind:     by_value
      - .offset:         34
        .size:           1
        .value_kind:     by_value
      - .offset:         35
        .size:           1
        .value_kind:     by_value
      - .address_space:  global
        .offset:         40
        .size:           8
        .value_kind:     global_buffer
      - .offset:         48
        .size:           8
        .value_kind:     by_value
      - .offset:         56
        .size:           8
        .value_kind:     by_value
      - .offset:         64
        .size:           8
        .value_kind:     by_value
      - .address_space:  global
        .offset:         72
        .size:           8
        .value_kind:     global_buffer
    .group_segment_fixed_size: 0
    .kernarg_segment_align: 8
    .kernarg_segment_size: 80
    .language:       OpenCL C
    .language_version:
      - 2
      - 0
    .max_flat_workgroup_size: 256
    .name:           _ZN7rocprim6detail25device_scan_by_key_kernelILNS0_25lookback_scan_determinismE0ELb1ENS0_26wrapped_scan_by_key_configINS_14default_configEiiEEPiN6hipcub22TransformInputIteratorIsNS7_6CastOpIsEEPslEEPfsNS7_8EqualityENS7_3SumENS0_19lookback_scan_stateINS_5tupleIJibEEELb1ELb1EEEiEEvT2_T3_T4_T5_T6_T7_T8_mmmPKNSH_IJT9_bEEE
    .private_segment_fixed_size: 0
    .sgpr_count:     4
    .sgpr_spill_count: 0
    .symbol:         _ZN7rocprim6detail25device_scan_by_key_kernelILNS0_25lookback_scan_determinismE0ELb1ENS0_26wrapped_scan_by_key_configINS_14default_configEiiEEPiN6hipcub22TransformInputIteratorIsNS7_6CastOpIsEEPslEEPfsNS7_8EqualityENS7_3SumENS0_19lookback_scan_stateINS_5tupleIJibEEELb1ELb1EEEiEEvT2_T3_T4_T5_T6_T7_T8_mmmPKNSH_IJT9_bEEE.kd
    .uniform_work_group_size: 1
    .uses_dynamic_stack: false
    .vgpr_count:     0
    .vgpr_spill_count: 0
    .wavefront_size: 64
  - .args:
      - .address_space:  global
        .offset:         0
        .size:           8
        .value_kind:     global_buffer
      - .offset:         8
        .size:           16
        .value_kind:     by_value
      - .address_space:  global
        .offset:         24
        .size:           8
        .value_kind:     global_buffer
      - .offset:         32
        .size:           2
        .value_kind:     by_value
      - .offset:         34
        .size:           1
        .value_kind:     by_value
      - .offset:         35
        .size:           1
        .value_kind:     by_value
      - .address_space:  global
        .offset:         40
        .size:           8
        .value_kind:     global_buffer
      - .offset:         48
        .size:           8
        .value_kind:     by_value
      - .offset:         56
        .size:           8
        .value_kind:     by_value
      - .offset:         64
        .size:           8
        .value_kind:     by_value
      - .address_space:  global
        .offset:         72
        .size:           8
        .value_kind:     global_buffer
    .group_segment_fixed_size: 17408
    .kernarg_segment_align: 8
    .kernarg_segment_size: 80
    .language:       OpenCL C
    .language_version:
      - 2
      - 0
    .max_flat_workgroup_size: 256
    .name:           _ZN7rocprim6detail25device_scan_by_key_kernelILNS0_25lookback_scan_determinismE0ELb1ENS0_26wrapped_scan_by_key_configINS_14default_configEiiEEPiN6hipcub22TransformInputIteratorIsNS7_6CastOpIsEEPslEEPfsNS7_8EqualityENS7_3SumENS0_19lookback_scan_stateINS_5tupleIJibEEELb0ELb1EEEiEEvT2_T3_T4_T5_T6_T7_T8_mmmPKNSH_IJT9_bEEE
    .private_segment_fixed_size: 0
    .sgpr_count:     60
    .sgpr_spill_count: 0
    .symbol:         _ZN7rocprim6detail25device_scan_by_key_kernelILNS0_25lookback_scan_determinismE0ELb1ENS0_26wrapped_scan_by_key_configINS_14default_configEiiEEPiN6hipcub22TransformInputIteratorIsNS7_6CastOpIsEEPslEEPfsNS7_8EqualityENS7_3SumENS0_19lookback_scan_stateINS_5tupleIJibEEELb0ELb1EEEiEEvT2_T3_T4_T5_T6_T7_T8_mmmPKNSH_IJT9_bEEE.kd
    .uniform_work_group_size: 1
    .uses_dynamic_stack: false
    .vgpr_count:     75
    .vgpr_spill_count: 0
    .wavefront_size: 64
  - .args:
      - .address_space:  global
        .offset:         0
        .size:           8
        .value_kind:     global_buffer
      - .offset:         8
        .size:           16
        .value_kind:     by_value
      - .address_space:  global
        .offset:         24
        .size:           8
        .value_kind:     global_buffer
      - .offset:         32
        .size:           2
        .value_kind:     by_value
      - .offset:         34
        .size:           1
        .value_kind:     by_value
      - .offset:         35
        .size:           1
        .value_kind:     by_value
      - .address_space:  global
        .offset:         40
        .size:           8
        .value_kind:     global_buffer
      - .offset:         48
        .size:           8
        .value_kind:     by_value
      - .offset:         56
        .size:           8
        .value_kind:     by_value
      - .offset:         64
        .size:           8
        .value_kind:     by_value
      - .address_space:  global
        .offset:         72
        .size:           8
        .value_kind:     global_buffer
    .group_segment_fixed_size: 0
    .kernarg_segment_align: 8
    .kernarg_segment_size: 80
    .language:       OpenCL C
    .language_version:
      - 2
      - 0
    .max_flat_workgroup_size: 256
    .name:           _ZN7rocprim6detail25device_scan_by_key_kernelILNS0_25lookback_scan_determinismE0ELb1ENS0_26wrapped_scan_by_key_configINS_14default_configEisEEPiN6hipcub22TransformInputIteratorIsNS7_6CastOpIsEEPslEEPfsNS7_8EqualityENS7_3MaxENS0_19lookback_scan_stateINS_5tupleIJsbEEELb1ELb1EEEsEEvT2_T3_T4_T5_T6_T7_T8_mmmPKNSH_IJT9_bEEE
    .private_segment_fixed_size: 0
    .sgpr_count:     4
    .sgpr_spill_count: 0
    .symbol:         _ZN7rocprim6detail25device_scan_by_key_kernelILNS0_25lookback_scan_determinismE0ELb1ENS0_26wrapped_scan_by_key_configINS_14default_configEisEEPiN6hipcub22TransformInputIteratorIsNS7_6CastOpIsEEPslEEPfsNS7_8EqualityENS7_3MaxENS0_19lookback_scan_stateINS_5tupleIJsbEEELb1ELb1EEEsEEvT2_T3_T4_T5_T6_T7_T8_mmmPKNSH_IJT9_bEEE.kd
    .uniform_work_group_size: 1
    .uses_dynamic_stack: false
    .vgpr_count:     0
    .vgpr_spill_count: 0
    .wavefront_size: 64
  - .args:
      - .address_space:  global
        .offset:         0
        .size:           8
        .value_kind:     global_buffer
      - .offset:         8
        .size:           16
        .value_kind:     by_value
      - .address_space:  global
        .offset:         24
        .size:           8
        .value_kind:     global_buffer
      - .offset:         32
        .size:           2
        .value_kind:     by_value
      - .offset:         34
        .size:           1
        .value_kind:     by_value
      - .offset:         35
        .size:           1
        .value_kind:     by_value
      - .address_space:  global
        .offset:         40
        .size:           8
        .value_kind:     global_buffer
      - .offset:         48
        .size:           8
        .value_kind:     by_value
      - .offset:         56
        .size:           8
        .value_kind:     by_value
      - .offset:         64
        .size:           8
        .value_kind:     by_value
      - .address_space:  global
        .offset:         72
        .size:           8
        .value_kind:     global_buffer
    .group_segment_fixed_size: 16384
    .kernarg_segment_align: 8
    .kernarg_segment_size: 80
    .language:       OpenCL C
    .language_version:
      - 2
      - 0
    .max_flat_workgroup_size: 256
    .name:           _ZN7rocprim6detail25device_scan_by_key_kernelILNS0_25lookback_scan_determinismE0ELb1ENS0_26wrapped_scan_by_key_configINS_14default_configEisEEPiN6hipcub22TransformInputIteratorIsNS7_6CastOpIsEEPslEEPfsNS7_8EqualityENS7_3MaxENS0_19lookback_scan_stateINS_5tupleIJsbEEELb0ELb1EEEsEEvT2_T3_T4_T5_T6_T7_T8_mmmPKNSH_IJT9_bEEE
    .private_segment_fixed_size: 0
    .sgpr_count:     58
    .sgpr_spill_count: 0
    .symbol:         _ZN7rocprim6detail25device_scan_by_key_kernelILNS0_25lookback_scan_determinismE0ELb1ENS0_26wrapped_scan_by_key_configINS_14default_configEisEEPiN6hipcub22TransformInputIteratorIsNS7_6CastOpIsEEPslEEPfsNS7_8EqualityENS7_3MaxENS0_19lookback_scan_stateINS_5tupleIJsbEEELb0ELb1EEEsEEvT2_T3_T4_T5_T6_T7_T8_mmmPKNSH_IJT9_bEEE.kd
    .uniform_work_group_size: 1
    .uses_dynamic_stack: false
    .vgpr_count:     51
    .vgpr_spill_count: 0
    .wavefront_size: 64
  - .args:
      - .address_space:  global
        .offset:         0
        .size:           8
        .value_kind:     global_buffer
      - .offset:         8
        .size:           16
        .value_kind:     by_value
      - .address_space:  global
        .offset:         24
        .size:           8
        .value_kind:     global_buffer
      - .offset:         32
        .size:           8
        .value_kind:     by_value
      - .offset:         40
        .size:           1
        .value_kind:     by_value
      - .offset:         41
        .size:           1
        .value_kind:     by_value
      - .offset:         48
        .size:           24
        .value_kind:     by_value
      - .offset:         72
        .size:           8
        .value_kind:     by_value
      - .offset:         80
        .size:           8
        .value_kind:     by_value
      - .offset:         88
        .size:           8
        .value_kind:     by_value
      - .address_space:  global
        .offset:         96
        .size:           8
        .value_kind:     global_buffer
    .group_segment_fixed_size: 0
    .kernarg_segment_align: 8
    .kernarg_segment_size: 104
    .language:       OpenCL C
    .language_version:
      - 2
      - 0
    .max_flat_workgroup_size: 64
    .name:           _ZN7rocprim6detail25device_scan_by_key_kernelILNS0_25lookback_scan_determinismE0ELb1ENS0_26wrapped_scan_by_key_configINS_14default_configEimEEPiN6hipcub22TransformInputIteratorImNS7_6CastOpImEEPmlEESB_mNS7_8EqualityENS7_3SumENS0_19lookback_scan_stateINS_5tupleIJmbEEELb1ELb0EEEmEEvT2_T3_T4_T5_T6_T7_T8_mmmPKNSG_IJT9_bEEE
    .private_segment_fixed_size: 0
    .sgpr_count:     4
    .sgpr_spill_count: 0
    .symbol:         _ZN7rocprim6detail25device_scan_by_key_kernelILNS0_25lookback_scan_determinismE0ELb1ENS0_26wrapped_scan_by_key_configINS_14default_configEimEEPiN6hipcub22TransformInputIteratorImNS7_6CastOpImEEPmlEESB_mNS7_8EqualityENS7_3SumENS0_19lookback_scan_stateINS_5tupleIJmbEEELb1ELb0EEEmEEvT2_T3_T4_T5_T6_T7_T8_mmmPKNSG_IJT9_bEEE.kd
    .uniform_work_group_size: 1
    .uses_dynamic_stack: false
    .vgpr_count:     0
    .vgpr_spill_count: 0
    .wavefront_size: 64
  - .args:
      - .address_space:  global
        .offset:         0
        .size:           8
        .value_kind:     global_buffer
      - .offset:         8
        .size:           16
        .value_kind:     by_value
      - .address_space:  global
        .offset:         24
        .size:           8
        .value_kind:     global_buffer
      - .offset:         32
        .size:           8
        .value_kind:     by_value
      - .offset:         40
        .size:           1
        .value_kind:     by_value
      - .offset:         41
        .size:           1
        .value_kind:     by_value
      - .offset:         48
        .size:           24
        .value_kind:     by_value
      - .offset:         72
        .size:           8
        .value_kind:     by_value
      - .offset:         80
        .size:           8
        .value_kind:     by_value
      - .offset:         88
        .size:           8
        .value_kind:     by_value
      - .address_space:  global
        .offset:         96
        .size:           8
        .value_kind:     global_buffer
    .group_segment_fixed_size: 7680
    .kernarg_segment_align: 8
    .kernarg_segment_size: 104
    .language:       OpenCL C
    .language_version:
      - 2
      - 0
    .max_flat_workgroup_size: 64
    .name:           _ZN7rocprim6detail25device_scan_by_key_kernelILNS0_25lookback_scan_determinismE0ELb1ENS0_26wrapped_scan_by_key_configINS_14default_configEimEEPiN6hipcub22TransformInputIteratorImNS7_6CastOpImEEPmlEESB_mNS7_8EqualityENS7_3SumENS0_19lookback_scan_stateINS_5tupleIJmbEEELb0ELb0EEEmEEvT2_T3_T4_T5_T6_T7_T8_mmmPKNSG_IJT9_bEEE
    .private_segment_fixed_size: 0
    .sgpr_count:     94
    .sgpr_spill_count: 0
    .symbol:         _ZN7rocprim6detail25device_scan_by_key_kernelILNS0_25lookback_scan_determinismE0ELb1ENS0_26wrapped_scan_by_key_configINS_14default_configEimEEPiN6hipcub22TransformInputIteratorImNS7_6CastOpImEEPmlEESB_mNS7_8EqualityENS7_3SumENS0_19lookback_scan_stateINS_5tupleIJmbEEELb0ELb0EEEmEEvT2_T3_T4_T5_T6_T7_T8_mmmPKNSG_IJT9_bEEE.kd
    .uniform_work_group_size: 1
    .uses_dynamic_stack: false
    .vgpr_count:     104
    .vgpr_spill_count: 0
    .wavefront_size: 64
  - .args:
      - .address_space:  global
        .offset:         0
        .size:           8
        .value_kind:     global_buffer
      - .offset:         8
        .size:           16
        .value_kind:     by_value
      - .address_space:  global
        .offset:         24
        .size:           8
        .value_kind:     global_buffer
      - .offset:         32
        .size:           8
        .value_kind:     by_value
      - .offset:         40
        .size:           1
        .value_kind:     by_value
      - .offset:         41
        .size:           1
        .value_kind:     by_value
      - .offset:         48
        .size:           24
        .value_kind:     by_value
      - .offset:         72
        .size:           8
        .value_kind:     by_value
      - .offset:         80
        .size:           8
        .value_kind:     by_value
      - .offset:         88
        .size:           8
        .value_kind:     by_value
      - .address_space:  global
        .offset:         96
        .size:           8
        .value_kind:     global_buffer
    .group_segment_fixed_size: 0
    .kernarg_segment_align: 8
    .kernarg_segment_size: 104
    .language:       OpenCL C
    .language_version:
      - 2
      - 0
    .max_flat_workgroup_size: 64
    .name:           _ZN7rocprim6detail25device_scan_by_key_kernelILNS0_25lookback_scan_determinismE0ELb1ENS0_26wrapped_scan_by_key_configINS_14default_configEiyEEPiN6hipcub22TransformInputIteratorIyNS7_6CastOpIyEEPylEESB_yNS7_8EqualityENS7_3SumENS0_19lookback_scan_stateINS_5tupleIJybEEELb1ELb0EEEyEEvT2_T3_T4_T5_T6_T7_T8_mmmPKNSG_IJT9_bEEE
    .private_segment_fixed_size: 0
    .sgpr_count:     4
    .sgpr_spill_count: 0
    .symbol:         _ZN7rocprim6detail25device_scan_by_key_kernelILNS0_25lookback_scan_determinismE0ELb1ENS0_26wrapped_scan_by_key_configINS_14default_configEiyEEPiN6hipcub22TransformInputIteratorIyNS7_6CastOpIyEEPylEESB_yNS7_8EqualityENS7_3SumENS0_19lookback_scan_stateINS_5tupleIJybEEELb1ELb0EEEyEEvT2_T3_T4_T5_T6_T7_T8_mmmPKNSG_IJT9_bEEE.kd
    .uniform_work_group_size: 1
    .uses_dynamic_stack: false
    .vgpr_count:     0
    .vgpr_spill_count: 0
    .wavefront_size: 64
  - .args:
      - .address_space:  global
        .offset:         0
        .size:           8
        .value_kind:     global_buffer
      - .offset:         8
        .size:           16
        .value_kind:     by_value
      - .address_space:  global
        .offset:         24
        .size:           8
        .value_kind:     global_buffer
      - .offset:         32
        .size:           8
        .value_kind:     by_value
      - .offset:         40
        .size:           1
        .value_kind:     by_value
      - .offset:         41
        .size:           1
        .value_kind:     by_value
      - .offset:         48
        .size:           24
        .value_kind:     by_value
      - .offset:         72
        .size:           8
        .value_kind:     by_value
      - .offset:         80
        .size:           8
        .value_kind:     by_value
      - .offset:         88
        .size:           8
        .value_kind:     by_value
      - .address_space:  global
        .offset:         96
        .size:           8
        .value_kind:     global_buffer
    .group_segment_fixed_size: 7680
    .kernarg_segment_align: 8
    .kernarg_segment_size: 104
    .language:       OpenCL C
    .language_version:
      - 2
      - 0
    .max_flat_workgroup_size: 64
    .name:           _ZN7rocprim6detail25device_scan_by_key_kernelILNS0_25lookback_scan_determinismE0ELb1ENS0_26wrapped_scan_by_key_configINS_14default_configEiyEEPiN6hipcub22TransformInputIteratorIyNS7_6CastOpIyEEPylEESB_yNS7_8EqualityENS7_3SumENS0_19lookback_scan_stateINS_5tupleIJybEEELb0ELb0EEEyEEvT2_T3_T4_T5_T6_T7_T8_mmmPKNSG_IJT9_bEEE
    .private_segment_fixed_size: 0
    .sgpr_count:     94
    .sgpr_spill_count: 0
    .symbol:         _ZN7rocprim6detail25device_scan_by_key_kernelILNS0_25lookback_scan_determinismE0ELb1ENS0_26wrapped_scan_by_key_configINS_14default_configEiyEEPiN6hipcub22TransformInputIteratorIyNS7_6CastOpIyEEPylEESB_yNS7_8EqualityENS7_3SumENS0_19lookback_scan_stateINS_5tupleIJybEEELb0ELb0EEEyEEvT2_T3_T4_T5_T6_T7_T8_mmmPKNSG_IJT9_bEEE.kd
    .uniform_work_group_size: 1
    .uses_dynamic_stack: false
    .vgpr_count:     104
    .vgpr_spill_count: 0
    .wavefront_size: 64
  - .args:
      - .address_space:  global
        .offset:         0
        .size:           8
        .value_kind:     global_buffer
      - .offset:         8
        .size:           16
        .value_kind:     by_value
      - .address_space:  global
        .offset:         24
        .size:           8
        .value_kind:     global_buffer
      - .offset:         32
        .size:           8
        .value_kind:     by_value
      - .offset:         40
        .size:           1
        .value_kind:     by_value
      - .offset:         41
        .size:           1
        .value_kind:     by_value
      - .offset:         48
        .size:           24
        .value_kind:     by_value
      - .offset:         72
        .size:           8
        .value_kind:     by_value
      - .offset:         80
        .size:           8
        .value_kind:     by_value
      - .offset:         88
        .size:           8
        .value_kind:     by_value
      - .address_space:  global
        .offset:         96
        .size:           8
        .value_kind:     global_buffer
    .group_segment_fixed_size: 0
    .kernarg_segment_align: 8
    .kernarg_segment_size: 104
    .language:       OpenCL C
    .language_version:
      - 2
      - 0
    .max_flat_workgroup_size: 64
    .name:           _ZN7rocprim6detail25device_scan_by_key_kernelILNS0_25lookback_scan_determinismE0ELb1ENS0_26wrapped_scan_by_key_configINS_14default_configEiyEEPiN6hipcub22TransformInputIteratorIyNS7_6CastOpIyEEPylEESB_yNS7_8EqualityENS7_3MinENS0_19lookback_scan_stateINS_5tupleIJybEEELb1ELb0EEEyEEvT2_T3_T4_T5_T6_T7_T8_mmmPKNSG_IJT9_bEEE
    .private_segment_fixed_size: 0
    .sgpr_count:     4
    .sgpr_spill_count: 0
    .symbol:         _ZN7rocprim6detail25device_scan_by_key_kernelILNS0_25lookback_scan_determinismE0ELb1ENS0_26wrapped_scan_by_key_configINS_14default_configEiyEEPiN6hipcub22TransformInputIteratorIyNS7_6CastOpIyEEPylEESB_yNS7_8EqualityENS7_3MinENS0_19lookback_scan_stateINS_5tupleIJybEEELb1ELb0EEEyEEvT2_T3_T4_T5_T6_T7_T8_mmmPKNSG_IJT9_bEEE.kd
    .uniform_work_group_size: 1
    .uses_dynamic_stack: false
    .vgpr_count:     0
    .vgpr_spill_count: 0
    .wavefront_size: 64
  - .args:
      - .address_space:  global
        .offset:         0
        .size:           8
        .value_kind:     global_buffer
      - .offset:         8
        .size:           16
        .value_kind:     by_value
      - .address_space:  global
        .offset:         24
        .size:           8
        .value_kind:     global_buffer
      - .offset:         32
        .size:           8
        .value_kind:     by_value
      - .offset:         40
        .size:           1
        .value_kind:     by_value
      - .offset:         41
        .size:           1
        .value_kind:     by_value
      - .offset:         48
        .size:           24
        .value_kind:     by_value
      - .offset:         72
        .size:           8
        .value_kind:     by_value
      - .offset:         80
        .size:           8
        .value_kind:     by_value
      - .offset:         88
        .size:           8
        .value_kind:     by_value
      - .address_space:  global
        .offset:         96
        .size:           8
        .value_kind:     global_buffer
    .group_segment_fixed_size: 7680
    .kernarg_segment_align: 8
    .kernarg_segment_size: 104
    .language:       OpenCL C
    .language_version:
      - 2
      - 0
    .max_flat_workgroup_size: 64
    .name:           _ZN7rocprim6detail25device_scan_by_key_kernelILNS0_25lookback_scan_determinismE0ELb1ENS0_26wrapped_scan_by_key_configINS_14default_configEiyEEPiN6hipcub22TransformInputIteratorIyNS7_6CastOpIyEEPylEESB_yNS7_8EqualityENS7_3MinENS0_19lookback_scan_stateINS_5tupleIJybEEELb0ELb0EEEyEEvT2_T3_T4_T5_T6_T7_T8_mmmPKNSG_IJT9_bEEE
    .private_segment_fixed_size: 0
    .sgpr_count:     94
    .sgpr_spill_count: 0
    .symbol:         _ZN7rocprim6detail25device_scan_by_key_kernelILNS0_25lookback_scan_determinismE0ELb1ENS0_26wrapped_scan_by_key_configINS_14default_configEiyEEPiN6hipcub22TransformInputIteratorIyNS7_6CastOpIyEEPylEESB_yNS7_8EqualityENS7_3MinENS0_19lookback_scan_stateINS_5tupleIJybEEELb0ELb0EEEyEEvT2_T3_T4_T5_T6_T7_T8_mmmPKNSG_IJT9_bEEE.kd
    .uniform_work_group_size: 1
    .uses_dynamic_stack: false
    .vgpr_count:     104
    .vgpr_spill_count: 0
    .wavefront_size: 64
  - .args:
      - .address_space:  global
        .offset:         0
        .size:           8
        .value_kind:     global_buffer
      - .offset:         8
        .size:           4
        .value_kind:     by_value
      - .offset:         12
        .size:           4
        .value_kind:     by_value
      - .address_space:  global
        .offset:         16
        .size:           8
        .value_kind:     global_buffer
      - .offset:         24
        .size:           4
        .value_kind:     hidden_block_count_x
      - .offset:         28
        .size:           4
        .value_kind:     hidden_block_count_y
      - .offset:         32
        .size:           4
        .value_kind:     hidden_block_count_z
      - .offset:         36
        .size:           2
        .value_kind:     hidden_group_size_x
      - .offset:         38
        .size:           2
        .value_kind:     hidden_group_size_y
      - .offset:         40
        .size:           2
        .value_kind:     hidden_group_size_z
      - .offset:         42
        .size:           2
        .value_kind:     hidden_remainder_x
      - .offset:         44
        .size:           2
        .value_kind:     hidden_remainder_y
      - .offset:         46
        .size:           2
        .value_kind:     hidden_remainder_z
      - .offset:         64
        .size:           8
        .value_kind:     hidden_global_offset_x
      - .offset:         72
        .size:           8
        .value_kind:     hidden_global_offset_y
      - .offset:         80
        .size:           8
        .value_kind:     hidden_global_offset_z
      - .offset:         88
        .size:           2
        .value_kind:     hidden_grid_dims
    .group_segment_fixed_size: 0
    .kernarg_segment_align: 8
    .kernarg_segment_size: 280
    .language:       OpenCL C
    .language_version:
      - 2
      - 0
    .max_flat_workgroup_size: 256
    .name:           _ZN7rocprim6detail31init_lookback_scan_state_kernelINS0_19lookback_scan_stateIjLb1ELb1EEEEEvT_jjPNS4_10value_typeE
    .private_segment_fixed_size: 0
    .sgpr_count:     16
    .sgpr_spill_count: 0
    .symbol:         _ZN7rocprim6detail31init_lookback_scan_state_kernelINS0_19lookback_scan_stateIjLb1ELb1EEEEEvT_jjPNS4_10value_typeE.kd
    .uniform_work_group_size: 1
    .uses_dynamic_stack: false
    .vgpr_count:     6
    .vgpr_spill_count: 0
    .wavefront_size: 64
  - .args:
      - .address_space:  global
        .offset:         0
        .size:           8
        .value_kind:     global_buffer
      - .offset:         8
        .size:           4
        .value_kind:     by_value
      - .offset:         12
        .size:           4
        .value_kind:     by_value
      - .address_space:  global
        .offset:         16
        .size:           8
        .value_kind:     global_buffer
      - .offset:         24
        .size:           4
        .value_kind:     hidden_block_count_x
      - .offset:         28
        .size:           4
        .value_kind:     hidden_block_count_y
      - .offset:         32
        .size:           4
        .value_kind:     hidden_block_count_z
      - .offset:         36
        .size:           2
        .value_kind:     hidden_group_size_x
      - .offset:         38
        .size:           2
        .value_kind:     hidden_group_size_y
      - .offset:         40
        .size:           2
        .value_kind:     hidden_group_size_z
      - .offset:         42
        .size:           2
        .value_kind:     hidden_remainder_x
      - .offset:         44
        .size:           2
        .value_kind:     hidden_remainder_y
      - .offset:         46
        .size:           2
        .value_kind:     hidden_remainder_z
      - .offset:         64
        .size:           8
        .value_kind:     hidden_global_offset_x
      - .offset:         72
        .size:           8
        .value_kind:     hidden_global_offset_y
      - .offset:         80
        .size:           8
        .value_kind:     hidden_global_offset_z
      - .offset:         88
        .size:           2
        .value_kind:     hidden_grid_dims
    .group_segment_fixed_size: 0
    .kernarg_segment_align: 8
    .kernarg_segment_size: 280
    .language:       OpenCL C
    .language_version:
      - 2
      - 0
    .max_flat_workgroup_size: 256
    .name:           _ZN7rocprim6detail31init_lookback_scan_state_kernelINS0_19lookback_scan_stateIjLb0ELb1EEEEEvT_jjPNS4_10value_typeE
    .private_segment_fixed_size: 0
    .sgpr_count:     14
    .sgpr_spill_count: 0
    .symbol:         _ZN7rocprim6detail31init_lookback_scan_state_kernelINS0_19lookback_scan_stateIjLb0ELb1EEEEEvT_jjPNS4_10value_typeE.kd
    .uniform_work_group_size: 1
    .uses_dynamic_stack: false
    .vgpr_count:     6
    .vgpr_spill_count: 0
    .wavefront_size: 64
  - .args:
      - .offset:         0
        .size:           4
        .value_kind:     by_value
      - .offset:         8
        .size:           24
        .value_kind:     by_value
      - .offset:         32
        .size:           8
        .value_kind:     by_value
      - .offset:         40
        .size:           4
        .value_kind:     by_value
      - .offset:         44
        .size:           1
        .value_kind:     by_value
      - .address_space:  global
        .offset:         48
        .size:           8
        .value_kind:     global_buffer
      - .offset:         56
        .size:           4
        .value_kind:     by_value
      - .address_space:  global
        .offset:         64
        .size:           8
        .value_kind:     global_buffer
      - .address_space:  global
        .offset:         72
        .size:           8
        .value_kind:     global_buffer
      - .offset:         80
        .size:           1
        .value_kind:     by_value
      - .offset:         81
        .size:           1
        .value_kind:     by_value
    .group_segment_fixed_size: 0
    .kernarg_segment_align: 8
    .kernarg_segment_size: 84
    .language:       OpenCL C
    .language_version:
      - 2
      - 0
    .max_flat_workgroup_size: 256
    .name:           _ZN7rocprim6detail20lookback_scan_kernelILNS0_25lookback_scan_determinismE0ELb0ENS0_19wrapped_scan_configINS_14default_configEjEEN6hipcub21CountingInputIteratorIjlEEN10test_utils21single_index_iteratorIjEENS6_3SumEjjNS0_19lookback_scan_stateIjLb1ELb1EEEEEvT2_T3_mT5_T4_T7_jPT6_SL_bb
    .private_segment_fixed_size: 0
    .sgpr_count:     4
    .sgpr_spill_count: 0
    .symbol:         _ZN7rocprim6detail20lookback_scan_kernelILNS0_25lookback_scan_determinismE0ELb0ENS0_19wrapped_scan_configINS_14default_configEjEEN6hipcub21CountingInputIteratorIjlEEN10test_utils21single_index_iteratorIjEENS6_3SumEjjNS0_19lookback_scan_stateIjLb1ELb1EEEEEvT2_T3_mT5_T4_T7_jPT6_SL_bb.kd
    .uniform_work_group_size: 1
    .uses_dynamic_stack: false
    .vgpr_count:     0
    .vgpr_spill_count: 0
    .wavefront_size: 64
  - .args:
      - .offset:         0
        .size:           4
        .value_kind:     by_value
      - .offset:         8
        .size:           24
        .value_kind:     by_value
      - .offset:         32
        .size:           8
        .value_kind:     by_value
      - .offset:         40
        .size:           4
        .value_kind:     by_value
      - .offset:         44
        .size:           1
        .value_kind:     by_value
      - .address_space:  global
        .offset:         48
        .size:           8
        .value_kind:     global_buffer
      - .offset:         56
        .size:           4
        .value_kind:     by_value
      - .address_space:  global
        .offset:         64
        .size:           8
        .value_kind:     global_buffer
      - .address_space:  global
        .offset:         72
        .size:           8
        .value_kind:     global_buffer
      - .offset:         80
        .size:           1
        .value_kind:     by_value
      - .offset:         81
        .size:           1
        .value_kind:     by_value
    .group_segment_fixed_size: 15360
    .kernarg_segment_align: 8
    .kernarg_segment_size: 84
    .language:       OpenCL C
    .language_version:
      - 2
      - 0
    .max_flat_workgroup_size: 256
    .name:           _ZN7rocprim6detail20lookback_scan_kernelILNS0_25lookback_scan_determinismE0ELb0ENS0_19wrapped_scan_configINS_14default_configEjEEN6hipcub21CountingInputIteratorIjlEEN10test_utils21single_index_iteratorIjEENS6_3SumEjjNS0_19lookback_scan_stateIjLb0ELb1EEEEEvT2_T3_mT5_T4_T7_jPT6_SL_bb
    .private_segment_fixed_size: 0
    .sgpr_count:     48
    .sgpr_spill_count: 0
    .symbol:         _ZN7rocprim6detail20lookback_scan_kernelILNS0_25lookback_scan_determinismE0ELb0ENS0_19wrapped_scan_configINS_14default_configEjEEN6hipcub21CountingInputIteratorIjlEEN10test_utils21single_index_iteratorIjEENS6_3SumEjjNS0_19lookback_scan_stateIjLb0ELb1EEEEEvT2_T3_mT5_T4_T7_jPT6_SL_bb.kd
    .uniform_work_group_size: 1
    .uses_dynamic_stack: false
    .vgpr_count:     44
    .vgpr_spill_count: 0
    .wavefront_size: 64
  - .args:
      - .address_space:  global
        .offset:         0
        .size:           8
        .value_kind:     global_buffer
      - .offset:         8
        .size:           8
        .value_kind:     by_value
      - .address_space:  global
        .offset:         16
        .size:           8
        .value_kind:     global_buffer
      - .offset:         24
        .size:           1
        .value_kind:     by_value
      - .offset:         32
        .size:           4
        .value_kind:     hidden_block_count_x
      - .offset:         36
        .size:           4
        .value_kind:     hidden_block_count_y
      - .offset:         40
        .size:           4
        .value_kind:     hidden_block_count_z
      - .offset:         44
        .size:           2
        .value_kind:     hidden_group_size_x
      - .offset:         46
        .size:           2
        .value_kind:     hidden_group_size_y
      - .offset:         48
        .size:           2
        .value_kind:     hidden_group_size_z
      - .offset:         50
        .size:           2
        .value_kind:     hidden_remainder_x
      - .offset:         52
        .size:           2
        .value_kind:     hidden_remainder_y
      - .offset:         54
        .size:           2
        .value_kind:     hidden_remainder_z
      - .offset:         72
        .size:           8
        .value_kind:     hidden_global_offset_x
      - .offset:         80
        .size:           8
        .value_kind:     hidden_global_offset_y
      - .offset:         88
        .size:           8
        .value_kind:     hidden_global_offset_z
      - .offset:         96
        .size:           2
        .value_kind:     hidden_grid_dims
    .group_segment_fixed_size: 0
    .kernarg_segment_align: 8
    .kernarg_segment_size: 288
    .language:       OpenCL C
    .language_version:
      - 2
      - 0
    .max_flat_workgroup_size: 1024
    .name:           _ZN7rocprim6detail16transform_kernelINS0_24wrapped_transform_configINS_14default_configEjEEjPjS5_NS_8identityIjEEEEvT1_mT2_T3_
    .private_segment_fixed_size: 0
    .sgpr_count:     16
    .sgpr_spill_count: 0
    .symbol:         _ZN7rocprim6detail16transform_kernelINS0_24wrapped_transform_configINS_14default_configEjEEjPjS5_NS_8identityIjEEEEvT1_mT2_T3_.kd
    .uniform_work_group_size: 1
    .uses_dynamic_stack: false
    .vgpr_count:     8
    .vgpr_spill_count: 0
    .wavefront_size: 64
  - .args:
      - .offset:         0
        .size:           4
        .value_kind:     by_value
      - .offset:         8
        .size:           8
        .value_kind:     by_value
      - .offset:         16
        .size:           4
        .value_kind:     by_value
      - .offset:         24
        .size:           24
        .value_kind:     by_value
      - .offset:         48
        .size:           1
        .value_kind:     by_value
    .group_segment_fixed_size: 15360
    .kernarg_segment_align: 8
    .kernarg_segment_size: 52
    .language:       OpenCL C
    .language_version:
      - 2
      - 0
    .max_flat_workgroup_size: 256
    .name:           _ZN7rocprim6detail18single_scan_kernelILb0ENS0_19wrapped_scan_configINS_14default_configEjEEN6hipcub21CountingInputIteratorIjlEEN10test_utils21single_index_iteratorIjEENS5_3SumEjjEEvT1_mT4_T2_T3_
    .private_segment_fixed_size: 0
    .sgpr_count:     44
    .sgpr_spill_count: 0
    .symbol:         _ZN7rocprim6detail18single_scan_kernelILb0ENS0_19wrapped_scan_configINS_14default_configEjEEN6hipcub21CountingInputIteratorIjlEEN10test_utils21single_index_iteratorIjEENS5_3SumEjjEEvT1_mT4_T2_T3_.kd
    .uniform_work_group_size: 1
    .uses_dynamic_stack: false
    .vgpr_count:     40
    .vgpr_spill_count: 0
    .wavefront_size: 64
  - .args:
      - .offset:         0
        .size:           4
        .value_kind:     by_value
      - .offset:         8
        .size:           24
        .value_kind:     by_value
      - .offset:         32
        .size:           8
        .value_kind:     by_value
      - .offset:         40
        .size:           4
        .value_kind:     by_value
      - .offset:         44
        .size:           1
        .value_kind:     by_value
      - .address_space:  global
        .offset:         48
        .size:           8
        .value_kind:     global_buffer
      - .offset:         56
        .size:           4
        .value_kind:     by_value
      - .address_space:  global
        .offset:         64
        .size:           8
        .value_kind:     global_buffer
      - .address_space:  global
        .offset:         72
        .size:           8
        .value_kind:     global_buffer
      - .offset:         80
        .size:           1
        .value_kind:     by_value
      - .offset:         81
        .size:           1
        .value_kind:     by_value
    .group_segment_fixed_size: 0
    .kernarg_segment_align: 8
    .kernarg_segment_size: 84
    .language:       OpenCL C
    .language_version:
      - 2
      - 0
    .max_flat_workgroup_size: 256
    .name:           _ZN7rocprim6detail20lookback_scan_kernelILNS0_25lookback_scan_determinismE0ELb1ENS0_19wrapped_scan_configINS_14default_configEjEEN6hipcub21CountingInputIteratorIjlEEN10test_utils21single_index_iteratorIjEENS6_3SumEjjNS0_19lookback_scan_stateIjLb1ELb1EEEEEvT2_T3_mT5_T4_T7_jPT6_SL_bb
    .private_segment_fixed_size: 0
    .sgpr_count:     4
    .sgpr_spill_count: 0
    .symbol:         _ZN7rocprim6detail20lookback_scan_kernelILNS0_25lookback_scan_determinismE0ELb1ENS0_19wrapped_scan_configINS_14default_configEjEEN6hipcub21CountingInputIteratorIjlEEN10test_utils21single_index_iteratorIjEENS6_3SumEjjNS0_19lookback_scan_stateIjLb1ELb1EEEEEvT2_T3_mT5_T4_T7_jPT6_SL_bb.kd
    .uniform_work_group_size: 1
    .uses_dynamic_stack: false
    .vgpr_count:     0
    .vgpr_spill_count: 0
    .wavefront_size: 64
  - .args:
      - .offset:         0
        .size:           4
        .value_kind:     by_value
      - .offset:         8
        .size:           24
        .value_kind:     by_value
      - .offset:         32
        .size:           8
        .value_kind:     by_value
      - .offset:         40
        .size:           4
        .value_kind:     by_value
      - .offset:         44
        .size:           1
        .value_kind:     by_value
      - .address_space:  global
        .offset:         48
        .size:           8
        .value_kind:     global_buffer
      - .offset:         56
        .size:           4
        .value_kind:     by_value
      - .address_space:  global
        .offset:         64
        .size:           8
        .value_kind:     global_buffer
      - .address_space:  global
        .offset:         72
        .size:           8
        .value_kind:     global_buffer
      - .offset:         80
        .size:           1
        .value_kind:     by_value
      - .offset:         81
        .size:           1
        .value_kind:     by_value
    .group_segment_fixed_size: 15360
    .kernarg_segment_align: 8
    .kernarg_segment_size: 84
    .language:       OpenCL C
    .language_version:
      - 2
      - 0
    .max_flat_workgroup_size: 256
    .name:           _ZN7rocprim6detail20lookback_scan_kernelILNS0_25lookback_scan_determinismE0ELb1ENS0_19wrapped_scan_configINS_14default_configEjEEN6hipcub21CountingInputIteratorIjlEEN10test_utils21single_index_iteratorIjEENS6_3SumEjjNS0_19lookback_scan_stateIjLb0ELb1EEEEEvT2_T3_mT5_T4_T7_jPT6_SL_bb
    .private_segment_fixed_size: 0
    .sgpr_count:     48
    .sgpr_spill_count: 0
    .symbol:         _ZN7rocprim6detail20lookback_scan_kernelILNS0_25lookback_scan_determinismE0ELb1ENS0_19wrapped_scan_configINS_14default_configEjEEN6hipcub21CountingInputIteratorIjlEEN10test_utils21single_index_iteratorIjEENS6_3SumEjjNS0_19lookback_scan_stateIjLb0ELb1EEEEEvT2_T3_mT5_T4_T7_jPT6_SL_bb.kd
    .uniform_work_group_size: 1
    .uses_dynamic_stack: false
    .vgpr_count:     45
    .vgpr_spill_count: 0
    .wavefront_size: 64
  - .args:
      - .offset:         0
        .size:           4
        .value_kind:     by_value
      - .offset:         8
        .size:           8
        .value_kind:     by_value
      - .offset:         16
        .size:           4
        .value_kind:     by_value
      - .offset:         24
        .size:           24
        .value_kind:     by_value
      - .offset:         48
        .size:           1
        .value_kind:     by_value
    .group_segment_fixed_size: 15360
    .kernarg_segment_align: 8
    .kernarg_segment_size: 52
    .language:       OpenCL C
    .language_version:
      - 2
      - 0
    .max_flat_workgroup_size: 256
    .name:           _ZN7rocprim6detail18single_scan_kernelILb1ENS0_19wrapped_scan_configINS_14default_configEjEEN6hipcub21CountingInputIteratorIjlEEN10test_utils21single_index_iteratorIjEENS5_3SumEjjEEvT1_mT4_T2_T3_
    .private_segment_fixed_size: 0
    .sgpr_count:     46
    .sgpr_spill_count: 0
    .symbol:         _ZN7rocprim6detail18single_scan_kernelILb1ENS0_19wrapped_scan_configINS_14default_configEjEEN6hipcub21CountingInputIteratorIjlEEN10test_utils21single_index_iteratorIjEENS5_3SumEjjEEvT1_mT4_T2_T3_.kd
    .uniform_work_group_size: 1
    .uses_dynamic_stack: false
    .vgpr_count:     26
    .vgpr_spill_count: 0
    .wavefront_size: 64
  - .args:
      - .address_space:  global
        .offset:         0
        .size:           8
        .value_kind:     global_buffer
      - .offset:         8
        .size:           4
        .value_kind:     by_value
      - .offset:         12
        .size:           4
        .value_kind:     by_value
      - .address_space:  global
        .offset:         16
        .size:           8
        .value_kind:     global_buffer
      - .offset:         24
        .size:           4
        .value_kind:     hidden_block_count_x
      - .offset:         28
        .size:           4
        .value_kind:     hidden_block_count_y
      - .offset:         32
        .size:           4
        .value_kind:     hidden_block_count_z
      - .offset:         36
        .size:           2
        .value_kind:     hidden_group_size_x
      - .offset:         38
        .size:           2
        .value_kind:     hidden_group_size_y
      - .offset:         40
        .size:           2
        .value_kind:     hidden_group_size_z
      - .offset:         42
        .size:           2
        .value_kind:     hidden_remainder_x
      - .offset:         44
        .size:           2
        .value_kind:     hidden_remainder_y
      - .offset:         46
        .size:           2
        .value_kind:     hidden_remainder_z
      - .offset:         64
        .size:           8
        .value_kind:     hidden_global_offset_x
      - .offset:         72
        .size:           8
        .value_kind:     hidden_global_offset_y
      - .offset:         80
        .size:           8
        .value_kind:     hidden_global_offset_z
      - .offset:         88
        .size:           2
        .value_kind:     hidden_grid_dims
    .group_segment_fixed_size: 0
    .kernarg_segment_align: 8
    .kernarg_segment_size: 280
    .language:       OpenCL C
    .language_version:
      - 2
      - 0
    .max_flat_workgroup_size: 256
    .name:           _ZN7rocprim6detail31init_lookback_scan_state_kernelINS0_19lookback_scan_stateIlLb1ELb1EEEEEvT_jjPNS4_10value_typeE
    .private_segment_fixed_size: 0
    .sgpr_count:     18
    .sgpr_spill_count: 0
    .symbol:         _ZN7rocprim6detail31init_lookback_scan_state_kernelINS0_19lookback_scan_stateIlLb1ELb1EEEEEvT_jjPNS4_10value_typeE.kd
    .uniform_work_group_size: 1
    .uses_dynamic_stack: false
    .vgpr_count:     8
    .vgpr_spill_count: 0
    .wavefront_size: 64
  - .args:
      - .address_space:  global
        .offset:         0
        .size:           8
        .value_kind:     global_buffer
      - .offset:         8
        .size:           4
        .value_kind:     by_value
      - .offset:         12
        .size:           4
        .value_kind:     by_value
      - .address_space:  global
        .offset:         16
        .size:           8
        .value_kind:     global_buffer
      - .offset:         24
        .size:           4
        .value_kind:     hidden_block_count_x
      - .offset:         28
        .size:           4
        .value_kind:     hidden_block_count_y
      - .offset:         32
        .size:           4
        .value_kind:     hidden_block_count_z
      - .offset:         36
        .size:           2
        .value_kind:     hidden_group_size_x
      - .offset:         38
        .size:           2
        .value_kind:     hidden_group_size_y
      - .offset:         40
        .size:           2
        .value_kind:     hidden_group_size_z
      - .offset:         42
        .size:           2
        .value_kind:     hidden_remainder_x
      - .offset:         44
        .size:           2
        .value_kind:     hidden_remainder_y
      - .offset:         46
        .size:           2
        .value_kind:     hidden_remainder_z
      - .offset:         64
        .size:           8
        .value_kind:     hidden_global_offset_x
      - .offset:         72
        .size:           8
        .value_kind:     hidden_global_offset_y
      - .offset:         80
        .size:           8
        .value_kind:     hidden_global_offset_z
      - .offset:         88
        .size:           2
        .value_kind:     hidden_grid_dims
    .group_segment_fixed_size: 0
    .kernarg_segment_align: 8
    .kernarg_segment_size: 280
    .language:       OpenCL C
    .language_version:
      - 2
      - 0
    .max_flat_workgroup_size: 256
    .name:           _ZN7rocprim6detail31init_lookback_scan_state_kernelINS0_19lookback_scan_stateIlLb0ELb1EEEEEvT_jjPNS4_10value_typeE
    .private_segment_fixed_size: 0
    .sgpr_count:     18
    .sgpr_spill_count: 0
    .symbol:         _ZN7rocprim6detail31init_lookback_scan_state_kernelINS0_19lookback_scan_stateIlLb0ELb1EEEEEvT_jjPNS4_10value_typeE.kd
    .uniform_work_group_size: 1
    .uses_dynamic_stack: false
    .vgpr_count:     8
    .vgpr_spill_count: 0
    .wavefront_size: 64
  - .args:
      - .offset:         0
        .size:           16
        .value_kind:     by_value
      - .address_space:  global
        .offset:         16
        .size:           8
        .value_kind:     global_buffer
      - .offset:         24
        .size:           8
        .value_kind:     by_value
      - .address_space:  global
        .offset:         32
        .size:           8
        .value_kind:     global_buffer
      - .offset:         40
        .size:           1
        .value_kind:     by_value
      - .address_space:  global
        .offset:         48
        .size:           8
        .value_kind:     global_buffer
      - .offset:         56
        .size:           4
        .value_kind:     by_value
      - .address_space:  global
        .offset:         64
        .size:           8
        .value_kind:     global_buffer
      - .address_space:  global
        .offset:         72
        .size:           8
        .value_kind:     global_buffer
      - .offset:         80
        .size:           1
        .value_kind:     by_value
      - .offset:         81
        .size:           1
        .value_kind:     by_value
    .group_segment_fixed_size: 0
    .kernarg_segment_align: 8
    .kernarg_segment_size: 84
    .language:       OpenCL C
    .language_version:
      - 2
      - 0
    .max_flat_workgroup_size: 64
    .name:           _ZN7rocprim6detail20lookback_scan_kernelILNS0_25lookback_scan_determinismE0ELb1ENS0_19wrapped_scan_configINS_14default_configElEEN6hipcub22TransformInputIteratorIiNS6_6CastOpIiEEPilEEPlNS6_3SumENS_12future_valueIlSC_EElNS0_19lookback_scan_stateIlLb1ELb1EEEEEvT2_T3_mT5_T4_T7_jPT6_SO_bb
    .private_segment_fixed_size: 0
    .sgpr_count:     4
    .sgpr_spill_count: 0
    .symbol:         _ZN7rocprim6detail20lookback_scan_kernelILNS0_25lookback_scan_determinismE0ELb1ENS0_19wrapped_scan_configINS_14default_configElEEN6hipcub22TransformInputIteratorIiNS6_6CastOpIiEEPilEEPlNS6_3SumENS_12future_valueIlSC_EElNS0_19lookback_scan_stateIlLb1ELb1EEEEEvT2_T3_mT5_T4_T7_jPT6_SO_bb.kd
    .uniform_work_group_size: 1
    .uses_dynamic_stack: false
    .vgpr_count:     0
    .vgpr_spill_count: 0
    .wavefront_size: 64
  - .args:
      - .offset:         0
        .size:           16
        .value_kind:     by_value
      - .address_space:  global
        .offset:         16
        .size:           8
        .value_kind:     global_buffer
      - .offset:         24
        .size:           8
        .value_kind:     by_value
      - .address_space:  global
        .offset:         32
        .size:           8
        .value_kind:     global_buffer
      - .offset:         40
        .size:           1
        .value_kind:     by_value
      - .address_space:  global
        .offset:         48
        .size:           8
        .value_kind:     global_buffer
      - .offset:         56
        .size:           4
        .value_kind:     by_value
      - .address_space:  global
        .offset:         64
        .size:           8
        .value_kind:     global_buffer
      - .address_space:  global
        .offset:         72
        .size:           8
        .value_kind:     global_buffer
      - .offset:         80
        .size:           1
        .value_kind:     by_value
      - .offset:         81
        .size:           1
        .value_kind:     by_value
    .group_segment_fixed_size: 7168
    .kernarg_segment_align: 8
    .kernarg_segment_size: 84
    .language:       OpenCL C
    .language_version:
      - 2
      - 0
    .max_flat_workgroup_size: 64
    .name:           _ZN7rocprim6detail20lookback_scan_kernelILNS0_25lookback_scan_determinismE0ELb1ENS0_19wrapped_scan_configINS_14default_configElEEN6hipcub22TransformInputIteratorIiNS6_6CastOpIiEEPilEEPlNS6_3SumENS_12future_valueIlSC_EElNS0_19lookback_scan_stateIlLb0ELb1EEEEEvT2_T3_mT5_T4_T7_jPT6_SO_bb
    .private_segment_fixed_size: 0
    .sgpr_count:     30
    .sgpr_spill_count: 0
    .symbol:         _ZN7rocprim6detail20lookback_scan_kernelILNS0_25lookback_scan_determinismE0ELb1ENS0_19wrapped_scan_configINS_14default_configElEEN6hipcub22TransformInputIteratorIiNS6_6CastOpIiEEPilEEPlNS6_3SumENS_12future_valueIlSC_EElNS0_19lookback_scan_stateIlLb0ELb1EEEEEvT2_T3_mT5_T4_T7_jPT6_SO_bb.kd
    .uniform_work_group_size: 1
    .uses_dynamic_stack: false
    .vgpr_count:     65
    .vgpr_spill_count: 0
    .wavefront_size: 64
  - .args:
      - .address_space:  global
        .offset:         0
        .size:           8
        .value_kind:     global_buffer
      - .offset:         8
        .size:           8
        .value_kind:     by_value
      - .address_space:  global
        .offset:         16
        .size:           8
        .value_kind:     global_buffer
      - .offset:         24
        .size:           1
        .value_kind:     by_value
      - .offset:         32
        .size:           4
        .value_kind:     hidden_block_count_x
      - .offset:         36
        .size:           4
        .value_kind:     hidden_block_count_y
      - .offset:         40
        .size:           4
        .value_kind:     hidden_block_count_z
      - .offset:         44
        .size:           2
        .value_kind:     hidden_group_size_x
      - .offset:         46
        .size:           2
        .value_kind:     hidden_group_size_y
      - .offset:         48
        .size:           2
        .value_kind:     hidden_group_size_z
      - .offset:         50
        .size:           2
        .value_kind:     hidden_remainder_x
      - .offset:         52
        .size:           2
        .value_kind:     hidden_remainder_y
      - .offset:         54
        .size:           2
        .value_kind:     hidden_remainder_z
      - .offset:         72
        .size:           8
        .value_kind:     hidden_global_offset_x
      - .offset:         80
        .size:           8
        .value_kind:     hidden_global_offset_y
      - .offset:         88
        .size:           8
        .value_kind:     hidden_global_offset_z
      - .offset:         96
        .size:           2
        .value_kind:     hidden_grid_dims
    .group_segment_fixed_size: 0
    .kernarg_segment_align: 8
    .kernarg_segment_size: 288
    .language:       OpenCL C
    .language_version:
      - 2
      - 0
    .max_flat_workgroup_size: 512
    .name:           _ZN7rocprim6detail16transform_kernelINS0_24wrapped_transform_configINS_14default_configElEElPlS5_NS_8identityIlEEEEvT1_mT2_T3_
    .private_segment_fixed_size: 0
    .sgpr_count:     14
    .sgpr_spill_count: 0
    .symbol:         _ZN7rocprim6detail16transform_kernelINS0_24wrapped_transform_configINS_14default_configElEElPlS5_NS_8identityIlEEEEvT1_mT2_T3_.kd
    .uniform_work_group_size: 1
    .uses_dynamic_stack: false
    .vgpr_count:     3
    .vgpr_spill_count: 0
    .wavefront_size: 64
  - .args:
      - .offset:         0
        .size:           16
        .value_kind:     by_value
      - .offset:         16
        .size:           8
        .value_kind:     by_value
      - .address_space:  global
        .offset:         24
        .size:           8
        .value_kind:     global_buffer
      - .address_space:  global
        .offset:         32
        .size:           8
        .value_kind:     global_buffer
      - .offset:         40
        .size:           1
        .value_kind:     by_value
    .group_segment_fixed_size: 7168
    .kernarg_segment_align: 8
    .kernarg_segment_size: 44
    .language:       OpenCL C
    .language_version:
      - 2
      - 0
    .max_flat_workgroup_size: 64
    .name:           _ZN7rocprim6detail18single_scan_kernelILb1ENS0_19wrapped_scan_configINS_14default_configElEEN6hipcub22TransformInputIteratorIiNS5_6CastOpIiEEPilEEPlNS5_3SumENS_12future_valueIlSB_EElEEvT1_mT4_T2_T3_
    .private_segment_fixed_size: 0
    .sgpr_count:     40
    .sgpr_spill_count: 0
    .symbol:         _ZN7rocprim6detail18single_scan_kernelILb1ENS0_19wrapped_scan_configINS_14default_configElEEN6hipcub22TransformInputIteratorIiNS5_6CastOpIiEEPilEEPlNS5_3SumENS_12future_valueIlSB_EElEEvT1_mT4_T2_T3_.kd
    .uniform_work_group_size: 1
    .uses_dynamic_stack: false
    .vgpr_count:     36
    .vgpr_spill_count: 0
    .wavefront_size: 64
  - .args:
      - .address_space:  global
        .offset:         0
        .size:           8
        .value_kind:     global_buffer
      - .offset:         8
        .size:           8
        .value_kind:     by_value
    .group_segment_fixed_size: 0
    .kernarg_segment_align: 8
    .kernarg_segment_size: 16
    .language:       OpenCL C
    .language_version:
      - 2
      - 0
    .max_flat_workgroup_size: 1024
    .name:           _ZL18fill_initial_valueIlEvPT_S0_
    .private_segment_fixed_size: 0
    .sgpr_count:     10
    .sgpr_spill_count: 0
    .symbol:         _ZL18fill_initial_valueIlEvPT_S0_.kd
    .uniform_work_group_size: 1
    .uses_dynamic_stack: false
    .vgpr_count:     3
    .vgpr_spill_count: 0
    .wavefront_size: 64
  - .args:
      - .offset:         0
        .size:           16
        .value_kind:     by_value
      - .address_space:  global
        .offset:         16
        .size:           8
        .value_kind:     global_buffer
      - .offset:         24
        .size:           8
        .value_kind:     by_value
      - .address_space:  global
        .offset:         32
        .size:           8
        .value_kind:     global_buffer
      - .offset:         40
        .size:           1
        .value_kind:     by_value
      - .address_space:  global
        .offset:         48
        .size:           8
        .value_kind:     global_buffer
      - .offset:         56
        .size:           4
        .value_kind:     by_value
      - .address_space:  global
        .offset:         64
        .size:           8
        .value_kind:     global_buffer
      - .address_space:  global
        .offset:         72
        .size:           8
        .value_kind:     global_buffer
      - .offset:         80
        .size:           1
        .value_kind:     by_value
      - .offset:         81
        .size:           1
        .value_kind:     by_value
    .group_segment_fixed_size: 0
    .kernarg_segment_align: 8
    .kernarg_segment_size: 84
    .language:       OpenCL C
    .language_version:
      - 2
      - 0
    .max_flat_workgroup_size: 256
    .name:           _ZN7rocprim6detail20lookback_scan_kernelILNS0_25lookback_scan_determinismE0ELb1ENS0_19wrapped_scan_configINS_14default_configE6__halfEEN6hipcub22TransformInputIteratorIS5_NS7_6CastOpIS5_EEPS5_lEESB_NS7_3MaxENS_12future_valueIS5_SB_EES5_NS0_19lookback_scan_stateIS5_Lb1ELb1EEEEEvT2_T3_mT5_T4_T7_jPT6_SO_bb
    .private_segment_fixed_size: 0
    .sgpr_count:     4
    .sgpr_spill_count: 0
    .symbol:         _ZN7rocprim6detail20lookback_scan_kernelILNS0_25lookback_scan_determinismE0ELb1ENS0_19wrapped_scan_configINS_14default_configE6__halfEEN6hipcub22TransformInputIteratorIS5_NS7_6CastOpIS5_EEPS5_lEESB_NS7_3MaxENS_12future_valueIS5_SB_EES5_NS0_19lookback_scan_stateIS5_Lb1ELb1EEEEEvT2_T3_mT5_T4_T7_jPT6_SO_bb.kd
    .uniform_work_group_size: 1
    .uses_dynamic_stack: false
    .vgpr_count:     0
    .vgpr_spill_count: 0
    .wavefront_size: 64
  - .args:
      - .offset:         0
        .size:           16
        .value_kind:     by_value
      - .address_space:  global
        .offset:         16
        .size:           8
        .value_kind:     global_buffer
      - .offset:         24
        .size:           8
        .value_kind:     by_value
      - .address_space:  global
        .offset:         32
        .size:           8
        .value_kind:     global_buffer
      - .offset:         40
        .size:           1
        .value_kind:     by_value
      - .address_space:  global
        .offset:         48
        .size:           8
        .value_kind:     global_buffer
      - .offset:         56
        .size:           4
        .value_kind:     by_value
      - .address_space:  global
        .offset:         64
        .size:           8
        .value_kind:     global_buffer
      - .address_space:  global
        .offset:         72
        .size:           8
        .value_kind:     global_buffer
      - .offset:         80
        .size:           1
        .value_kind:     by_value
      - .offset:         81
        .size:           1
        .value_kind:     by_value
    .group_segment_fixed_size: 12288
    .kernarg_segment_align: 8
    .kernarg_segment_size: 84
    .language:       OpenCL C
    .language_version:
      - 2
      - 0
    .max_flat_workgroup_size: 256
    .name:           _ZN7rocprim6detail20lookback_scan_kernelILNS0_25lookback_scan_determinismE0ELb1ENS0_19wrapped_scan_configINS_14default_configE6__halfEEN6hipcub22TransformInputIteratorIS5_NS7_6CastOpIS5_EEPS5_lEESB_NS7_3MaxENS_12future_valueIS5_SB_EES5_NS0_19lookback_scan_stateIS5_Lb0ELb1EEEEEvT2_T3_mT5_T4_T7_jPT6_SO_bb
    .private_segment_fixed_size: 0
    .sgpr_count:     30
    .sgpr_spill_count: 0
    .symbol:         _ZN7rocprim6detail20lookback_scan_kernelILNS0_25lookback_scan_determinismE0ELb1ENS0_19wrapped_scan_configINS_14default_configE6__halfEEN6hipcub22TransformInputIteratorIS5_NS7_6CastOpIS5_EEPS5_lEESB_NS7_3MaxENS_12future_valueIS5_SB_EES5_NS0_19lookback_scan_stateIS5_Lb0ELb1EEEEEvT2_T3_mT5_T4_T7_jPT6_SO_bb.kd
    .uniform_work_group_size: 1
    .uses_dynamic_stack: false
    .vgpr_count:     58
    .vgpr_spill_count: 0
    .wavefront_size: 64
  - .args:
      - .offset:         0
        .size:           16
        .value_kind:     by_value
      - .offset:         16
        .size:           8
        .value_kind:     by_value
      - .address_space:  global
        .offset:         24
        .size:           8
        .value_kind:     global_buffer
      - .address_space:  global
        .offset:         32
        .size:           8
        .value_kind:     global_buffer
      - .offset:         40
        .size:           1
        .value_kind:     by_value
    .group_segment_fixed_size: 12288
    .kernarg_segment_align: 8
    .kernarg_segment_size: 44
    .language:       OpenCL C
    .language_version:
      - 2
      - 0
    .max_flat_workgroup_size: 256
    .name:           _ZN7rocprim6detail18single_scan_kernelILb1ENS0_19wrapped_scan_configINS_14default_configE6__halfEEN6hipcub22TransformInputIteratorIS4_NS6_6CastOpIS4_EEPS4_lEESA_NS6_3MaxENS_12future_valueIS4_SA_EES4_EEvT1_mT4_T2_T3_
    .private_segment_fixed_size: 0
    .sgpr_count:     60
    .sgpr_spill_count: 0
    .symbol:         _ZN7rocprim6detail18single_scan_kernelILb1ENS0_19wrapped_scan_configINS_14default_configE6__halfEEN6hipcub22TransformInputIteratorIS4_NS6_6CastOpIS4_EEPS4_lEESA_NS6_3MaxENS_12future_valueIS4_SA_EES4_EEvT1_mT4_T2_T3_.kd
    .uniform_work_group_size: 1
    .uses_dynamic_stack: false
    .vgpr_count:     32
    .vgpr_spill_count: 0
    .wavefront_size: 64
  - .args:
      - .address_space:  global
        .offset:         0
        .size:           8
        .value_kind:     global_buffer
      - .offset:         8
        .size:           2
        .value_kind:     by_value
    .group_segment_fixed_size: 0
    .kernarg_segment_align: 8
    .kernarg_segment_size: 12
    .language:       OpenCL C
    .language_version:
      - 2
      - 0
    .max_flat_workgroup_size: 1024
    .name:           _ZL18fill_initial_valueI6__halfEvPT_S1_
    .private_segment_fixed_size: 0
    .sgpr_count:     10
    .sgpr_spill_count: 0
    .symbol:         _ZL18fill_initial_valueI6__halfEvPT_S1_.kd
    .uniform_work_group_size: 1
    .uses_dynamic_stack: false
    .vgpr_count:     2
    .vgpr_spill_count: 0
    .wavefront_size: 64
  - .args:
      - .offset:         0
        .size:           16
        .value_kind:     by_value
      - .address_space:  global
        .offset:         16
        .size:           8
        .value_kind:     global_buffer
      - .offset:         24
        .size:           8
        .value_kind:     by_value
      - .address_space:  global
        .offset:         32
        .size:           8
        .value_kind:     global_buffer
      - .offset:         40
        .size:           1
        .value_kind:     by_value
      - .address_space:  global
        .offset:         48
        .size:           8
        .value_kind:     global_buffer
      - .offset:         56
        .size:           4
        .value_kind:     by_value
      - .address_space:  global
        .offset:         64
        .size:           8
        .value_kind:     global_buffer
      - .address_space:  global
        .offset:         72
        .size:           8
        .value_kind:     global_buffer
      - .offset:         80
        .size:           1
        .value_kind:     by_value
      - .offset:         81
        .size:           1
        .value_kind:     by_value
    .group_segment_fixed_size: 0
    .kernarg_segment_align: 8
    .kernarg_segment_size: 84
    .language:       OpenCL C
    .language_version:
      - 2
      - 0
    .max_flat_workgroup_size: 256
    .name:           _ZN7rocprim6detail20lookback_scan_kernelILNS0_25lookback_scan_determinismE0ELb1ENS0_19wrapped_scan_configINS_14default_configE12hip_bfloat16EEN6hipcub22TransformInputIteratorIS5_NS7_6CastOpIS5_EEPS5_lEESB_NS7_3MaxENS_12future_valueIS5_SB_EES5_NS0_19lookback_scan_stateIS5_Lb1ELb1EEEEEvT2_T3_mT5_T4_T7_jPT6_SO_bb
    .private_segment_fixed_size: 0
    .sgpr_count:     4
    .sgpr_spill_count: 0
    .symbol:         _ZN7rocprim6detail20lookback_scan_kernelILNS0_25lookback_scan_determinismE0ELb1ENS0_19wrapped_scan_configINS_14default_configE12hip_bfloat16EEN6hipcub22TransformInputIteratorIS5_NS7_6CastOpIS5_EEPS5_lEESB_NS7_3MaxENS_12future_valueIS5_SB_EES5_NS0_19lookback_scan_stateIS5_Lb1ELb1EEEEEvT2_T3_mT5_T4_T7_jPT6_SO_bb.kd
    .uniform_work_group_size: 1
    .uses_dynamic_stack: false
    .vgpr_count:     0
    .vgpr_spill_count: 0
    .wavefront_size: 64
  - .args:
      - .offset:         0
        .size:           16
        .value_kind:     by_value
      - .address_space:  global
        .offset:         16
        .size:           8
        .value_kind:     global_buffer
      - .offset:         24
        .size:           8
        .value_kind:     by_value
      - .address_space:  global
        .offset:         32
        .size:           8
        .value_kind:     global_buffer
      - .offset:         40
        .size:           1
        .value_kind:     by_value
      - .address_space:  global
        .offset:         48
        .size:           8
        .value_kind:     global_buffer
      - .offset:         56
        .size:           4
        .value_kind:     by_value
      - .address_space:  global
        .offset:         64
        .size:           8
        .value_kind:     global_buffer
      - .address_space:  global
        .offset:         72
        .size:           8
        .value_kind:     global_buffer
      - .offset:         80
        .size:           1
        .value_kind:     by_value
      - .offset:         81
        .size:           1
        .value_kind:     by_value
    .group_segment_fixed_size: 12288
    .kernarg_segment_align: 8
    .kernarg_segment_size: 84
    .language:       OpenCL C
    .language_version:
      - 2
      - 0
    .max_flat_workgroup_size: 256
    .name:           _ZN7rocprim6detail20lookback_scan_kernelILNS0_25lookback_scan_determinismE0ELb1ENS0_19wrapped_scan_configINS_14default_configE12hip_bfloat16EEN6hipcub22TransformInputIteratorIS5_NS7_6CastOpIS5_EEPS5_lEESB_NS7_3MaxENS_12future_valueIS5_SB_EES5_NS0_19lookback_scan_stateIS5_Lb0ELb1EEEEEvT2_T3_mT5_T4_T7_jPT6_SO_bb
    .private_segment_fixed_size: 0
    .sgpr_count:     30
    .sgpr_spill_count: 0
    .symbol:         _ZN7rocprim6detail20lookback_scan_kernelILNS0_25lookback_scan_determinismE0ELb1ENS0_19wrapped_scan_configINS_14default_configE12hip_bfloat16EEN6hipcub22TransformInputIteratorIS5_NS7_6CastOpIS5_EEPS5_lEESB_NS7_3MaxENS_12future_valueIS5_SB_EES5_NS0_19lookback_scan_stateIS5_Lb0ELb1EEEEEvT2_T3_mT5_T4_T7_jPT6_SO_bb.kd
    .uniform_work_group_size: 1
    .uses_dynamic_stack: false
    .vgpr_count:     85
    .vgpr_spill_count: 0
    .wavefront_size: 64
  - .args:
      - .offset:         0
        .size:           16
        .value_kind:     by_value
      - .offset:         16
        .size:           8
        .value_kind:     by_value
      - .address_space:  global
        .offset:         24
        .size:           8
        .value_kind:     global_buffer
      - .address_space:  global
        .offset:         32
        .size:           8
        .value_kind:     global_buffer
      - .offset:         40
        .size:           1
        .value_kind:     by_value
    .group_segment_fixed_size: 12288
    .kernarg_segment_align: 8
    .kernarg_segment_size: 44
    .language:       OpenCL C
    .language_version:
      - 2
      - 0
    .max_flat_workgroup_size: 256
    .name:           _ZN7rocprim6detail18single_scan_kernelILb1ENS0_19wrapped_scan_configINS_14default_configE12hip_bfloat16EEN6hipcub22TransformInputIteratorIS4_NS6_6CastOpIS4_EEPS4_lEESA_NS6_3MaxENS_12future_valueIS4_SA_EES4_EEvT1_mT4_T2_T3_
    .private_segment_fixed_size: 0
    .sgpr_count:     58
    .sgpr_spill_count: 0
    .symbol:         _ZN7rocprim6detail18single_scan_kernelILb1ENS0_19wrapped_scan_configINS_14default_configE12hip_bfloat16EEN6hipcub22TransformInputIteratorIS4_NS6_6CastOpIS4_EEPS4_lEESA_NS6_3MaxENS_12future_valueIS4_SA_EES4_EEvT1_mT4_T2_T3_.kd
    .uniform_work_group_size: 1
    .uses_dynamic_stack: false
    .vgpr_count:     58
    .vgpr_spill_count: 0
    .wavefront_size: 64
  - .args:
      - .address_space:  global
        .offset:         0
        .size:           8
        .value_kind:     global_buffer
      - .offset:         8
        .size:           2
        .value_kind:     by_value
    .group_segment_fixed_size: 0
    .kernarg_segment_align: 8
    .kernarg_segment_size: 12
    .language:       OpenCL C
    .language_version:
      - 2
      - 0
    .max_flat_workgroup_size: 1024
    .name:           _ZL18fill_initial_valueI12hip_bfloat16EvPT_S1_
    .private_segment_fixed_size: 0
    .sgpr_count:     10
    .sgpr_spill_count: 0
    .symbol:         _ZL18fill_initial_valueI12hip_bfloat16EvPT_S1_.kd
    .uniform_work_group_size: 1
    .uses_dynamic_stack: false
    .vgpr_count:     2
    .vgpr_spill_count: 0
    .wavefront_size: 64
  - .args:
      - .address_space:  global
        .offset:         0
        .size:           8
        .value_kind:     global_buffer
      - .offset:         8
        .size:           4
        .value_kind:     by_value
      - .offset:         12
        .size:           4
        .value_kind:     by_value
      - .address_space:  global
        .offset:         16
        .size:           8
        .value_kind:     global_buffer
      - .offset:         24
        .size:           4
        .value_kind:     hidden_block_count_x
      - .offset:         28
        .size:           4
        .value_kind:     hidden_block_count_y
      - .offset:         32
        .size:           4
        .value_kind:     hidden_block_count_z
      - .offset:         36
        .size:           2
        .value_kind:     hidden_group_size_x
      - .offset:         38
        .size:           2
        .value_kind:     hidden_group_size_y
      - .offset:         40
        .size:           2
        .value_kind:     hidden_group_size_z
      - .offset:         42
        .size:           2
        .value_kind:     hidden_remainder_x
      - .offset:         44
        .size:           2
        .value_kind:     hidden_remainder_y
      - .offset:         46
        .size:           2
        .value_kind:     hidden_remainder_z
      - .offset:         64
        .size:           8
        .value_kind:     hidden_global_offset_x
      - .offset:         72
        .size:           8
        .value_kind:     hidden_global_offset_y
      - .offset:         80
        .size:           8
        .value_kind:     hidden_global_offset_z
      - .offset:         88
        .size:           2
        .value_kind:     hidden_grid_dims
    .group_segment_fixed_size: 0
    .kernarg_segment_align: 8
    .kernarg_segment_size: 280
    .language:       OpenCL C
    .language_version:
      - 2
      - 0
    .max_flat_workgroup_size: 256
    .name:           _ZN7rocprim6detail31init_lookback_scan_state_kernelINS0_19lookback_scan_stateIdLb1ELb1EEEEEvT_jjPNS4_10value_typeE
    .private_segment_fixed_size: 0
    .sgpr_count:     18
    .sgpr_spill_count: 0
    .symbol:         _ZN7rocprim6detail31init_lookback_scan_state_kernelINS0_19lookback_scan_stateIdLb1ELb1EEEEEvT_jjPNS4_10value_typeE.kd
    .uniform_work_group_size: 1
    .uses_dynamic_stack: false
    .vgpr_count:     8
    .vgpr_spill_count: 0
    .wavefront_size: 64
  - .args:
      - .address_space:  global
        .offset:         0
        .size:           8
        .value_kind:     global_buffer
      - .offset:         8
        .size:           4
        .value_kind:     by_value
      - .offset:         12
        .size:           4
        .value_kind:     by_value
      - .address_space:  global
        .offset:         16
        .size:           8
        .value_kind:     global_buffer
      - .offset:         24
        .size:           4
        .value_kind:     hidden_block_count_x
      - .offset:         28
        .size:           4
        .value_kind:     hidden_block_count_y
      - .offset:         32
        .size:           4
        .value_kind:     hidden_block_count_z
      - .offset:         36
        .size:           2
        .value_kind:     hidden_group_size_x
      - .offset:         38
        .size:           2
        .value_kind:     hidden_group_size_y
      - .offset:         40
        .size:           2
        .value_kind:     hidden_group_size_z
      - .offset:         42
        .size:           2
        .value_kind:     hidden_remainder_x
      - .offset:         44
        .size:           2
        .value_kind:     hidden_remainder_y
      - .offset:         46
        .size:           2
        .value_kind:     hidden_remainder_z
      - .offset:         64
        .size:           8
        .value_kind:     hidden_global_offset_x
      - .offset:         72
        .size:           8
        .value_kind:     hidden_global_offset_y
      - .offset:         80
        .size:           8
        .value_kind:     hidden_global_offset_z
      - .offset:         88
        .size:           2
        .value_kind:     hidden_grid_dims
    .group_segment_fixed_size: 0
    .kernarg_segment_align: 8
    .kernarg_segment_size: 280
    .language:       OpenCL C
    .language_version:
      - 2
      - 0
    .max_flat_workgroup_size: 256
    .name:           _ZN7rocprim6detail31init_lookback_scan_state_kernelINS0_19lookback_scan_stateIdLb0ELb1EEEEEvT_jjPNS4_10value_typeE
    .private_segment_fixed_size: 0
    .sgpr_count:     18
    .sgpr_spill_count: 0
    .symbol:         _ZN7rocprim6detail31init_lookback_scan_state_kernelINS0_19lookback_scan_stateIdLb0ELb1EEEEEvT_jjPNS4_10value_typeE.kd
    .uniform_work_group_size: 1
    .uses_dynamic_stack: false
    .vgpr_count:     8
    .vgpr_spill_count: 0
    .wavefront_size: 64
  - .args:
      - .offset:         0
        .size:           16
        .value_kind:     by_value
      - .address_space:  global
        .offset:         16
        .size:           8
        .value_kind:     global_buffer
      - .offset:         24
        .size:           8
        .value_kind:     by_value
      - .address_space:  global
        .offset:         32
        .size:           8
        .value_kind:     global_buffer
      - .offset:         40
        .size:           1
        .value_kind:     by_value
      - .address_space:  global
        .offset:         48
        .size:           8
        .value_kind:     global_buffer
      - .offset:         56
        .size:           4
        .value_kind:     by_value
      - .address_space:  global
        .offset:         64
        .size:           8
        .value_kind:     global_buffer
      - .address_space:  global
        .offset:         72
        .size:           8
        .value_kind:     global_buffer
      - .offset:         80
        .size:           1
        .value_kind:     by_value
      - .offset:         81
        .size:           1
        .value_kind:     by_value
    .group_segment_fixed_size: 0
    .kernarg_segment_align: 8
    .kernarg_segment_size: 84
    .language:       OpenCL C
    .language_version:
      - 2
      - 0
    .max_flat_workgroup_size: 128
    .name:           _ZN7rocprim6detail20lookback_scan_kernelILNS0_25lookback_scan_determinismE0ELb1ENS0_19wrapped_scan_configINS_14default_configEdEEN6hipcub22TransformInputIteratorIiNS6_6CastOpIiEEPilEEPdNS6_3SumENS_12future_valueIdSC_EEdNS0_19lookback_scan_stateIdLb1ELb1EEEEEvT2_T3_mT5_T4_T7_jPT6_SO_bb
    .private_segment_fixed_size: 0
    .sgpr_count:     4
    .sgpr_spill_count: 0
    .symbol:         _ZN7rocprim6detail20lookback_scan_kernelILNS0_25lookback_scan_determinismE0ELb1ENS0_19wrapped_scan_configINS_14default_configEdEEN6hipcub22TransformInputIteratorIiNS6_6CastOpIiEEPilEEPdNS6_3SumENS_12future_valueIdSC_EEdNS0_19lookback_scan_stateIdLb1ELb1EEEEEvT2_T3_mT5_T4_T7_jPT6_SO_bb.kd
    .uniform_work_group_size: 1
    .uses_dynamic_stack: false
    .vgpr_count:     0
    .vgpr_spill_count: 0
    .wavefront_size: 64
  - .args:
      - .offset:         0
        .size:           16
        .value_kind:     by_value
      - .address_space:  global
        .offset:         16
        .size:           8
        .value_kind:     global_buffer
      - .offset:         24
        .size:           8
        .value_kind:     by_value
      - .address_space:  global
        .offset:         32
        .size:           8
        .value_kind:     global_buffer
      - .offset:         40
        .size:           1
        .value_kind:     by_value
      - .address_space:  global
        .offset:         48
        .size:           8
        .value_kind:     global_buffer
      - .offset:         56
        .size:           4
        .value_kind:     by_value
      - .address_space:  global
        .offset:         64
        .size:           8
        .value_kind:     global_buffer
      - .address_space:  global
        .offset:         72
        .size:           8
        .value_kind:     global_buffer
      - .offset:         80
        .size:           1
        .value_kind:     by_value
      - .offset:         81
        .size:           1
        .value_kind:     by_value
    .group_segment_fixed_size: 10240
    .kernarg_segment_align: 8
    .kernarg_segment_size: 84
    .language:       OpenCL C
    .language_version:
      - 2
      - 0
    .max_flat_workgroup_size: 128
    .name:           _ZN7rocprim6detail20lookback_scan_kernelILNS0_25lookback_scan_determinismE0ELb1ENS0_19wrapped_scan_configINS_14default_configEdEEN6hipcub22TransformInputIteratorIiNS6_6CastOpIiEEPilEEPdNS6_3SumENS_12future_valueIdSC_EEdNS0_19lookback_scan_stateIdLb0ELb1EEEEEvT2_T3_mT5_T4_T7_jPT6_SO_bb
    .private_segment_fixed_size: 0
    .sgpr_count:     34
    .sgpr_spill_count: 0
    .symbol:         _ZN7rocprim6detail20lookback_scan_kernelILNS0_25lookback_scan_determinismE0ELb1ENS0_19wrapped_scan_configINS_14default_configEdEEN6hipcub22TransformInputIteratorIiNS6_6CastOpIiEEPilEEPdNS6_3SumENS_12future_valueIdSC_EEdNS0_19lookback_scan_stateIdLb0ELb1EEEEEvT2_T3_mT5_T4_T7_jPT6_SO_bb.kd
    .uniform_work_group_size: 1
    .uses_dynamic_stack: false
    .vgpr_count:     56
    .vgpr_spill_count: 0
    .wavefront_size: 64
  - .args:
      - .address_space:  global
        .offset:         0
        .size:           8
        .value_kind:     global_buffer
      - .offset:         8
        .size:           8
        .value_kind:     by_value
      - .address_space:  global
        .offset:         16
        .size:           8
        .value_kind:     global_buffer
      - .offset:         24
        .size:           1
        .value_kind:     by_value
      - .offset:         32
        .size:           4
        .value_kind:     hidden_block_count_x
      - .offset:         36
        .size:           4
        .value_kind:     hidden_block_count_y
      - .offset:         40
        .size:           4
        .value_kind:     hidden_block_count_z
      - .offset:         44
        .size:           2
        .value_kind:     hidden_group_size_x
      - .offset:         46
        .size:           2
        .value_kind:     hidden_group_size_y
      - .offset:         48
        .size:           2
        .value_kind:     hidden_group_size_z
      - .offset:         50
        .size:           2
        .value_kind:     hidden_remainder_x
      - .offset:         52
        .size:           2
        .value_kind:     hidden_remainder_y
      - .offset:         54
        .size:           2
        .value_kind:     hidden_remainder_z
      - .offset:         72
        .size:           8
        .value_kind:     hidden_global_offset_x
      - .offset:         80
        .size:           8
        .value_kind:     hidden_global_offset_y
      - .offset:         88
        .size:           8
        .value_kind:     hidden_global_offset_z
      - .offset:         96
        .size:           2
        .value_kind:     hidden_grid_dims
    .group_segment_fixed_size: 0
    .kernarg_segment_align: 8
    .kernarg_segment_size: 288
    .language:       OpenCL C
    .language_version:
      - 2
      - 0
    .max_flat_workgroup_size: 1024
    .name:           _ZN7rocprim6detail16transform_kernelINS0_24wrapped_transform_configINS_14default_configEdEEdPdS5_NS_8identityIdEEEEvT1_mT2_T3_
    .private_segment_fixed_size: 0
    .sgpr_count:     14
    .sgpr_spill_count: 0
    .symbol:         _ZN7rocprim6detail16transform_kernelINS0_24wrapped_transform_configINS_14default_configEdEEdPdS5_NS_8identityIdEEEEvT1_mT2_T3_.kd
    .uniform_work_group_size: 1
    .uses_dynamic_stack: false
    .vgpr_count:     3
    .vgpr_spill_count: 0
    .wavefront_size: 64
  - .args:
      - .offset:         0
        .size:           16
        .value_kind:     by_value
      - .offset:         16
        .size:           8
        .value_kind:     by_value
      - .address_space:  global
        .offset:         24
        .size:           8
        .value_kind:     global_buffer
      - .address_space:  global
        .offset:         32
        .size:           8
        .value_kind:     global_buffer
      - .offset:         40
        .size:           1
        .value_kind:     by_value
    .group_segment_fixed_size: 10240
    .kernarg_segment_align: 8
    .kernarg_segment_size: 44
    .language:       OpenCL C
    .language_version:
      - 2
      - 0
    .max_flat_workgroup_size: 128
    .name:           _ZN7rocprim6detail18single_scan_kernelILb1ENS0_19wrapped_scan_configINS_14default_configEdEEN6hipcub22TransformInputIteratorIiNS5_6CastOpIiEEPilEEPdNS5_3SumENS_12future_valueIdSB_EEdEEvT1_mT4_T2_T3_
    .private_segment_fixed_size: 0
    .sgpr_count:     32
    .sgpr_spill_count: 0
    .symbol:         _ZN7rocprim6detail18single_scan_kernelILb1ENS0_19wrapped_scan_configINS_14default_configEdEEN6hipcub22TransformInputIteratorIiNS5_6CastOpIiEEPilEEPdNS5_3SumENS_12future_valueIdSB_EEdEEvT1_mT4_T2_T3_.kd
    .uniform_work_group_size: 1
    .uses_dynamic_stack: false
    .vgpr_count:     34
    .vgpr_spill_count: 0
    .wavefront_size: 64
  - .args:
      - .address_space:  global
        .offset:         0
        .size:           8
        .value_kind:     global_buffer
      - .offset:         8
        .size:           8
        .value_kind:     by_value
    .group_segment_fixed_size: 0
    .kernarg_segment_align: 8
    .kernarg_segment_size: 16
    .language:       OpenCL C
    .language_version:
      - 2
      - 0
    .max_flat_workgroup_size: 1024
    .name:           _ZL18fill_initial_valueIdEvPT_S0_
    .private_segment_fixed_size: 0
    .sgpr_count:     10
    .sgpr_spill_count: 0
    .symbol:         _ZL18fill_initial_valueIdEvPT_S0_.kd
    .uniform_work_group_size: 1
    .uses_dynamic_stack: false
    .vgpr_count:     3
    .vgpr_spill_count: 0
    .wavefront_size: 64
  - .args:
      - .address_space:  global
        .offset:         0
        .size:           8
        .value_kind:     global_buffer
      - .offset:         8
        .size:           4
        .value_kind:     by_value
      - .offset:         12
        .size:           4
        .value_kind:     by_value
      - .address_space:  global
        .offset:         16
        .size:           8
        .value_kind:     global_buffer
      - .offset:         24
        .size:           4
        .value_kind:     hidden_block_count_x
      - .offset:         28
        .size:           4
        .value_kind:     hidden_block_count_y
      - .offset:         32
        .size:           4
        .value_kind:     hidden_block_count_z
      - .offset:         36
        .size:           2
        .value_kind:     hidden_group_size_x
      - .offset:         38
        .size:           2
        .value_kind:     hidden_group_size_y
      - .offset:         40
        .size:           2
        .value_kind:     hidden_group_size_z
      - .offset:         42
        .size:           2
        .value_kind:     hidden_remainder_x
      - .offset:         44
        .size:           2
        .value_kind:     hidden_remainder_y
      - .offset:         46
        .size:           2
        .value_kind:     hidden_remainder_z
      - .offset:         64
        .size:           8
        .value_kind:     hidden_global_offset_x
      - .offset:         72
        .size:           8
        .value_kind:     hidden_global_offset_y
      - .offset:         80
        .size:           8
        .value_kind:     hidden_global_offset_z
      - .offset:         88
        .size:           2
        .value_kind:     hidden_grid_dims
    .group_segment_fixed_size: 0
    .kernarg_segment_align: 8
    .kernarg_segment_size: 280
    .language:       OpenCL C
    .language_version:
      - 2
      - 0
    .max_flat_workgroup_size: 256
    .name:           _ZN7rocprim6detail31init_lookback_scan_state_kernelINS0_19lookback_scan_stateIfLb1ELb1EEEEEvT_jjPNS4_10value_typeE
    .private_segment_fixed_size: 0
    .sgpr_count:     16
    .sgpr_spill_count: 0
    .symbol:         _ZN7rocprim6detail31init_lookback_scan_state_kernelINS0_19lookback_scan_stateIfLb1ELb1EEEEEvT_jjPNS4_10value_typeE.kd
    .uniform_work_group_size: 1
    .uses_dynamic_stack: false
    .vgpr_count:     6
    .vgpr_spill_count: 0
    .wavefront_size: 64
  - .args:
      - .address_space:  global
        .offset:         0
        .size:           8
        .value_kind:     global_buffer
      - .offset:         8
        .size:           4
        .value_kind:     by_value
      - .offset:         12
        .size:           4
        .value_kind:     by_value
      - .address_space:  global
        .offset:         16
        .size:           8
        .value_kind:     global_buffer
      - .offset:         24
        .size:           4
        .value_kind:     hidden_block_count_x
      - .offset:         28
        .size:           4
        .value_kind:     hidden_block_count_y
      - .offset:         32
        .size:           4
        .value_kind:     hidden_block_count_z
      - .offset:         36
        .size:           2
        .value_kind:     hidden_group_size_x
      - .offset:         38
        .size:           2
        .value_kind:     hidden_group_size_y
      - .offset:         40
        .size:           2
        .value_kind:     hidden_group_size_z
      - .offset:         42
        .size:           2
        .value_kind:     hidden_remainder_x
      - .offset:         44
        .size:           2
        .value_kind:     hidden_remainder_y
      - .offset:         46
        .size:           2
        .value_kind:     hidden_remainder_z
      - .offset:         64
        .size:           8
        .value_kind:     hidden_global_offset_x
      - .offset:         72
        .size:           8
        .value_kind:     hidden_global_offset_y
      - .offset:         80
        .size:           8
        .value_kind:     hidden_global_offset_z
      - .offset:         88
        .size:           2
        .value_kind:     hidden_grid_dims
    .group_segment_fixed_size: 0
    .kernarg_segment_align: 8
    .kernarg_segment_size: 280
    .language:       OpenCL C
    .language_version:
      - 2
      - 0
    .max_flat_workgroup_size: 256
    .name:           _ZN7rocprim6detail31init_lookback_scan_state_kernelINS0_19lookback_scan_stateIfLb0ELb1EEEEEvT_jjPNS4_10value_typeE
    .private_segment_fixed_size: 0
    .sgpr_count:     14
    .sgpr_spill_count: 0
    .symbol:         _ZN7rocprim6detail31init_lookback_scan_state_kernelINS0_19lookback_scan_stateIfLb0ELb1EEEEEvT_jjPNS4_10value_typeE.kd
    .uniform_work_group_size: 1
    .uses_dynamic_stack: false
    .vgpr_count:     6
    .vgpr_spill_count: 0
    .wavefront_size: 64
  - .args:
      - .offset:         0
        .size:           16
        .value_kind:     by_value
      - .address_space:  global
        .offset:         16
        .size:           8
        .value_kind:     global_buffer
      - .offset:         24
        .size:           8
        .value_kind:     by_value
      - .address_space:  global
        .offset:         32
        .size:           8
        .value_kind:     global_buffer
      - .offset:         40
        .size:           1
        .value_kind:     by_value
      - .address_space:  global
        .offset:         48
        .size:           8
        .value_kind:     global_buffer
      - .offset:         56
        .size:           4
        .value_kind:     by_value
      - .address_space:  global
        .offset:         64
        .size:           8
        .value_kind:     global_buffer
      - .address_space:  global
        .offset:         72
        .size:           8
        .value_kind:     global_buffer
      - .offset:         80
        .size:           1
        .value_kind:     by_value
      - .offset:         81
        .size:           1
        .value_kind:     by_value
    .group_segment_fixed_size: 0
    .kernarg_segment_align: 8
    .kernarg_segment_size: 84
    .language:       OpenCL C
    .language_version:
      - 2
      - 0
    .max_flat_workgroup_size: 256
    .name:           _ZN7rocprim6detail20lookback_scan_kernelILNS0_25lookback_scan_determinismE0ELb1ENS0_19wrapped_scan_configINS_14default_configEfEEN6hipcub22TransformInputIteratorIsNS6_6CastOpIsEEPslEEPfNS6_3MaxENS_12future_valueIfSC_EEfNS0_19lookback_scan_stateIfLb1ELb1EEEEEvT2_T3_mT5_T4_T7_jPT6_SO_bb
    .private_segment_fixed_size: 0
    .sgpr_count:     4
    .sgpr_spill_count: 0
    .symbol:         _ZN7rocprim6detail20lookback_scan_kernelILNS0_25lookback_scan_determinismE0ELb1ENS0_19wrapped_scan_configINS_14default_configEfEEN6hipcub22TransformInputIteratorIsNS6_6CastOpIsEEPslEEPfNS6_3MaxENS_12future_valueIfSC_EEfNS0_19lookback_scan_stateIfLb1ELb1EEEEEvT2_T3_mT5_T4_T7_jPT6_SO_bb.kd
    .uniform_work_group_size: 1
    .uses_dynamic_stack: false
    .vgpr_count:     0
    .vgpr_spill_count: 0
    .wavefront_size: 64
  - .args:
      - .offset:         0
        .size:           16
        .value_kind:     by_value
      - .address_space:  global
        .offset:         16
        .size:           8
        .value_kind:     global_buffer
      - .offset:         24
        .size:           8
        .value_kind:     by_value
      - .address_space:  global
        .offset:         32
        .size:           8
        .value_kind:     global_buffer
      - .offset:         40
        .size:           1
        .value_kind:     by_value
      - .address_space:  global
        .offset:         48
        .size:           8
        .value_kind:     global_buffer
      - .offset:         56
        .size:           4
        .value_kind:     by_value
      - .address_space:  global
        .offset:         64
        .size:           8
        .value_kind:     global_buffer
      - .address_space:  global
        .offset:         72
        .size:           8
        .value_kind:     global_buffer
      - .offset:         80
        .size:           1
        .value_kind:     by_value
      - .offset:         81
        .size:           1
        .value_kind:     by_value
    .group_segment_fixed_size: 15360
    .kernarg_segment_align: 8
    .kernarg_segment_size: 84
    .language:       OpenCL C
    .language_version:
      - 2
      - 0
    .max_flat_workgroup_size: 256
    .name:           _ZN7rocprim6detail20lookback_scan_kernelILNS0_25lookback_scan_determinismE0ELb1ENS0_19wrapped_scan_configINS_14default_configEfEEN6hipcub22TransformInputIteratorIsNS6_6CastOpIsEEPslEEPfNS6_3MaxENS_12future_valueIfSC_EEfNS0_19lookback_scan_stateIfLb0ELb1EEEEEvT2_T3_mT5_T4_T7_jPT6_SO_bb
    .private_segment_fixed_size: 0
    .sgpr_count:     32
    .sgpr_spill_count: 0
    .symbol:         _ZN7rocprim6detail20lookback_scan_kernelILNS0_25lookback_scan_determinismE0ELb1ENS0_19wrapped_scan_configINS_14default_configEfEEN6hipcub22TransformInputIteratorIsNS6_6CastOpIsEEPslEEPfNS6_3MaxENS_12future_valueIfSC_EEfNS0_19lookback_scan_stateIfLb0ELb1EEEEEvT2_T3_mT5_T4_T7_jPT6_SO_bb.kd
    .uniform_work_group_size: 1
    .uses_dynamic_stack: false
    .vgpr_count:     47
    .vgpr_spill_count: 0
    .wavefront_size: 64
  - .args:
      - .address_space:  global
        .offset:         0
        .size:           8
        .value_kind:     global_buffer
      - .offset:         8
        .size:           8
        .value_kind:     by_value
      - .address_space:  global
        .offset:         16
        .size:           8
        .value_kind:     global_buffer
      - .offset:         24
        .size:           1
        .value_kind:     by_value
      - .offset:         32
        .size:           4
        .value_kind:     hidden_block_count_x
      - .offset:         36
        .size:           4
        .value_kind:     hidden_block_count_y
      - .offset:         40
        .size:           4
        .value_kind:     hidden_block_count_z
      - .offset:         44
        .size:           2
        .value_kind:     hidden_group_size_x
      - .offset:         46
        .size:           2
        .value_kind:     hidden_group_size_y
      - .offset:         48
        .size:           2
        .value_kind:     hidden_group_size_z
      - .offset:         50
        .size:           2
        .value_kind:     hidden_remainder_x
      - .offset:         52
        .size:           2
        .value_kind:     hidden_remainder_y
      - .offset:         54
        .size:           2
        .value_kind:     hidden_remainder_z
      - .offset:         72
        .size:           8
        .value_kind:     hidden_global_offset_x
      - .offset:         80
        .size:           8
        .value_kind:     hidden_global_offset_y
      - .offset:         88
        .size:           8
        .value_kind:     hidden_global_offset_z
      - .offset:         96
        .size:           2
        .value_kind:     hidden_grid_dims
    .group_segment_fixed_size: 0
    .kernarg_segment_align: 8
    .kernarg_segment_size: 288
    .language:       OpenCL C
    .language_version:
      - 2
      - 0
    .max_flat_workgroup_size: 1024
    .name:           _ZN7rocprim6detail16transform_kernelINS0_24wrapped_transform_configINS_14default_configEfEEfPfS5_NS_8identityIfEEEEvT1_mT2_T3_
    .private_segment_fixed_size: 0
    .sgpr_count:     16
    .sgpr_spill_count: 0
    .symbol:         _ZN7rocprim6detail16transform_kernelINS0_24wrapped_transform_configINS_14default_configEfEEfPfS5_NS_8identityIfEEEEvT1_mT2_T3_.kd
    .uniform_work_group_size: 1
    .uses_dynamic_stack: false
    .vgpr_count:     8
    .vgpr_spill_count: 0
    .wavefront_size: 64
  - .args:
      - .offset:         0
        .size:           16
        .value_kind:     by_value
      - .offset:         16
        .size:           8
        .value_kind:     by_value
      - .address_space:  global
        .offset:         24
        .size:           8
        .value_kind:     global_buffer
      - .address_space:  global
        .offset:         32
        .size:           8
        .value_kind:     global_buffer
      - .offset:         40
        .size:           1
        .value_kind:     by_value
    .group_segment_fixed_size: 15360
    .kernarg_segment_align: 8
    .kernarg_segment_size: 44
    .language:       OpenCL C
    .language_version:
      - 2
      - 0
    .max_flat_workgroup_size: 256
    .name:           _ZN7rocprim6detail18single_scan_kernelILb1ENS0_19wrapped_scan_configINS_14default_configEfEEN6hipcub22TransformInputIteratorIsNS5_6CastOpIsEEPslEEPfNS5_3MaxENS_12future_valueIfSB_EEfEEvT1_mT4_T2_T3_
    .private_segment_fixed_size: 0
    .sgpr_count:     44
    .sgpr_spill_count: 0
    .symbol:         _ZN7rocprim6detail18single_scan_kernelILb1ENS0_19wrapped_scan_configINS_14default_configEfEEN6hipcub22TransformInputIteratorIsNS5_6CastOpIsEEPslEEPfNS5_3MaxENS_12future_valueIfSB_EEfEEvT1_mT4_T2_T3_.kd
    .uniform_work_group_size: 1
    .uses_dynamic_stack: false
    .vgpr_count:     22
    .vgpr_spill_count: 0
    .wavefront_size: 64
  - .args:
      - .address_space:  global
        .offset:         0
        .size:           8
        .value_kind:     global_buffer
      - .offset:         8
        .size:           4
        .value_kind:     by_value
    .group_segment_fixed_size: 0
    .kernarg_segment_align: 8
    .kernarg_segment_size: 12
    .language:       OpenCL C
    .language_version:
      - 2
      - 0
    .max_flat_workgroup_size: 1024
    .name:           _ZL18fill_initial_valueIfEvPT_S0_
    .private_segment_fixed_size: 0
    .sgpr_count:     10
    .sgpr_spill_count: 0
    .symbol:         _ZL18fill_initial_valueIfEvPT_S0_.kd
    .uniform_work_group_size: 1
    .uses_dynamic_stack: false
    .vgpr_count:     2
    .vgpr_spill_count: 0
    .wavefront_size: 64
  - .args:
      - .offset:         0
        .size:           16
        .value_kind:     by_value
      - .address_space:  global
        .offset:         16
        .size:           8
        .value_kind:     global_buffer
      - .offset:         24
        .size:           8
        .value_kind:     by_value
      - .address_space:  global
        .offset:         32
        .size:           8
        .value_kind:     global_buffer
      - .offset:         40
        .size:           1
        .value_kind:     by_value
      - .address_space:  global
        .offset:         48
        .size:           8
        .value_kind:     global_buffer
      - .offset:         56
        .size:           4
        .value_kind:     by_value
      - .address_space:  global
        .offset:         64
        .size:           8
        .value_kind:     global_buffer
      - .address_space:  global
        .offset:         72
        .size:           8
        .value_kind:     global_buffer
      - .offset:         80
        .size:           1
        .value_kind:     by_value
      - .offset:         81
        .size:           1
        .value_kind:     by_value
    .group_segment_fixed_size: 0
    .kernarg_segment_align: 8
    .kernarg_segment_size: 84
    .language:       OpenCL C
    .language_version:
      - 2
      - 0
    .max_flat_workgroup_size: 64
    .name:           _ZN7rocprim6detail20lookback_scan_kernelILNS0_25lookback_scan_determinismE0ELb1ENS0_19wrapped_scan_configINS_14default_configEmEEN6hipcub22TransformInputIteratorImNS6_6CastOpImEEPmlEESA_NS6_3SumENS_12future_valueImSA_EEmNS0_19lookback_scan_stateImLb1ELb1EEEEEvT2_T3_mT5_T4_T7_jPT6_SN_bb
    .private_segment_fixed_size: 0
    .sgpr_count:     4
    .sgpr_spill_count: 0
    .symbol:         _ZN7rocprim6detail20lookback_scan_kernelILNS0_25lookback_scan_determinismE0ELb1ENS0_19wrapped_scan_configINS_14default_configEmEEN6hipcub22TransformInputIteratorImNS6_6CastOpImEEPmlEESA_NS6_3SumENS_12future_valueImSA_EEmNS0_19lookback_scan_stateImLb1ELb1EEEEEvT2_T3_mT5_T4_T7_jPT6_SN_bb.kd
    .uniform_work_group_size: 1
    .uses_dynamic_stack: false
    .vgpr_count:     0
    .vgpr_spill_count: 0
    .wavefront_size: 64
  - .args:
      - .offset:         0
        .size:           16
        .value_kind:     by_value
      - .address_space:  global
        .offset:         16
        .size:           8
        .value_kind:     global_buffer
      - .offset:         24
        .size:           8
        .value_kind:     by_value
      - .address_space:  global
        .offset:         32
        .size:           8
        .value_kind:     global_buffer
      - .offset:         40
        .size:           1
        .value_kind:     by_value
      - .address_space:  global
        .offset:         48
        .size:           8
        .value_kind:     global_buffer
      - .offset:         56
        .size:           4
        .value_kind:     by_value
      - .address_space:  global
        .offset:         64
        .size:           8
        .value_kind:     global_buffer
      - .address_space:  global
        .offset:         72
        .size:           8
        .value_kind:     global_buffer
      - .offset:         80
        .size:           1
        .value_kind:     by_value
      - .offset:         81
        .size:           1
        .value_kind:     by_value
    .group_segment_fixed_size: 7168
    .kernarg_segment_align: 8
    .kernarg_segment_size: 84
    .language:       OpenCL C
    .language_version:
      - 2
      - 0
    .max_flat_workgroup_size: 64
    .name:           _ZN7rocprim6detail20lookback_scan_kernelILNS0_25lookback_scan_determinismE0ELb1ENS0_19wrapped_scan_configINS_14default_configEmEEN6hipcub22TransformInputIteratorImNS6_6CastOpImEEPmlEESA_NS6_3SumENS_12future_valueImSA_EEmNS0_19lookback_scan_stateImLb0ELb1EEEEEvT2_T3_mT5_T4_T7_jPT6_SN_bb
    .private_segment_fixed_size: 0
    .sgpr_count:     30
    .sgpr_spill_count: 0
    .symbol:         _ZN7rocprim6detail20lookback_scan_kernelILNS0_25lookback_scan_determinismE0ELb1ENS0_19wrapped_scan_configINS_14default_configEmEEN6hipcub22TransformInputIteratorImNS6_6CastOpImEEPmlEESA_NS6_3SumENS_12future_valueImSA_EEmNS0_19lookback_scan_stateImLb0ELb1EEEEEvT2_T3_mT5_T4_T7_jPT6_SN_bb.kd
    .uniform_work_group_size: 1
    .uses_dynamic_stack: false
    .vgpr_count:     65
    .vgpr_spill_count: 0
    .wavefront_size: 64
  - .args:
      - .offset:         0
        .size:           16
        .value_kind:     by_value
      - .offset:         16
        .size:           8
        .value_kind:     by_value
      - .address_space:  global
        .offset:         24
        .size:           8
        .value_kind:     global_buffer
      - .address_space:  global
        .offset:         32
        .size:           8
        .value_kind:     global_buffer
      - .offset:         40
        .size:           1
        .value_kind:     by_value
    .group_segment_fixed_size: 7168
    .kernarg_segment_align: 8
    .kernarg_segment_size: 44
    .language:       OpenCL C
    .language_version:
      - 2
      - 0
    .max_flat_workgroup_size: 64
    .name:           _ZN7rocprim6detail18single_scan_kernelILb1ENS0_19wrapped_scan_configINS_14default_configEmEEN6hipcub22TransformInputIteratorImNS5_6CastOpImEEPmlEES9_NS5_3SumENS_12future_valueImS9_EEmEEvT1_mT4_T2_T3_
    .private_segment_fixed_size: 0
    .sgpr_count:     44
    .sgpr_spill_count: 0
    .symbol:         _ZN7rocprim6detail18single_scan_kernelILb1ENS0_19wrapped_scan_configINS_14default_configEmEEN6hipcub22TransformInputIteratorImNS5_6CastOpImEEPmlEES9_NS5_3SumENS_12future_valueImS9_EEmEEvT1_mT4_T2_T3_.kd
    .uniform_work_group_size: 1
    .uses_dynamic_stack: false
    .vgpr_count:     36
    .vgpr_spill_count: 0
    .wavefront_size: 64
  - .args:
      - .address_space:  global
        .offset:         0
        .size:           8
        .value_kind:     global_buffer
      - .offset:         8
        .size:           8
        .value_kind:     by_value
    .group_segment_fixed_size: 0
    .kernarg_segment_align: 8
    .kernarg_segment_size: 16
    .language:       OpenCL C
    .language_version:
      - 2
      - 0
    .max_flat_workgroup_size: 1024
    .name:           _ZL18fill_initial_valueImEvPT_S0_
    .private_segment_fixed_size: 0
    .sgpr_count:     10
    .sgpr_spill_count: 0
    .symbol:         _ZL18fill_initial_valueImEvPT_S0_.kd
    .uniform_work_group_size: 1
    .uses_dynamic_stack: false
    .vgpr_count:     3
    .vgpr_spill_count: 0
    .wavefront_size: 64
  - .args:
      - .offset:         0
        .size:           16
        .value_kind:     by_value
      - .address_space:  global
        .offset:         16
        .size:           8
        .value_kind:     global_buffer
      - .offset:         24
        .size:           8
        .value_kind:     by_value
      - .address_space:  global
        .offset:         32
        .size:           8
        .value_kind:     global_buffer
      - .offset:         40
        .size:           1
        .value_kind:     by_value
      - .address_space:  global
        .offset:         48
        .size:           8
        .value_kind:     global_buffer
      - .offset:         56
        .size:           4
        .value_kind:     by_value
      - .address_space:  global
        .offset:         64
        .size:           8
        .value_kind:     global_buffer
      - .address_space:  global
        .offset:         72
        .size:           8
        .value_kind:     global_buffer
      - .offset:         80
        .size:           1
        .value_kind:     by_value
      - .offset:         81
        .size:           1
        .value_kind:     by_value
    .group_segment_fixed_size: 0
    .kernarg_segment_align: 8
    .kernarg_segment_size: 84
    .language:       OpenCL C
    .language_version:
      - 2
      - 0
    .max_flat_workgroup_size: 64
    .name:           _ZN7rocprim6detail20lookback_scan_kernelILNS0_25lookback_scan_determinismE0ELb1ENS0_19wrapped_scan_configINS_14default_configEyEEN6hipcub22TransformInputIteratorIyNS6_6CastOpIyEEPylEESA_NS6_3MinENS_12future_valueIySA_EEyNS0_19lookback_scan_stateIyLb1ELb1EEEEEvT2_T3_mT5_T4_T7_jPT6_SN_bb
    .private_segment_fixed_size: 0
    .sgpr_count:     4
    .sgpr_spill_count: 0
    .symbol:         _ZN7rocprim6detail20lookback_scan_kernelILNS0_25lookback_scan_determinismE0ELb1ENS0_19wrapped_scan_configINS_14default_configEyEEN6hipcub22TransformInputIteratorIyNS6_6CastOpIyEEPylEESA_NS6_3MinENS_12future_valueIySA_EEyNS0_19lookback_scan_stateIyLb1ELb1EEEEEvT2_T3_mT5_T4_T7_jPT6_SN_bb.kd
    .uniform_work_group_size: 1
    .uses_dynamic_stack: false
    .vgpr_count:     0
    .vgpr_spill_count: 0
    .wavefront_size: 64
  - .args:
      - .offset:         0
        .size:           16
        .value_kind:     by_value
      - .address_space:  global
        .offset:         16
        .size:           8
        .value_kind:     global_buffer
      - .offset:         24
        .size:           8
        .value_kind:     by_value
      - .address_space:  global
        .offset:         32
        .size:           8
        .value_kind:     global_buffer
      - .offset:         40
        .size:           1
        .value_kind:     by_value
      - .address_space:  global
        .offset:         48
        .size:           8
        .value_kind:     global_buffer
      - .offset:         56
        .size:           4
        .value_kind:     by_value
      - .address_space:  global
        .offset:         64
        .size:           8
        .value_kind:     global_buffer
      - .address_space:  global
        .offset:         72
        .size:           8
        .value_kind:     global_buffer
      - .offset:         80
        .size:           1
        .value_kind:     by_value
      - .offset:         81
        .size:           1
        .value_kind:     by_value
    .group_segment_fixed_size: 7168
    .kernarg_segment_align: 8
    .kernarg_segment_size: 84
    .language:       OpenCL C
    .language_version:
      - 2
      - 0
    .max_flat_workgroup_size: 64
    .name:           _ZN7rocprim6detail20lookback_scan_kernelILNS0_25lookback_scan_determinismE0ELb1ENS0_19wrapped_scan_configINS_14default_configEyEEN6hipcub22TransformInputIteratorIyNS6_6CastOpIyEEPylEESA_NS6_3MinENS_12future_valueIySA_EEyNS0_19lookback_scan_stateIyLb0ELb1EEEEEvT2_T3_mT5_T4_T7_jPT6_SN_bb
    .private_segment_fixed_size: 0
    .sgpr_count:     30
    .sgpr_spill_count: 0
    .symbol:         _ZN7rocprim6detail20lookback_scan_kernelILNS0_25lookback_scan_determinismE0ELb1ENS0_19wrapped_scan_configINS_14default_configEyEEN6hipcub22TransformInputIteratorIyNS6_6CastOpIyEEPylEESA_NS6_3MinENS_12future_valueIySA_EEyNS0_19lookback_scan_stateIyLb0ELb1EEEEEvT2_T3_mT5_T4_T7_jPT6_SN_bb.kd
    .uniform_work_group_size: 1
    .uses_dynamic_stack: false
    .vgpr_count:     62
    .vgpr_spill_count: 0
    .wavefront_size: 64
  - .args:
      - .offset:         0
        .size:           16
        .value_kind:     by_value
      - .offset:         16
        .size:           8
        .value_kind:     by_value
      - .address_space:  global
        .offset:         24
        .size:           8
        .value_kind:     global_buffer
      - .address_space:  global
        .offset:         32
        .size:           8
        .value_kind:     global_buffer
      - .offset:         40
        .size:           1
        .value_kind:     by_value
    .group_segment_fixed_size: 7168
    .kernarg_segment_align: 8
    .kernarg_segment_size: 44
    .language:       OpenCL C
    .language_version:
      - 2
      - 0
    .max_flat_workgroup_size: 64
    .name:           _ZN7rocprim6detail18single_scan_kernelILb1ENS0_19wrapped_scan_configINS_14default_configEyEEN6hipcub22TransformInputIteratorIyNS5_6CastOpIyEEPylEES9_NS5_3MinENS_12future_valueIyS9_EEyEEvT1_mT4_T2_T3_
    .private_segment_fixed_size: 0
    .sgpr_count:     44
    .sgpr_spill_count: 0
    .symbol:         _ZN7rocprim6detail18single_scan_kernelILb1ENS0_19wrapped_scan_configINS_14default_configEyEEN6hipcub22TransformInputIteratorIyNS5_6CastOpIyEEPylEES9_NS5_3MinENS_12future_valueIyS9_EEyEEvT1_mT4_T2_T3_.kd
    .uniform_work_group_size: 1
    .uses_dynamic_stack: false
    .vgpr_count:     36
    .vgpr_spill_count: 0
    .wavefront_size: 64
  - .args:
      - .address_space:  global
        .offset:         0
        .size:           8
        .value_kind:     global_buffer
      - .offset:         8
        .size:           8
        .value_kind:     by_value
    .group_segment_fixed_size: 0
    .kernarg_segment_align: 8
    .kernarg_segment_size: 16
    .language:       OpenCL C
    .language_version:
      - 2
      - 0
    .max_flat_workgroup_size: 1024
    .name:           _ZL18fill_initial_valueIyEvPT_S0_
    .private_segment_fixed_size: 0
    .sgpr_count:     10
    .sgpr_spill_count: 0
    .symbol:         _ZL18fill_initial_valueIyEvPT_S0_.kd
    .uniform_work_group_size: 1
    .uses_dynamic_stack: false
    .vgpr_count:     3
    .vgpr_spill_count: 0
    .wavefront_size: 64
amdhsa.target:   amdgcn-amd-amdhsa--gfx906
amdhsa.version:
  - 1
  - 2
...

	.end_amdgpu_metadata
